;; amdgpu-corpus repo=ROCm/rccl kind=compiled arch=gfx1250 opt=O3
	.amdgcn_target "amdgcn-amd-amdhsa--gfx1250"
	.amdhsa_code_object_version 6
	.text
	.protected	_Z10PingKernelP10LLFifoLineS0_PmPj ; -- Begin function _Z10PingKernelP10LLFifoLineS0_PmPj
	.globl	_Z10PingKernelP10LLFifoLineS0_PmPj
	.p2align	8
	.type	_Z10PingKernelP10LLFifoLineS0_PmPj,@function
_Z10PingKernelP10LLFifoLineS0_PmPj:     ; @_Z10PingKernelP10LLFifoLineS0_PmPj
; %bb.0:
	s_load_b256 s[4:11], s[0:1], 0x0
	v_dual_mov_b32 v4, 0 :: v_dual_lshlrev_b32 v2, 4, v0
	s_mov_b32 s2, 1
	s_mov_b32 s3, 0
	s_delay_alu instid0(VALU_DEP_1) | instskip(SKIP_1) | instid1(VALU_DEP_1)
	v_mov_b32_e32 v3, v4
	s_wait_kmcnt 0x0
	v_add_nc_u64_e32 v[10:11], s[6:7], v[2:3]
	v_add_nc_u64_e32 v[12:13], s[4:5], v[2:3]
.LBB0_1:                                ; =>This Loop Header: Depth=1
                                        ;     Child Loop BB0_2 Depth 2
                                        ;     Child Loop BB0_9 Depth 2
	;; [unrolled: 1-line block ×250, first 2 shown]
	s_bfe_u32 s0, s2, 0x100003
	s_mov_b32 s1, s3
	s_mulk_i32 s0, 0x20c5
	v_dual_mov_b32 v2, s2 :: v_dual_mov_b32 v3, s2
	s_lshr_b32 s0, s0, 20
	v_dual_mov_b32 v5, s2 :: v_dual_mov_b32 v1, 0
	s_mulk_i32 s0, 0x3e8
	s_mov_b32 s4, s3
	s_sub_co_i32 s0, s2, s0
	s_delay_alu instid0(SALU_CYCLE_1) | instskip(NEXT) | instid1(SALU_CYCLE_1)
	s_and_b32 s0, s0, 0xffff
	s_lshl_b32 s0, s0, 12
	s_delay_alu instid0(SALU_CYCLE_1)
	v_add_nc_u64_e32 v[6:7], s[0:1], v[10:11]
	v_add_nc_u64_e32 v[14:15], s[0:1], v[12:13]
	global_store_b128 v[6:7], v[2:5], off th:TH_STORE_NT
.LBB0_2:                                ;   Parent Loop BB0_1 Depth=1
                                        ; =>  This Inner Loop Header: Depth=2
	s_wait_loadcnt 0x0
	global_load_b128 v[6:9], v[14:15], off th:TH_LOAD_NT
	v_add_nc_u32_e32 v1, 1, v1
	s_mov_b32 s0, -1
	s_mov_b32 s5, -1
	s_mov_b32 s6, exec_lo
	s_wait_xcnt 0x0
	v_cmpx_eq_u32_e32 0xf4240, v1
	s_cbranch_execz .LBB0_4
; %bb.3:                                ;   in Loop: Header=BB0_2 Depth=2
	s_wait_loadcnt 0x0
	s_wait_storecnt 0x0
	global_load_b32 v1, v4, s[10:11] scope:SCOPE_SYS
	s_wait_loadcnt 0x0
	global_inv scope:SCOPE_SYS
	v_cmp_eq_u32_e32 vcc_lo, 0, v1
	v_mov_b32_e32 v1, 0
	s_or_not1_b32 s5, vcc_lo, exec_lo
.LBB0_4:                                ;   in Loop: Header=BB0_2 Depth=2
	s_wait_xcnt 0x0
	s_or_b32 exec_lo, exec_lo, s6
	s_and_saveexec_b32 s6, s5
	s_cbranch_execz .LBB0_6
; %bb.5:                                ;   in Loop: Header=BB0_2 Depth=2
	s_wait_loadcnt 0x0
	v_cmp_eq_u32_e32 vcc_lo, s2, v7
	v_cmp_eq_u32_e64 s0, s2, v9
	s_and_b32 s0, vcc_lo, s0
	s_delay_alu instid0(SALU_CYCLE_1)
	s_or_not1_b32 s0, s0, exec_lo
.LBB0_6:                                ;   in Loop: Header=BB0_2 Depth=2
	s_or_b32 exec_lo, exec_lo, s6
	s_delay_alu instid0(SALU_CYCLE_1) | instskip(NEXT) | instid1(SALU_CYCLE_1)
	s_and_b32 s0, exec_lo, s0
	s_or_b32 s4, s0, s4
	s_delay_alu instid0(SALU_CYCLE_1)
	s_and_not1_b32 exec_lo, exec_lo, s4
	s_cbranch_execnz .LBB0_2
; %bb.7:                                ;   in Loop: Header=BB0_2 Depth=2
	s_or_b32 exec_lo, exec_lo, s4
	s_wait_loadcnt 0x0
	v_dual_mov_b32 v7, v8 :: v_dual_mov_b32 v1, 0
	s_mov_b32 s4, 0
	s_delay_alu instid0(VALU_DEP_1) | instskip(SKIP_1) | instid1(SALU_CYCLE_1)
	v_cmp_eq_u64_e32 vcc_lo, s[2:3], v[6:7]
	s_or_b32 s1, vcc_lo, s1
	s_and_not1_b32 exec_lo, exec_lo, s1
	s_cbranch_execnz .LBB0_2
; %bb.8:                                ;   in Loop: Header=BB0_1 Depth=1
	s_or_b32 exec_lo, exec_lo, s1
	s_add_co_i32 s4, s2, 1
	s_mov_b32 s1, s3
	s_bfe_u32 s0, s4, 0x100003
	v_dual_mov_b32 v2, s4 :: v_dual_mov_b32 v3, s4
	s_mulk_i32 s0, 0x20c5
	v_dual_mov_b32 v5, s4 :: v_dual_mov_b32 v1, 0
	s_lshr_b32 s0, s0, 20
	s_mov_b32 s5, s3
	s_mulk_i32 s0, 0x3e8
	s_mov_b32 s6, 0
	s_sub_co_i32 s0, s4, s0
	s_delay_alu instid0(SALU_CYCLE_1) | instskip(NEXT) | instid1(SALU_CYCLE_1)
	s_and_b32 s0, s0, 0xffff
	s_lshl_b32 s0, s0, 12
	s_delay_alu instid0(SALU_CYCLE_1)
	v_add_nc_u64_e32 v[6:7], s[0:1], v[10:11]
	v_add_nc_u64_e32 v[14:15], s[0:1], v[12:13]
	s_mov_b32 s1, 0
	global_store_b128 v[6:7], v[2:5], off th:TH_STORE_NT
.LBB0_9:                                ;   Parent Loop BB0_1 Depth=1
                                        ; =>  This Inner Loop Header: Depth=2
	s_wait_loadcnt 0x0
	global_load_b128 v[6:9], v[14:15], off th:TH_LOAD_NT
	v_add_nc_u32_e32 v1, 1, v1
	s_mov_b32 s0, -1
	s_mov_b32 s7, -1
	s_mov_b32 s12, exec_lo
	s_wait_xcnt 0x0
	v_cmpx_eq_u32_e32 0xf4240, v1
	s_cbranch_execz .LBB0_11
; %bb.10:                               ;   in Loop: Header=BB0_9 Depth=2
	s_wait_loadcnt 0x0
	s_wait_storecnt 0x0
	global_load_b32 v1, v4, s[10:11] scope:SCOPE_SYS
	s_wait_loadcnt 0x0
	global_inv scope:SCOPE_SYS
	v_cmp_eq_u32_e32 vcc_lo, 0, v1
	v_mov_b32_e32 v1, 0
	s_or_not1_b32 s7, vcc_lo, exec_lo
.LBB0_11:                               ;   in Loop: Header=BB0_9 Depth=2
	s_wait_xcnt 0x0
	s_or_b32 exec_lo, exec_lo, s12
	s_and_saveexec_b32 s12, s7
	s_cbranch_execz .LBB0_13
; %bb.12:                               ;   in Loop: Header=BB0_9 Depth=2
	s_wait_loadcnt 0x0
	v_cmp_eq_u32_e32 vcc_lo, s4, v7
	v_cmp_eq_u32_e64 s0, s4, v9
	s_and_b32 s0, vcc_lo, s0
	s_delay_alu instid0(SALU_CYCLE_1)
	s_or_not1_b32 s0, s0, exec_lo
.LBB0_13:                               ;   in Loop: Header=BB0_9 Depth=2
	s_or_b32 exec_lo, exec_lo, s12
	s_delay_alu instid0(SALU_CYCLE_1) | instskip(NEXT) | instid1(SALU_CYCLE_1)
	s_and_b32 s0, exec_lo, s0
	s_or_b32 s6, s0, s6
	s_delay_alu instid0(SALU_CYCLE_1)
	s_and_not1_b32 exec_lo, exec_lo, s6
	s_cbranch_execnz .LBB0_9
; %bb.14:                               ;   in Loop: Header=BB0_9 Depth=2
	s_or_b32 exec_lo, exec_lo, s6
	s_wait_loadcnt 0x0
	v_dual_mov_b32 v7, v8 :: v_dual_mov_b32 v1, 0
	s_mov_b32 s6, 0
	s_delay_alu instid0(VALU_DEP_1) | instskip(SKIP_1) | instid1(SALU_CYCLE_1)
	v_cmp_eq_u64_e32 vcc_lo, s[4:5], v[6:7]
	s_or_b32 s1, vcc_lo, s1
	s_and_not1_b32 exec_lo, exec_lo, s1
	s_cbranch_execnz .LBB0_9
; %bb.15:                               ;   in Loop: Header=BB0_1 Depth=1
	s_or_b32 exec_lo, exec_lo, s1
	s_add_co_i32 s4, s2, 2
	s_mov_b32 s1, s3
	s_bfe_u32 s0, s4, 0x100003
	v_dual_mov_b32 v2, s4 :: v_dual_mov_b32 v3, s4
	s_mulk_i32 s0, 0x20c5
	v_dual_mov_b32 v5, s4 :: v_dual_mov_b32 v1, 0
	s_lshr_b32 s0, s0, 20
	s_mov_b32 s5, s3
	s_mulk_i32 s0, 0x3e8
	s_delay_alu instid0(SALU_CYCLE_1) | instskip(NEXT) | instid1(SALU_CYCLE_1)
	s_sub_co_i32 s0, s4, s0
	s_and_b32 s0, s0, 0xffff
	s_delay_alu instid0(SALU_CYCLE_1) | instskip(NEXT) | instid1(SALU_CYCLE_1)
	s_lshl_b32 s0, s0, 12
	v_add_nc_u64_e32 v[6:7], s[0:1], v[10:11]
	v_add_nc_u64_e32 v[14:15], s[0:1], v[12:13]
	s_mov_b32 s1, 0
	global_store_b128 v[6:7], v[2:5], off th:TH_STORE_NT
.LBB0_16:                               ;   Parent Loop BB0_1 Depth=1
                                        ; =>  This Inner Loop Header: Depth=2
	s_wait_loadcnt 0x0
	global_load_b128 v[6:9], v[14:15], off th:TH_LOAD_NT
	v_add_nc_u32_e32 v1, 1, v1
	s_mov_b32 s0, -1
	s_mov_b32 s7, -1
	s_mov_b32 s12, exec_lo
	s_wait_xcnt 0x0
	v_cmpx_eq_u32_e32 0xf4240, v1
	s_cbranch_execz .LBB0_18
; %bb.17:                               ;   in Loop: Header=BB0_16 Depth=2
	s_wait_loadcnt 0x0
	s_wait_storecnt 0x0
	global_load_b32 v1, v4, s[10:11] scope:SCOPE_SYS
	s_wait_loadcnt 0x0
	global_inv scope:SCOPE_SYS
	v_cmp_eq_u32_e32 vcc_lo, 0, v1
	v_mov_b32_e32 v1, 0
	s_or_not1_b32 s7, vcc_lo, exec_lo
.LBB0_18:                               ;   in Loop: Header=BB0_16 Depth=2
	s_wait_xcnt 0x0
	s_or_b32 exec_lo, exec_lo, s12
	s_and_saveexec_b32 s12, s7
	s_cbranch_execz .LBB0_20
; %bb.19:                               ;   in Loop: Header=BB0_16 Depth=2
	s_wait_loadcnt 0x0
	v_cmp_eq_u32_e32 vcc_lo, s4, v7
	v_cmp_eq_u32_e64 s0, s4, v9
	s_and_b32 s0, vcc_lo, s0
	s_delay_alu instid0(SALU_CYCLE_1)
	s_or_not1_b32 s0, s0, exec_lo
.LBB0_20:                               ;   in Loop: Header=BB0_16 Depth=2
	s_or_b32 exec_lo, exec_lo, s12
	s_delay_alu instid0(SALU_CYCLE_1) | instskip(NEXT) | instid1(SALU_CYCLE_1)
	s_and_b32 s0, exec_lo, s0
	s_or_b32 s6, s0, s6
	s_delay_alu instid0(SALU_CYCLE_1)
	s_and_not1_b32 exec_lo, exec_lo, s6
	s_cbranch_execnz .LBB0_16
; %bb.21:                               ;   in Loop: Header=BB0_16 Depth=2
	s_or_b32 exec_lo, exec_lo, s6
	s_wait_loadcnt 0x0
	v_dual_mov_b32 v7, v8 :: v_dual_mov_b32 v1, 0
	s_mov_b32 s6, 0
	s_delay_alu instid0(VALU_DEP_1) | instskip(SKIP_1) | instid1(SALU_CYCLE_1)
	v_cmp_eq_u64_e32 vcc_lo, s[4:5], v[6:7]
	s_or_b32 s1, vcc_lo, s1
	s_and_not1_b32 exec_lo, exec_lo, s1
	s_cbranch_execnz .LBB0_16
; %bb.22:                               ;   in Loop: Header=BB0_1 Depth=1
	s_or_b32 exec_lo, exec_lo, s1
	s_add_co_i32 s4, s2, 3
	s_mov_b32 s1, s3
	s_bfe_u32 s0, s4, 0x100003
	v_dual_mov_b32 v2, s4 :: v_dual_mov_b32 v3, s4
	s_mulk_i32 s0, 0x20c5
	v_dual_mov_b32 v5, s4 :: v_dual_mov_b32 v1, 0
	s_lshr_b32 s0, s0, 20
	s_mov_b32 s5, s3
	s_mulk_i32 s0, 0x3e8
	s_delay_alu instid0(SALU_CYCLE_1) | instskip(NEXT) | instid1(SALU_CYCLE_1)
	s_sub_co_i32 s0, s4, s0
	s_and_b32 s0, s0, 0xffff
	s_delay_alu instid0(SALU_CYCLE_1) | instskip(NEXT) | instid1(SALU_CYCLE_1)
	s_lshl_b32 s0, s0, 12
	v_add_nc_u64_e32 v[6:7], s[0:1], v[10:11]
	v_add_nc_u64_e32 v[14:15], s[0:1], v[12:13]
	s_mov_b32 s1, 0
	global_store_b128 v[6:7], v[2:5], off th:TH_STORE_NT
.LBB0_23:                               ;   Parent Loop BB0_1 Depth=1
                                        ; =>  This Inner Loop Header: Depth=2
	s_wait_loadcnt 0x0
	global_load_b128 v[6:9], v[14:15], off th:TH_LOAD_NT
	v_add_nc_u32_e32 v1, 1, v1
	s_mov_b32 s0, -1
	s_mov_b32 s7, -1
	s_mov_b32 s12, exec_lo
	s_wait_xcnt 0x0
	v_cmpx_eq_u32_e32 0xf4240, v1
	s_cbranch_execz .LBB0_25
; %bb.24:                               ;   in Loop: Header=BB0_23 Depth=2
	s_wait_loadcnt 0x0
	s_wait_storecnt 0x0
	global_load_b32 v1, v4, s[10:11] scope:SCOPE_SYS
	s_wait_loadcnt 0x0
	global_inv scope:SCOPE_SYS
	v_cmp_eq_u32_e32 vcc_lo, 0, v1
	v_mov_b32_e32 v1, 0
	s_or_not1_b32 s7, vcc_lo, exec_lo
.LBB0_25:                               ;   in Loop: Header=BB0_23 Depth=2
	s_wait_xcnt 0x0
	s_or_b32 exec_lo, exec_lo, s12
	s_and_saveexec_b32 s12, s7
	s_cbranch_execz .LBB0_27
; %bb.26:                               ;   in Loop: Header=BB0_23 Depth=2
	s_wait_loadcnt 0x0
	v_cmp_eq_u32_e32 vcc_lo, s4, v7
	v_cmp_eq_u32_e64 s0, s4, v9
	s_and_b32 s0, vcc_lo, s0
	s_delay_alu instid0(SALU_CYCLE_1)
	s_or_not1_b32 s0, s0, exec_lo
.LBB0_27:                               ;   in Loop: Header=BB0_23 Depth=2
	s_or_b32 exec_lo, exec_lo, s12
	s_delay_alu instid0(SALU_CYCLE_1) | instskip(NEXT) | instid1(SALU_CYCLE_1)
	s_and_b32 s0, exec_lo, s0
	s_or_b32 s6, s0, s6
	s_delay_alu instid0(SALU_CYCLE_1)
	s_and_not1_b32 exec_lo, exec_lo, s6
	s_cbranch_execnz .LBB0_23
; %bb.28:                               ;   in Loop: Header=BB0_23 Depth=2
	s_or_b32 exec_lo, exec_lo, s6
	s_wait_loadcnt 0x0
	v_dual_mov_b32 v7, v8 :: v_dual_mov_b32 v1, 0
	s_mov_b32 s6, 0
	s_delay_alu instid0(VALU_DEP_1) | instskip(SKIP_1) | instid1(SALU_CYCLE_1)
	v_cmp_eq_u64_e32 vcc_lo, s[4:5], v[6:7]
	s_or_b32 s1, vcc_lo, s1
	s_and_not1_b32 exec_lo, exec_lo, s1
	s_cbranch_execnz .LBB0_23
; %bb.29:                               ;   in Loop: Header=BB0_1 Depth=1
	s_or_b32 exec_lo, exec_lo, s1
	s_add_co_i32 s4, s2, 4
	s_mov_b32 s1, s3
	s_bfe_u32 s0, s4, 0x100003
	v_dual_mov_b32 v2, s4 :: v_dual_mov_b32 v3, s4
	s_mulk_i32 s0, 0x20c5
	v_dual_mov_b32 v5, s4 :: v_dual_mov_b32 v1, 0
	s_lshr_b32 s0, s0, 20
	s_mov_b32 s5, s3
	s_mulk_i32 s0, 0x3e8
	s_delay_alu instid0(SALU_CYCLE_1) | instskip(NEXT) | instid1(SALU_CYCLE_1)
	s_sub_co_i32 s0, s4, s0
	s_and_b32 s0, s0, 0xffff
	s_delay_alu instid0(SALU_CYCLE_1) | instskip(NEXT) | instid1(SALU_CYCLE_1)
	s_lshl_b32 s0, s0, 12
	v_add_nc_u64_e32 v[6:7], s[0:1], v[10:11]
	v_add_nc_u64_e32 v[14:15], s[0:1], v[12:13]
	s_mov_b32 s1, 0
	global_store_b128 v[6:7], v[2:5], off th:TH_STORE_NT
.LBB0_30:                               ;   Parent Loop BB0_1 Depth=1
                                        ; =>  This Inner Loop Header: Depth=2
	s_wait_loadcnt 0x0
	global_load_b128 v[6:9], v[14:15], off th:TH_LOAD_NT
	v_add_nc_u32_e32 v1, 1, v1
	s_mov_b32 s0, -1
	s_mov_b32 s7, -1
	s_mov_b32 s12, exec_lo
	s_wait_xcnt 0x0
	v_cmpx_eq_u32_e32 0xf4240, v1
	s_cbranch_execz .LBB0_32
; %bb.31:                               ;   in Loop: Header=BB0_30 Depth=2
	s_wait_loadcnt 0x0
	s_wait_storecnt 0x0
	global_load_b32 v1, v4, s[10:11] scope:SCOPE_SYS
	s_wait_loadcnt 0x0
	global_inv scope:SCOPE_SYS
	v_cmp_eq_u32_e32 vcc_lo, 0, v1
	v_mov_b32_e32 v1, 0
	s_or_not1_b32 s7, vcc_lo, exec_lo
.LBB0_32:                               ;   in Loop: Header=BB0_30 Depth=2
	s_wait_xcnt 0x0
	s_or_b32 exec_lo, exec_lo, s12
	s_and_saveexec_b32 s12, s7
	s_cbranch_execz .LBB0_34
; %bb.33:                               ;   in Loop: Header=BB0_30 Depth=2
	s_wait_loadcnt 0x0
	v_cmp_eq_u32_e32 vcc_lo, s4, v7
	v_cmp_eq_u32_e64 s0, s4, v9
	s_and_b32 s0, vcc_lo, s0
	s_delay_alu instid0(SALU_CYCLE_1)
	s_or_not1_b32 s0, s0, exec_lo
.LBB0_34:                               ;   in Loop: Header=BB0_30 Depth=2
	s_or_b32 exec_lo, exec_lo, s12
	s_delay_alu instid0(SALU_CYCLE_1) | instskip(NEXT) | instid1(SALU_CYCLE_1)
	s_and_b32 s0, exec_lo, s0
	s_or_b32 s6, s0, s6
	s_delay_alu instid0(SALU_CYCLE_1)
	s_and_not1_b32 exec_lo, exec_lo, s6
	s_cbranch_execnz .LBB0_30
; %bb.35:                               ;   in Loop: Header=BB0_30 Depth=2
	s_or_b32 exec_lo, exec_lo, s6
	s_wait_loadcnt 0x0
	v_dual_mov_b32 v7, v8 :: v_dual_mov_b32 v1, 0
	s_mov_b32 s6, 0
	s_delay_alu instid0(VALU_DEP_1) | instskip(SKIP_1) | instid1(SALU_CYCLE_1)
	v_cmp_eq_u64_e32 vcc_lo, s[4:5], v[6:7]
	s_or_b32 s1, vcc_lo, s1
	s_and_not1_b32 exec_lo, exec_lo, s1
	s_cbranch_execnz .LBB0_30
; %bb.36:                               ;   in Loop: Header=BB0_1 Depth=1
	s_or_b32 exec_lo, exec_lo, s1
	s_add_co_i32 s4, s2, 5
	s_mov_b32 s1, s3
	s_bfe_u32 s0, s4, 0x100003
	v_dual_mov_b32 v2, s4 :: v_dual_mov_b32 v3, s4
	s_mulk_i32 s0, 0x20c5
	v_dual_mov_b32 v5, s4 :: v_dual_mov_b32 v1, 0
	s_lshr_b32 s0, s0, 20
	s_mov_b32 s5, s3
	s_mulk_i32 s0, 0x3e8
	s_delay_alu instid0(SALU_CYCLE_1) | instskip(NEXT) | instid1(SALU_CYCLE_1)
	s_sub_co_i32 s0, s4, s0
	s_and_b32 s0, s0, 0xffff
	s_delay_alu instid0(SALU_CYCLE_1) | instskip(NEXT) | instid1(SALU_CYCLE_1)
	s_lshl_b32 s0, s0, 12
	v_add_nc_u64_e32 v[6:7], s[0:1], v[10:11]
	v_add_nc_u64_e32 v[14:15], s[0:1], v[12:13]
	s_mov_b32 s1, 0
	global_store_b128 v[6:7], v[2:5], off th:TH_STORE_NT
.LBB0_37:                               ;   Parent Loop BB0_1 Depth=1
                                        ; =>  This Inner Loop Header: Depth=2
	s_wait_loadcnt 0x0
	global_load_b128 v[6:9], v[14:15], off th:TH_LOAD_NT
	v_add_nc_u32_e32 v1, 1, v1
	s_mov_b32 s0, -1
	s_mov_b32 s7, -1
	s_mov_b32 s12, exec_lo
	s_wait_xcnt 0x0
	v_cmpx_eq_u32_e32 0xf4240, v1
	s_cbranch_execz .LBB0_39
; %bb.38:                               ;   in Loop: Header=BB0_37 Depth=2
	s_wait_loadcnt 0x0
	s_wait_storecnt 0x0
	global_load_b32 v1, v4, s[10:11] scope:SCOPE_SYS
	s_wait_loadcnt 0x0
	global_inv scope:SCOPE_SYS
	v_cmp_eq_u32_e32 vcc_lo, 0, v1
	v_mov_b32_e32 v1, 0
	s_or_not1_b32 s7, vcc_lo, exec_lo
.LBB0_39:                               ;   in Loop: Header=BB0_37 Depth=2
	s_wait_xcnt 0x0
	s_or_b32 exec_lo, exec_lo, s12
	s_and_saveexec_b32 s12, s7
	s_cbranch_execz .LBB0_41
; %bb.40:                               ;   in Loop: Header=BB0_37 Depth=2
	s_wait_loadcnt 0x0
	v_cmp_eq_u32_e32 vcc_lo, s4, v7
	v_cmp_eq_u32_e64 s0, s4, v9
	s_and_b32 s0, vcc_lo, s0
	s_delay_alu instid0(SALU_CYCLE_1)
	s_or_not1_b32 s0, s0, exec_lo
.LBB0_41:                               ;   in Loop: Header=BB0_37 Depth=2
	s_or_b32 exec_lo, exec_lo, s12
	s_delay_alu instid0(SALU_CYCLE_1) | instskip(NEXT) | instid1(SALU_CYCLE_1)
	s_and_b32 s0, exec_lo, s0
	s_or_b32 s6, s0, s6
	s_delay_alu instid0(SALU_CYCLE_1)
	s_and_not1_b32 exec_lo, exec_lo, s6
	s_cbranch_execnz .LBB0_37
; %bb.42:                               ;   in Loop: Header=BB0_37 Depth=2
	s_or_b32 exec_lo, exec_lo, s6
	s_wait_loadcnt 0x0
	v_dual_mov_b32 v7, v8 :: v_dual_mov_b32 v1, 0
	s_mov_b32 s6, 0
	s_delay_alu instid0(VALU_DEP_1) | instskip(SKIP_1) | instid1(SALU_CYCLE_1)
	v_cmp_eq_u64_e32 vcc_lo, s[4:5], v[6:7]
	s_or_b32 s1, vcc_lo, s1
	s_and_not1_b32 exec_lo, exec_lo, s1
	s_cbranch_execnz .LBB0_37
; %bb.43:                               ;   in Loop: Header=BB0_1 Depth=1
	s_or_b32 exec_lo, exec_lo, s1
	s_add_co_i32 s4, s2, 6
	s_mov_b32 s1, s3
	s_bfe_u32 s0, s4, 0x100003
	v_dual_mov_b32 v2, s4 :: v_dual_mov_b32 v3, s4
	s_mulk_i32 s0, 0x20c5
	v_dual_mov_b32 v5, s4 :: v_dual_mov_b32 v1, 0
	s_lshr_b32 s0, s0, 20
	s_mov_b32 s5, s3
	s_mulk_i32 s0, 0x3e8
	s_delay_alu instid0(SALU_CYCLE_1) | instskip(NEXT) | instid1(SALU_CYCLE_1)
	s_sub_co_i32 s0, s4, s0
	s_and_b32 s0, s0, 0xffff
	s_delay_alu instid0(SALU_CYCLE_1) | instskip(NEXT) | instid1(SALU_CYCLE_1)
	s_lshl_b32 s0, s0, 12
	v_add_nc_u64_e32 v[6:7], s[0:1], v[10:11]
	v_add_nc_u64_e32 v[14:15], s[0:1], v[12:13]
	s_mov_b32 s1, 0
	global_store_b128 v[6:7], v[2:5], off th:TH_STORE_NT
.LBB0_44:                               ;   Parent Loop BB0_1 Depth=1
                                        ; =>  This Inner Loop Header: Depth=2
	s_wait_loadcnt 0x0
	global_load_b128 v[6:9], v[14:15], off th:TH_LOAD_NT
	v_add_nc_u32_e32 v1, 1, v1
	s_mov_b32 s0, -1
	s_mov_b32 s7, -1
	s_mov_b32 s12, exec_lo
	s_wait_xcnt 0x0
	v_cmpx_eq_u32_e32 0xf4240, v1
	s_cbranch_execz .LBB0_46
; %bb.45:                               ;   in Loop: Header=BB0_44 Depth=2
	s_wait_loadcnt 0x0
	s_wait_storecnt 0x0
	global_load_b32 v1, v4, s[10:11] scope:SCOPE_SYS
	s_wait_loadcnt 0x0
	global_inv scope:SCOPE_SYS
	v_cmp_eq_u32_e32 vcc_lo, 0, v1
	v_mov_b32_e32 v1, 0
	s_or_not1_b32 s7, vcc_lo, exec_lo
.LBB0_46:                               ;   in Loop: Header=BB0_44 Depth=2
	s_wait_xcnt 0x0
	s_or_b32 exec_lo, exec_lo, s12
	s_and_saveexec_b32 s12, s7
	s_cbranch_execz .LBB0_48
; %bb.47:                               ;   in Loop: Header=BB0_44 Depth=2
	s_wait_loadcnt 0x0
	v_cmp_eq_u32_e32 vcc_lo, s4, v7
	v_cmp_eq_u32_e64 s0, s4, v9
	s_and_b32 s0, vcc_lo, s0
	s_delay_alu instid0(SALU_CYCLE_1)
	s_or_not1_b32 s0, s0, exec_lo
.LBB0_48:                               ;   in Loop: Header=BB0_44 Depth=2
	s_or_b32 exec_lo, exec_lo, s12
	s_delay_alu instid0(SALU_CYCLE_1) | instskip(NEXT) | instid1(SALU_CYCLE_1)
	s_and_b32 s0, exec_lo, s0
	s_or_b32 s6, s0, s6
	s_delay_alu instid0(SALU_CYCLE_1)
	s_and_not1_b32 exec_lo, exec_lo, s6
	s_cbranch_execnz .LBB0_44
; %bb.49:                               ;   in Loop: Header=BB0_44 Depth=2
	s_or_b32 exec_lo, exec_lo, s6
	s_wait_loadcnt 0x0
	v_dual_mov_b32 v7, v8 :: v_dual_mov_b32 v1, 0
	s_mov_b32 s6, 0
	s_delay_alu instid0(VALU_DEP_1) | instskip(SKIP_1) | instid1(SALU_CYCLE_1)
	v_cmp_eq_u64_e32 vcc_lo, s[4:5], v[6:7]
	s_or_b32 s1, vcc_lo, s1
	s_and_not1_b32 exec_lo, exec_lo, s1
	s_cbranch_execnz .LBB0_44
; %bb.50:                               ;   in Loop: Header=BB0_1 Depth=1
	s_or_b32 exec_lo, exec_lo, s1
	s_add_co_i32 s4, s2, 7
	s_mov_b32 s1, s3
	s_bfe_u32 s0, s4, 0x100003
	v_dual_mov_b32 v2, s4 :: v_dual_mov_b32 v3, s4
	s_mulk_i32 s0, 0x20c5
	v_dual_mov_b32 v5, s4 :: v_dual_mov_b32 v1, 0
	s_lshr_b32 s0, s0, 20
	s_mov_b32 s5, s3
	s_mulk_i32 s0, 0x3e8
	s_delay_alu instid0(SALU_CYCLE_1) | instskip(NEXT) | instid1(SALU_CYCLE_1)
	s_sub_co_i32 s0, s4, s0
	s_and_b32 s0, s0, 0xffff
	s_delay_alu instid0(SALU_CYCLE_1) | instskip(NEXT) | instid1(SALU_CYCLE_1)
	s_lshl_b32 s0, s0, 12
	v_add_nc_u64_e32 v[6:7], s[0:1], v[10:11]
	v_add_nc_u64_e32 v[14:15], s[0:1], v[12:13]
	s_mov_b32 s1, 0
	global_store_b128 v[6:7], v[2:5], off th:TH_STORE_NT
.LBB0_51:                               ;   Parent Loop BB0_1 Depth=1
                                        ; =>  This Inner Loop Header: Depth=2
	s_wait_loadcnt 0x0
	global_load_b128 v[6:9], v[14:15], off th:TH_LOAD_NT
	v_add_nc_u32_e32 v1, 1, v1
	s_mov_b32 s0, -1
	s_mov_b32 s7, -1
	s_mov_b32 s12, exec_lo
	s_wait_xcnt 0x0
	v_cmpx_eq_u32_e32 0xf4240, v1
	s_cbranch_execz .LBB0_53
; %bb.52:                               ;   in Loop: Header=BB0_51 Depth=2
	s_wait_loadcnt 0x0
	s_wait_storecnt 0x0
	global_load_b32 v1, v4, s[10:11] scope:SCOPE_SYS
	s_wait_loadcnt 0x0
	global_inv scope:SCOPE_SYS
	v_cmp_eq_u32_e32 vcc_lo, 0, v1
	v_mov_b32_e32 v1, 0
	s_or_not1_b32 s7, vcc_lo, exec_lo
.LBB0_53:                               ;   in Loop: Header=BB0_51 Depth=2
	s_wait_xcnt 0x0
	s_or_b32 exec_lo, exec_lo, s12
	s_and_saveexec_b32 s12, s7
	s_cbranch_execz .LBB0_55
; %bb.54:                               ;   in Loop: Header=BB0_51 Depth=2
	s_wait_loadcnt 0x0
	v_cmp_eq_u32_e32 vcc_lo, s4, v7
	v_cmp_eq_u32_e64 s0, s4, v9
	s_and_b32 s0, vcc_lo, s0
	s_delay_alu instid0(SALU_CYCLE_1)
	s_or_not1_b32 s0, s0, exec_lo
.LBB0_55:                               ;   in Loop: Header=BB0_51 Depth=2
	s_or_b32 exec_lo, exec_lo, s12
	s_delay_alu instid0(SALU_CYCLE_1) | instskip(NEXT) | instid1(SALU_CYCLE_1)
	s_and_b32 s0, exec_lo, s0
	s_or_b32 s6, s0, s6
	s_delay_alu instid0(SALU_CYCLE_1)
	s_and_not1_b32 exec_lo, exec_lo, s6
	s_cbranch_execnz .LBB0_51
; %bb.56:                               ;   in Loop: Header=BB0_51 Depth=2
	s_or_b32 exec_lo, exec_lo, s6
	s_wait_loadcnt 0x0
	v_dual_mov_b32 v7, v8 :: v_dual_mov_b32 v1, 0
	s_mov_b32 s6, 0
	s_delay_alu instid0(VALU_DEP_1) | instskip(SKIP_1) | instid1(SALU_CYCLE_1)
	v_cmp_eq_u64_e32 vcc_lo, s[4:5], v[6:7]
	s_or_b32 s1, vcc_lo, s1
	s_and_not1_b32 exec_lo, exec_lo, s1
	s_cbranch_execnz .LBB0_51
; %bb.57:                               ;   in Loop: Header=BB0_1 Depth=1
	s_or_b32 exec_lo, exec_lo, s1
	s_add_co_i32 s4, s2, 8
	s_mov_b32 s1, s3
	s_bfe_u32 s0, s4, 0x100003
	v_dual_mov_b32 v2, s4 :: v_dual_mov_b32 v3, s4
	s_mulk_i32 s0, 0x20c5
	v_dual_mov_b32 v5, s4 :: v_dual_mov_b32 v1, 0
	s_lshr_b32 s0, s0, 20
	s_mov_b32 s5, s3
	s_mulk_i32 s0, 0x3e8
	s_delay_alu instid0(SALU_CYCLE_1) | instskip(NEXT) | instid1(SALU_CYCLE_1)
	s_sub_co_i32 s0, s4, s0
	s_and_b32 s0, s0, 0xffff
	s_delay_alu instid0(SALU_CYCLE_1) | instskip(NEXT) | instid1(SALU_CYCLE_1)
	s_lshl_b32 s0, s0, 12
	v_add_nc_u64_e32 v[6:7], s[0:1], v[10:11]
	v_add_nc_u64_e32 v[14:15], s[0:1], v[12:13]
	s_mov_b32 s1, 0
	global_store_b128 v[6:7], v[2:5], off th:TH_STORE_NT
.LBB0_58:                               ;   Parent Loop BB0_1 Depth=1
                                        ; =>  This Inner Loop Header: Depth=2
	s_wait_loadcnt 0x0
	global_load_b128 v[6:9], v[14:15], off th:TH_LOAD_NT
	v_add_nc_u32_e32 v1, 1, v1
	s_mov_b32 s0, -1
	s_mov_b32 s7, -1
	s_mov_b32 s12, exec_lo
	s_wait_xcnt 0x0
	v_cmpx_eq_u32_e32 0xf4240, v1
	s_cbranch_execz .LBB0_60
; %bb.59:                               ;   in Loop: Header=BB0_58 Depth=2
	s_wait_loadcnt 0x0
	s_wait_storecnt 0x0
	global_load_b32 v1, v4, s[10:11] scope:SCOPE_SYS
	s_wait_loadcnt 0x0
	global_inv scope:SCOPE_SYS
	v_cmp_eq_u32_e32 vcc_lo, 0, v1
	v_mov_b32_e32 v1, 0
	s_or_not1_b32 s7, vcc_lo, exec_lo
.LBB0_60:                               ;   in Loop: Header=BB0_58 Depth=2
	s_wait_xcnt 0x0
	s_or_b32 exec_lo, exec_lo, s12
	s_and_saveexec_b32 s12, s7
	s_cbranch_execz .LBB0_62
; %bb.61:                               ;   in Loop: Header=BB0_58 Depth=2
	s_wait_loadcnt 0x0
	v_cmp_eq_u32_e32 vcc_lo, s4, v7
	v_cmp_eq_u32_e64 s0, s4, v9
	s_and_b32 s0, vcc_lo, s0
	s_delay_alu instid0(SALU_CYCLE_1)
	s_or_not1_b32 s0, s0, exec_lo
.LBB0_62:                               ;   in Loop: Header=BB0_58 Depth=2
	s_or_b32 exec_lo, exec_lo, s12
	s_delay_alu instid0(SALU_CYCLE_1) | instskip(NEXT) | instid1(SALU_CYCLE_1)
	s_and_b32 s0, exec_lo, s0
	s_or_b32 s6, s0, s6
	s_delay_alu instid0(SALU_CYCLE_1)
	s_and_not1_b32 exec_lo, exec_lo, s6
	s_cbranch_execnz .LBB0_58
; %bb.63:                               ;   in Loop: Header=BB0_58 Depth=2
	s_or_b32 exec_lo, exec_lo, s6
	s_wait_loadcnt 0x0
	v_dual_mov_b32 v7, v8 :: v_dual_mov_b32 v1, 0
	s_mov_b32 s6, 0
	s_delay_alu instid0(VALU_DEP_1) | instskip(SKIP_1) | instid1(SALU_CYCLE_1)
	v_cmp_eq_u64_e32 vcc_lo, s[4:5], v[6:7]
	s_or_b32 s1, vcc_lo, s1
	s_and_not1_b32 exec_lo, exec_lo, s1
	s_cbranch_execnz .LBB0_58
; %bb.64:                               ;   in Loop: Header=BB0_1 Depth=1
	s_or_b32 exec_lo, exec_lo, s1
	s_add_co_i32 s4, s2, 9
	s_mov_b32 s1, s3
	s_bfe_u32 s0, s4, 0x100003
	v_dual_mov_b32 v2, s4 :: v_dual_mov_b32 v3, s4
	s_mulk_i32 s0, 0x20c5
	v_dual_mov_b32 v5, s4 :: v_dual_mov_b32 v1, 0
	s_lshr_b32 s0, s0, 20
	s_mov_b32 s5, s3
	s_mulk_i32 s0, 0x3e8
	s_delay_alu instid0(SALU_CYCLE_1) | instskip(NEXT) | instid1(SALU_CYCLE_1)
	s_sub_co_i32 s0, s4, s0
	s_and_b32 s0, s0, 0xffff
	s_delay_alu instid0(SALU_CYCLE_1) | instskip(NEXT) | instid1(SALU_CYCLE_1)
	s_lshl_b32 s0, s0, 12
	v_add_nc_u64_e32 v[6:7], s[0:1], v[10:11]
	v_add_nc_u64_e32 v[14:15], s[0:1], v[12:13]
	s_mov_b32 s1, 0
	global_store_b128 v[6:7], v[2:5], off th:TH_STORE_NT
.LBB0_65:                               ;   Parent Loop BB0_1 Depth=1
                                        ; =>  This Inner Loop Header: Depth=2
	s_wait_loadcnt 0x0
	global_load_b128 v[6:9], v[14:15], off th:TH_LOAD_NT
	v_add_nc_u32_e32 v1, 1, v1
	s_mov_b32 s0, -1
	s_mov_b32 s7, -1
	s_mov_b32 s12, exec_lo
	s_wait_xcnt 0x0
	v_cmpx_eq_u32_e32 0xf4240, v1
	s_cbranch_execz .LBB0_67
; %bb.66:                               ;   in Loop: Header=BB0_65 Depth=2
	s_wait_loadcnt 0x0
	s_wait_storecnt 0x0
	global_load_b32 v1, v4, s[10:11] scope:SCOPE_SYS
	s_wait_loadcnt 0x0
	global_inv scope:SCOPE_SYS
	v_cmp_eq_u32_e32 vcc_lo, 0, v1
	v_mov_b32_e32 v1, 0
	s_or_not1_b32 s7, vcc_lo, exec_lo
.LBB0_67:                               ;   in Loop: Header=BB0_65 Depth=2
	s_wait_xcnt 0x0
	s_or_b32 exec_lo, exec_lo, s12
	s_and_saveexec_b32 s12, s7
	s_cbranch_execz .LBB0_69
; %bb.68:                               ;   in Loop: Header=BB0_65 Depth=2
	s_wait_loadcnt 0x0
	v_cmp_eq_u32_e32 vcc_lo, s4, v7
	v_cmp_eq_u32_e64 s0, s4, v9
	s_and_b32 s0, vcc_lo, s0
	s_delay_alu instid0(SALU_CYCLE_1)
	s_or_not1_b32 s0, s0, exec_lo
.LBB0_69:                               ;   in Loop: Header=BB0_65 Depth=2
	s_or_b32 exec_lo, exec_lo, s12
	s_delay_alu instid0(SALU_CYCLE_1) | instskip(NEXT) | instid1(SALU_CYCLE_1)
	s_and_b32 s0, exec_lo, s0
	s_or_b32 s6, s0, s6
	s_delay_alu instid0(SALU_CYCLE_1)
	s_and_not1_b32 exec_lo, exec_lo, s6
	s_cbranch_execnz .LBB0_65
; %bb.70:                               ;   in Loop: Header=BB0_65 Depth=2
	s_or_b32 exec_lo, exec_lo, s6
	s_wait_loadcnt 0x0
	v_dual_mov_b32 v7, v8 :: v_dual_mov_b32 v1, 0
	s_mov_b32 s6, 0
	s_delay_alu instid0(VALU_DEP_1) | instskip(SKIP_1) | instid1(SALU_CYCLE_1)
	v_cmp_eq_u64_e32 vcc_lo, s[4:5], v[6:7]
	s_or_b32 s1, vcc_lo, s1
	s_and_not1_b32 exec_lo, exec_lo, s1
	s_cbranch_execnz .LBB0_65
; %bb.71:                               ;   in Loop: Header=BB0_1 Depth=1
	s_or_b32 exec_lo, exec_lo, s1
	s_add_co_i32 s4, s2, 10
	s_mov_b32 s1, s3
	s_bfe_u32 s0, s4, 0x100003
	v_dual_mov_b32 v2, s4 :: v_dual_mov_b32 v3, s4
	s_mulk_i32 s0, 0x20c5
	v_dual_mov_b32 v5, s4 :: v_dual_mov_b32 v1, 0
	s_lshr_b32 s0, s0, 20
	s_mov_b32 s5, s3
	s_mulk_i32 s0, 0x3e8
	s_delay_alu instid0(SALU_CYCLE_1) | instskip(NEXT) | instid1(SALU_CYCLE_1)
	s_sub_co_i32 s0, s4, s0
	s_and_b32 s0, s0, 0xffff
	s_delay_alu instid0(SALU_CYCLE_1) | instskip(NEXT) | instid1(SALU_CYCLE_1)
	s_lshl_b32 s0, s0, 12
	v_add_nc_u64_e32 v[6:7], s[0:1], v[10:11]
	v_add_nc_u64_e32 v[14:15], s[0:1], v[12:13]
	s_mov_b32 s1, 0
	global_store_b128 v[6:7], v[2:5], off th:TH_STORE_NT
.LBB0_72:                               ;   Parent Loop BB0_1 Depth=1
                                        ; =>  This Inner Loop Header: Depth=2
	s_wait_loadcnt 0x0
	global_load_b128 v[6:9], v[14:15], off th:TH_LOAD_NT
	v_add_nc_u32_e32 v1, 1, v1
	s_mov_b32 s0, -1
	s_mov_b32 s7, -1
	s_mov_b32 s12, exec_lo
	s_wait_xcnt 0x0
	v_cmpx_eq_u32_e32 0xf4240, v1
	s_cbranch_execz .LBB0_74
; %bb.73:                               ;   in Loop: Header=BB0_72 Depth=2
	s_wait_loadcnt 0x0
	s_wait_storecnt 0x0
	global_load_b32 v1, v4, s[10:11] scope:SCOPE_SYS
	s_wait_loadcnt 0x0
	global_inv scope:SCOPE_SYS
	v_cmp_eq_u32_e32 vcc_lo, 0, v1
	v_mov_b32_e32 v1, 0
	s_or_not1_b32 s7, vcc_lo, exec_lo
.LBB0_74:                               ;   in Loop: Header=BB0_72 Depth=2
	s_wait_xcnt 0x0
	s_or_b32 exec_lo, exec_lo, s12
	s_and_saveexec_b32 s12, s7
	s_cbranch_execz .LBB0_76
; %bb.75:                               ;   in Loop: Header=BB0_72 Depth=2
	s_wait_loadcnt 0x0
	v_cmp_eq_u32_e32 vcc_lo, s4, v7
	v_cmp_eq_u32_e64 s0, s4, v9
	s_and_b32 s0, vcc_lo, s0
	s_delay_alu instid0(SALU_CYCLE_1)
	s_or_not1_b32 s0, s0, exec_lo
.LBB0_76:                               ;   in Loop: Header=BB0_72 Depth=2
	s_or_b32 exec_lo, exec_lo, s12
	s_delay_alu instid0(SALU_CYCLE_1) | instskip(NEXT) | instid1(SALU_CYCLE_1)
	s_and_b32 s0, exec_lo, s0
	s_or_b32 s6, s0, s6
	s_delay_alu instid0(SALU_CYCLE_1)
	s_and_not1_b32 exec_lo, exec_lo, s6
	s_cbranch_execnz .LBB0_72
; %bb.77:                               ;   in Loop: Header=BB0_72 Depth=2
	s_or_b32 exec_lo, exec_lo, s6
	s_wait_loadcnt 0x0
	v_dual_mov_b32 v7, v8 :: v_dual_mov_b32 v1, 0
	s_mov_b32 s6, 0
	s_delay_alu instid0(VALU_DEP_1) | instskip(SKIP_1) | instid1(SALU_CYCLE_1)
	v_cmp_eq_u64_e32 vcc_lo, s[4:5], v[6:7]
	s_or_b32 s1, vcc_lo, s1
	s_and_not1_b32 exec_lo, exec_lo, s1
	s_cbranch_execnz .LBB0_72
; %bb.78:                               ;   in Loop: Header=BB0_1 Depth=1
	s_or_b32 exec_lo, exec_lo, s1
	s_add_co_i32 s4, s2, 11
	s_mov_b32 s1, s3
	s_bfe_u32 s0, s4, 0x100003
	v_dual_mov_b32 v2, s4 :: v_dual_mov_b32 v3, s4
	s_mulk_i32 s0, 0x20c5
	v_dual_mov_b32 v5, s4 :: v_dual_mov_b32 v1, 0
	s_lshr_b32 s0, s0, 20
	s_mov_b32 s5, s3
	s_mulk_i32 s0, 0x3e8
	s_delay_alu instid0(SALU_CYCLE_1) | instskip(NEXT) | instid1(SALU_CYCLE_1)
	s_sub_co_i32 s0, s4, s0
	s_and_b32 s0, s0, 0xffff
	s_delay_alu instid0(SALU_CYCLE_1) | instskip(NEXT) | instid1(SALU_CYCLE_1)
	s_lshl_b32 s0, s0, 12
	v_add_nc_u64_e32 v[6:7], s[0:1], v[10:11]
	v_add_nc_u64_e32 v[14:15], s[0:1], v[12:13]
	s_mov_b32 s1, 0
	global_store_b128 v[6:7], v[2:5], off th:TH_STORE_NT
.LBB0_79:                               ;   Parent Loop BB0_1 Depth=1
                                        ; =>  This Inner Loop Header: Depth=2
	s_wait_loadcnt 0x0
	global_load_b128 v[6:9], v[14:15], off th:TH_LOAD_NT
	v_add_nc_u32_e32 v1, 1, v1
	s_mov_b32 s0, -1
	s_mov_b32 s7, -1
	s_mov_b32 s12, exec_lo
	s_wait_xcnt 0x0
	v_cmpx_eq_u32_e32 0xf4240, v1
	s_cbranch_execz .LBB0_81
; %bb.80:                               ;   in Loop: Header=BB0_79 Depth=2
	s_wait_loadcnt 0x0
	s_wait_storecnt 0x0
	global_load_b32 v1, v4, s[10:11] scope:SCOPE_SYS
	s_wait_loadcnt 0x0
	global_inv scope:SCOPE_SYS
	v_cmp_eq_u32_e32 vcc_lo, 0, v1
	v_mov_b32_e32 v1, 0
	s_or_not1_b32 s7, vcc_lo, exec_lo
.LBB0_81:                               ;   in Loop: Header=BB0_79 Depth=2
	s_wait_xcnt 0x0
	s_or_b32 exec_lo, exec_lo, s12
	s_and_saveexec_b32 s12, s7
	s_cbranch_execz .LBB0_83
; %bb.82:                               ;   in Loop: Header=BB0_79 Depth=2
	s_wait_loadcnt 0x0
	v_cmp_eq_u32_e32 vcc_lo, s4, v7
	v_cmp_eq_u32_e64 s0, s4, v9
	s_and_b32 s0, vcc_lo, s0
	s_delay_alu instid0(SALU_CYCLE_1)
	s_or_not1_b32 s0, s0, exec_lo
.LBB0_83:                               ;   in Loop: Header=BB0_79 Depth=2
	s_or_b32 exec_lo, exec_lo, s12
	s_delay_alu instid0(SALU_CYCLE_1) | instskip(NEXT) | instid1(SALU_CYCLE_1)
	s_and_b32 s0, exec_lo, s0
	s_or_b32 s6, s0, s6
	s_delay_alu instid0(SALU_CYCLE_1)
	s_and_not1_b32 exec_lo, exec_lo, s6
	s_cbranch_execnz .LBB0_79
; %bb.84:                               ;   in Loop: Header=BB0_79 Depth=2
	s_or_b32 exec_lo, exec_lo, s6
	s_wait_loadcnt 0x0
	v_dual_mov_b32 v7, v8 :: v_dual_mov_b32 v1, 0
	s_mov_b32 s6, 0
	s_delay_alu instid0(VALU_DEP_1) | instskip(SKIP_1) | instid1(SALU_CYCLE_1)
	v_cmp_eq_u64_e32 vcc_lo, s[4:5], v[6:7]
	s_or_b32 s1, vcc_lo, s1
	s_and_not1_b32 exec_lo, exec_lo, s1
	s_cbranch_execnz .LBB0_79
; %bb.85:                               ;   in Loop: Header=BB0_1 Depth=1
	s_or_b32 exec_lo, exec_lo, s1
	s_add_co_i32 s4, s2, 12
	s_mov_b32 s1, s3
	s_bfe_u32 s0, s4, 0x100003
	v_dual_mov_b32 v2, s4 :: v_dual_mov_b32 v3, s4
	s_mulk_i32 s0, 0x20c5
	v_dual_mov_b32 v5, s4 :: v_dual_mov_b32 v1, 0
	s_lshr_b32 s0, s0, 20
	s_mov_b32 s5, s3
	s_mulk_i32 s0, 0x3e8
	s_delay_alu instid0(SALU_CYCLE_1) | instskip(NEXT) | instid1(SALU_CYCLE_1)
	s_sub_co_i32 s0, s4, s0
	s_and_b32 s0, s0, 0xffff
	s_delay_alu instid0(SALU_CYCLE_1) | instskip(NEXT) | instid1(SALU_CYCLE_1)
	s_lshl_b32 s0, s0, 12
	v_add_nc_u64_e32 v[6:7], s[0:1], v[10:11]
	v_add_nc_u64_e32 v[14:15], s[0:1], v[12:13]
	s_mov_b32 s1, 0
	global_store_b128 v[6:7], v[2:5], off th:TH_STORE_NT
.LBB0_86:                               ;   Parent Loop BB0_1 Depth=1
                                        ; =>  This Inner Loop Header: Depth=2
	s_wait_loadcnt 0x0
	global_load_b128 v[6:9], v[14:15], off th:TH_LOAD_NT
	v_add_nc_u32_e32 v1, 1, v1
	s_mov_b32 s0, -1
	s_mov_b32 s7, -1
	s_mov_b32 s12, exec_lo
	s_wait_xcnt 0x0
	v_cmpx_eq_u32_e32 0xf4240, v1
	s_cbranch_execz .LBB0_88
; %bb.87:                               ;   in Loop: Header=BB0_86 Depth=2
	s_wait_loadcnt 0x0
	s_wait_storecnt 0x0
	global_load_b32 v1, v4, s[10:11] scope:SCOPE_SYS
	s_wait_loadcnt 0x0
	global_inv scope:SCOPE_SYS
	v_cmp_eq_u32_e32 vcc_lo, 0, v1
	v_mov_b32_e32 v1, 0
	s_or_not1_b32 s7, vcc_lo, exec_lo
.LBB0_88:                               ;   in Loop: Header=BB0_86 Depth=2
	s_wait_xcnt 0x0
	s_or_b32 exec_lo, exec_lo, s12
	s_and_saveexec_b32 s12, s7
	s_cbranch_execz .LBB0_90
; %bb.89:                               ;   in Loop: Header=BB0_86 Depth=2
	s_wait_loadcnt 0x0
	v_cmp_eq_u32_e32 vcc_lo, s4, v7
	v_cmp_eq_u32_e64 s0, s4, v9
	s_and_b32 s0, vcc_lo, s0
	s_delay_alu instid0(SALU_CYCLE_1)
	s_or_not1_b32 s0, s0, exec_lo
.LBB0_90:                               ;   in Loop: Header=BB0_86 Depth=2
	s_or_b32 exec_lo, exec_lo, s12
	s_delay_alu instid0(SALU_CYCLE_1) | instskip(NEXT) | instid1(SALU_CYCLE_1)
	s_and_b32 s0, exec_lo, s0
	s_or_b32 s6, s0, s6
	s_delay_alu instid0(SALU_CYCLE_1)
	s_and_not1_b32 exec_lo, exec_lo, s6
	s_cbranch_execnz .LBB0_86
; %bb.91:                               ;   in Loop: Header=BB0_86 Depth=2
	s_or_b32 exec_lo, exec_lo, s6
	s_wait_loadcnt 0x0
	v_dual_mov_b32 v7, v8 :: v_dual_mov_b32 v1, 0
	s_mov_b32 s6, 0
	s_delay_alu instid0(VALU_DEP_1) | instskip(SKIP_1) | instid1(SALU_CYCLE_1)
	v_cmp_eq_u64_e32 vcc_lo, s[4:5], v[6:7]
	s_or_b32 s1, vcc_lo, s1
	s_and_not1_b32 exec_lo, exec_lo, s1
	s_cbranch_execnz .LBB0_86
; %bb.92:                               ;   in Loop: Header=BB0_1 Depth=1
	s_or_b32 exec_lo, exec_lo, s1
	s_add_co_i32 s4, s2, 13
	s_mov_b32 s1, s3
	s_bfe_u32 s0, s4, 0x100003
	v_dual_mov_b32 v2, s4 :: v_dual_mov_b32 v3, s4
	s_mulk_i32 s0, 0x20c5
	v_dual_mov_b32 v5, s4 :: v_dual_mov_b32 v1, 0
	s_lshr_b32 s0, s0, 20
	s_mov_b32 s5, s3
	s_mulk_i32 s0, 0x3e8
	s_delay_alu instid0(SALU_CYCLE_1) | instskip(NEXT) | instid1(SALU_CYCLE_1)
	s_sub_co_i32 s0, s4, s0
	s_and_b32 s0, s0, 0xffff
	s_delay_alu instid0(SALU_CYCLE_1) | instskip(NEXT) | instid1(SALU_CYCLE_1)
	s_lshl_b32 s0, s0, 12
	v_add_nc_u64_e32 v[6:7], s[0:1], v[10:11]
	v_add_nc_u64_e32 v[14:15], s[0:1], v[12:13]
	s_mov_b32 s1, 0
	global_store_b128 v[6:7], v[2:5], off th:TH_STORE_NT
.LBB0_93:                               ;   Parent Loop BB0_1 Depth=1
                                        ; =>  This Inner Loop Header: Depth=2
	s_wait_loadcnt 0x0
	global_load_b128 v[6:9], v[14:15], off th:TH_LOAD_NT
	v_add_nc_u32_e32 v1, 1, v1
	s_mov_b32 s0, -1
	s_mov_b32 s7, -1
	s_mov_b32 s12, exec_lo
	s_wait_xcnt 0x0
	v_cmpx_eq_u32_e32 0xf4240, v1
	s_cbranch_execz .LBB0_95
; %bb.94:                               ;   in Loop: Header=BB0_93 Depth=2
	s_wait_loadcnt 0x0
	s_wait_storecnt 0x0
	global_load_b32 v1, v4, s[10:11] scope:SCOPE_SYS
	s_wait_loadcnt 0x0
	global_inv scope:SCOPE_SYS
	v_cmp_eq_u32_e32 vcc_lo, 0, v1
	v_mov_b32_e32 v1, 0
	s_or_not1_b32 s7, vcc_lo, exec_lo
.LBB0_95:                               ;   in Loop: Header=BB0_93 Depth=2
	s_wait_xcnt 0x0
	s_or_b32 exec_lo, exec_lo, s12
	s_and_saveexec_b32 s12, s7
	s_cbranch_execz .LBB0_97
; %bb.96:                               ;   in Loop: Header=BB0_93 Depth=2
	s_wait_loadcnt 0x0
	v_cmp_eq_u32_e32 vcc_lo, s4, v7
	v_cmp_eq_u32_e64 s0, s4, v9
	s_and_b32 s0, vcc_lo, s0
	s_delay_alu instid0(SALU_CYCLE_1)
	s_or_not1_b32 s0, s0, exec_lo
.LBB0_97:                               ;   in Loop: Header=BB0_93 Depth=2
	s_or_b32 exec_lo, exec_lo, s12
	s_delay_alu instid0(SALU_CYCLE_1) | instskip(NEXT) | instid1(SALU_CYCLE_1)
	s_and_b32 s0, exec_lo, s0
	s_or_b32 s6, s0, s6
	s_delay_alu instid0(SALU_CYCLE_1)
	s_and_not1_b32 exec_lo, exec_lo, s6
	s_cbranch_execnz .LBB0_93
; %bb.98:                               ;   in Loop: Header=BB0_93 Depth=2
	s_or_b32 exec_lo, exec_lo, s6
	s_wait_loadcnt 0x0
	v_dual_mov_b32 v7, v8 :: v_dual_mov_b32 v1, 0
	s_mov_b32 s6, 0
	s_delay_alu instid0(VALU_DEP_1) | instskip(SKIP_1) | instid1(SALU_CYCLE_1)
	v_cmp_eq_u64_e32 vcc_lo, s[4:5], v[6:7]
	s_or_b32 s1, vcc_lo, s1
	s_and_not1_b32 exec_lo, exec_lo, s1
	s_cbranch_execnz .LBB0_93
; %bb.99:                               ;   in Loop: Header=BB0_1 Depth=1
	s_or_b32 exec_lo, exec_lo, s1
	s_add_co_i32 s4, s2, 14
	s_mov_b32 s1, s3
	s_bfe_u32 s0, s4, 0x100003
	v_dual_mov_b32 v2, s4 :: v_dual_mov_b32 v3, s4
	s_mulk_i32 s0, 0x20c5
	v_dual_mov_b32 v5, s4 :: v_dual_mov_b32 v1, 0
	s_lshr_b32 s0, s0, 20
	s_mov_b32 s5, s3
	s_mulk_i32 s0, 0x3e8
	s_delay_alu instid0(SALU_CYCLE_1) | instskip(NEXT) | instid1(SALU_CYCLE_1)
	s_sub_co_i32 s0, s4, s0
	s_and_b32 s0, s0, 0xffff
	s_delay_alu instid0(SALU_CYCLE_1) | instskip(NEXT) | instid1(SALU_CYCLE_1)
	s_lshl_b32 s0, s0, 12
	v_add_nc_u64_e32 v[6:7], s[0:1], v[10:11]
	v_add_nc_u64_e32 v[14:15], s[0:1], v[12:13]
	s_mov_b32 s1, 0
	global_store_b128 v[6:7], v[2:5], off th:TH_STORE_NT
.LBB0_100:                              ;   Parent Loop BB0_1 Depth=1
                                        ; =>  This Inner Loop Header: Depth=2
	s_wait_loadcnt 0x0
	global_load_b128 v[6:9], v[14:15], off th:TH_LOAD_NT
	v_add_nc_u32_e32 v1, 1, v1
	s_mov_b32 s0, -1
	s_mov_b32 s7, -1
	s_mov_b32 s12, exec_lo
	s_wait_xcnt 0x0
	v_cmpx_eq_u32_e32 0xf4240, v1
	s_cbranch_execz .LBB0_102
; %bb.101:                              ;   in Loop: Header=BB0_100 Depth=2
	s_wait_loadcnt 0x0
	s_wait_storecnt 0x0
	global_load_b32 v1, v4, s[10:11] scope:SCOPE_SYS
	s_wait_loadcnt 0x0
	global_inv scope:SCOPE_SYS
	v_cmp_eq_u32_e32 vcc_lo, 0, v1
	v_mov_b32_e32 v1, 0
	s_or_not1_b32 s7, vcc_lo, exec_lo
.LBB0_102:                              ;   in Loop: Header=BB0_100 Depth=2
	s_wait_xcnt 0x0
	s_or_b32 exec_lo, exec_lo, s12
	s_and_saveexec_b32 s12, s7
	s_cbranch_execz .LBB0_104
; %bb.103:                              ;   in Loop: Header=BB0_100 Depth=2
	s_wait_loadcnt 0x0
	v_cmp_eq_u32_e32 vcc_lo, s4, v7
	v_cmp_eq_u32_e64 s0, s4, v9
	s_and_b32 s0, vcc_lo, s0
	s_delay_alu instid0(SALU_CYCLE_1)
	s_or_not1_b32 s0, s0, exec_lo
.LBB0_104:                              ;   in Loop: Header=BB0_100 Depth=2
	s_or_b32 exec_lo, exec_lo, s12
	s_delay_alu instid0(SALU_CYCLE_1) | instskip(NEXT) | instid1(SALU_CYCLE_1)
	s_and_b32 s0, exec_lo, s0
	s_or_b32 s6, s0, s6
	s_delay_alu instid0(SALU_CYCLE_1)
	s_and_not1_b32 exec_lo, exec_lo, s6
	s_cbranch_execnz .LBB0_100
; %bb.105:                              ;   in Loop: Header=BB0_100 Depth=2
	s_or_b32 exec_lo, exec_lo, s6
	s_wait_loadcnt 0x0
	v_dual_mov_b32 v7, v8 :: v_dual_mov_b32 v1, 0
	s_mov_b32 s6, 0
	s_delay_alu instid0(VALU_DEP_1) | instskip(SKIP_1) | instid1(SALU_CYCLE_1)
	v_cmp_eq_u64_e32 vcc_lo, s[4:5], v[6:7]
	s_or_b32 s1, vcc_lo, s1
	s_and_not1_b32 exec_lo, exec_lo, s1
	s_cbranch_execnz .LBB0_100
; %bb.106:                              ;   in Loop: Header=BB0_1 Depth=1
	s_or_b32 exec_lo, exec_lo, s1
	s_add_co_i32 s4, s2, 15
	s_mov_b32 s1, s3
	s_bfe_u32 s0, s4, 0x100003
	v_dual_mov_b32 v2, s4 :: v_dual_mov_b32 v3, s4
	s_mulk_i32 s0, 0x20c5
	v_dual_mov_b32 v5, s4 :: v_dual_mov_b32 v1, 0
	s_lshr_b32 s0, s0, 20
	s_mov_b32 s5, s3
	s_mulk_i32 s0, 0x3e8
	s_delay_alu instid0(SALU_CYCLE_1) | instskip(NEXT) | instid1(SALU_CYCLE_1)
	s_sub_co_i32 s0, s4, s0
	s_and_b32 s0, s0, 0xffff
	s_delay_alu instid0(SALU_CYCLE_1) | instskip(NEXT) | instid1(SALU_CYCLE_1)
	s_lshl_b32 s0, s0, 12
	v_add_nc_u64_e32 v[6:7], s[0:1], v[10:11]
	v_add_nc_u64_e32 v[14:15], s[0:1], v[12:13]
	s_mov_b32 s1, 0
	global_store_b128 v[6:7], v[2:5], off th:TH_STORE_NT
.LBB0_107:                              ;   Parent Loop BB0_1 Depth=1
                                        ; =>  This Inner Loop Header: Depth=2
	s_wait_loadcnt 0x0
	global_load_b128 v[6:9], v[14:15], off th:TH_LOAD_NT
	v_add_nc_u32_e32 v1, 1, v1
	s_mov_b32 s0, -1
	s_mov_b32 s7, -1
	s_mov_b32 s12, exec_lo
	s_wait_xcnt 0x0
	v_cmpx_eq_u32_e32 0xf4240, v1
	s_cbranch_execz .LBB0_109
; %bb.108:                              ;   in Loop: Header=BB0_107 Depth=2
	s_wait_loadcnt 0x0
	s_wait_storecnt 0x0
	global_load_b32 v1, v4, s[10:11] scope:SCOPE_SYS
	s_wait_loadcnt 0x0
	global_inv scope:SCOPE_SYS
	v_cmp_eq_u32_e32 vcc_lo, 0, v1
	v_mov_b32_e32 v1, 0
	s_or_not1_b32 s7, vcc_lo, exec_lo
.LBB0_109:                              ;   in Loop: Header=BB0_107 Depth=2
	s_wait_xcnt 0x0
	s_or_b32 exec_lo, exec_lo, s12
	s_and_saveexec_b32 s12, s7
	s_cbranch_execz .LBB0_111
; %bb.110:                              ;   in Loop: Header=BB0_107 Depth=2
	s_wait_loadcnt 0x0
	v_cmp_eq_u32_e32 vcc_lo, s4, v7
	v_cmp_eq_u32_e64 s0, s4, v9
	s_and_b32 s0, vcc_lo, s0
	s_delay_alu instid0(SALU_CYCLE_1)
	s_or_not1_b32 s0, s0, exec_lo
.LBB0_111:                              ;   in Loop: Header=BB0_107 Depth=2
	s_or_b32 exec_lo, exec_lo, s12
	s_delay_alu instid0(SALU_CYCLE_1) | instskip(NEXT) | instid1(SALU_CYCLE_1)
	s_and_b32 s0, exec_lo, s0
	s_or_b32 s6, s0, s6
	s_delay_alu instid0(SALU_CYCLE_1)
	s_and_not1_b32 exec_lo, exec_lo, s6
	s_cbranch_execnz .LBB0_107
; %bb.112:                              ;   in Loop: Header=BB0_107 Depth=2
	s_or_b32 exec_lo, exec_lo, s6
	s_wait_loadcnt 0x0
	v_dual_mov_b32 v7, v8 :: v_dual_mov_b32 v1, 0
	s_mov_b32 s6, 0
	s_delay_alu instid0(VALU_DEP_1) | instskip(SKIP_1) | instid1(SALU_CYCLE_1)
	v_cmp_eq_u64_e32 vcc_lo, s[4:5], v[6:7]
	s_or_b32 s1, vcc_lo, s1
	s_and_not1_b32 exec_lo, exec_lo, s1
	s_cbranch_execnz .LBB0_107
; %bb.113:                              ;   in Loop: Header=BB0_1 Depth=1
	s_or_b32 exec_lo, exec_lo, s1
	s_add_co_i32 s4, s2, 16
	s_mov_b32 s1, s3
	s_bfe_u32 s0, s4, 0x100003
	v_dual_mov_b32 v2, s4 :: v_dual_mov_b32 v3, s4
	s_mulk_i32 s0, 0x20c5
	v_dual_mov_b32 v5, s4 :: v_dual_mov_b32 v1, 0
	s_lshr_b32 s0, s0, 20
	s_mov_b32 s5, s3
	s_mulk_i32 s0, 0x3e8
	s_delay_alu instid0(SALU_CYCLE_1) | instskip(NEXT) | instid1(SALU_CYCLE_1)
	s_sub_co_i32 s0, s4, s0
	s_and_b32 s0, s0, 0xffff
	s_delay_alu instid0(SALU_CYCLE_1) | instskip(NEXT) | instid1(SALU_CYCLE_1)
	s_lshl_b32 s0, s0, 12
	v_add_nc_u64_e32 v[6:7], s[0:1], v[10:11]
	v_add_nc_u64_e32 v[14:15], s[0:1], v[12:13]
	s_mov_b32 s1, 0
	global_store_b128 v[6:7], v[2:5], off th:TH_STORE_NT
.LBB0_114:                              ;   Parent Loop BB0_1 Depth=1
                                        ; =>  This Inner Loop Header: Depth=2
	s_wait_loadcnt 0x0
	global_load_b128 v[6:9], v[14:15], off th:TH_LOAD_NT
	v_add_nc_u32_e32 v1, 1, v1
	s_mov_b32 s0, -1
	s_mov_b32 s7, -1
	s_mov_b32 s12, exec_lo
	s_wait_xcnt 0x0
	v_cmpx_eq_u32_e32 0xf4240, v1
	s_cbranch_execz .LBB0_116
; %bb.115:                              ;   in Loop: Header=BB0_114 Depth=2
	s_wait_loadcnt 0x0
	s_wait_storecnt 0x0
	global_load_b32 v1, v4, s[10:11] scope:SCOPE_SYS
	s_wait_loadcnt 0x0
	global_inv scope:SCOPE_SYS
	v_cmp_eq_u32_e32 vcc_lo, 0, v1
	v_mov_b32_e32 v1, 0
	s_or_not1_b32 s7, vcc_lo, exec_lo
.LBB0_116:                              ;   in Loop: Header=BB0_114 Depth=2
	s_wait_xcnt 0x0
	s_or_b32 exec_lo, exec_lo, s12
	s_and_saveexec_b32 s12, s7
	s_cbranch_execz .LBB0_118
; %bb.117:                              ;   in Loop: Header=BB0_114 Depth=2
	s_wait_loadcnt 0x0
	v_cmp_eq_u32_e32 vcc_lo, s4, v7
	v_cmp_eq_u32_e64 s0, s4, v9
	s_and_b32 s0, vcc_lo, s0
	s_delay_alu instid0(SALU_CYCLE_1)
	s_or_not1_b32 s0, s0, exec_lo
.LBB0_118:                              ;   in Loop: Header=BB0_114 Depth=2
	s_or_b32 exec_lo, exec_lo, s12
	s_delay_alu instid0(SALU_CYCLE_1) | instskip(NEXT) | instid1(SALU_CYCLE_1)
	s_and_b32 s0, exec_lo, s0
	s_or_b32 s6, s0, s6
	s_delay_alu instid0(SALU_CYCLE_1)
	s_and_not1_b32 exec_lo, exec_lo, s6
	s_cbranch_execnz .LBB0_114
; %bb.119:                              ;   in Loop: Header=BB0_114 Depth=2
	s_or_b32 exec_lo, exec_lo, s6
	s_wait_loadcnt 0x0
	v_dual_mov_b32 v7, v8 :: v_dual_mov_b32 v1, 0
	s_mov_b32 s6, 0
	s_delay_alu instid0(VALU_DEP_1) | instskip(SKIP_1) | instid1(SALU_CYCLE_1)
	v_cmp_eq_u64_e32 vcc_lo, s[4:5], v[6:7]
	s_or_b32 s1, vcc_lo, s1
	s_and_not1_b32 exec_lo, exec_lo, s1
	s_cbranch_execnz .LBB0_114
; %bb.120:                              ;   in Loop: Header=BB0_1 Depth=1
	s_or_b32 exec_lo, exec_lo, s1
	s_add_co_i32 s4, s2, 17
	s_mov_b32 s1, s3
	s_bfe_u32 s0, s4, 0x100003
	v_dual_mov_b32 v2, s4 :: v_dual_mov_b32 v3, s4
	s_mulk_i32 s0, 0x20c5
	v_dual_mov_b32 v5, s4 :: v_dual_mov_b32 v1, 0
	s_lshr_b32 s0, s0, 20
	s_mov_b32 s5, s3
	s_mulk_i32 s0, 0x3e8
	s_delay_alu instid0(SALU_CYCLE_1) | instskip(NEXT) | instid1(SALU_CYCLE_1)
	s_sub_co_i32 s0, s4, s0
	s_and_b32 s0, s0, 0xffff
	s_delay_alu instid0(SALU_CYCLE_1) | instskip(NEXT) | instid1(SALU_CYCLE_1)
	s_lshl_b32 s0, s0, 12
	v_add_nc_u64_e32 v[6:7], s[0:1], v[10:11]
	v_add_nc_u64_e32 v[14:15], s[0:1], v[12:13]
	s_mov_b32 s1, 0
	global_store_b128 v[6:7], v[2:5], off th:TH_STORE_NT
.LBB0_121:                              ;   Parent Loop BB0_1 Depth=1
                                        ; =>  This Inner Loop Header: Depth=2
	s_wait_loadcnt 0x0
	global_load_b128 v[6:9], v[14:15], off th:TH_LOAD_NT
	v_add_nc_u32_e32 v1, 1, v1
	s_mov_b32 s0, -1
	s_mov_b32 s7, -1
	s_mov_b32 s12, exec_lo
	s_wait_xcnt 0x0
	v_cmpx_eq_u32_e32 0xf4240, v1
	s_cbranch_execz .LBB0_123
; %bb.122:                              ;   in Loop: Header=BB0_121 Depth=2
	s_wait_loadcnt 0x0
	s_wait_storecnt 0x0
	global_load_b32 v1, v4, s[10:11] scope:SCOPE_SYS
	s_wait_loadcnt 0x0
	global_inv scope:SCOPE_SYS
	v_cmp_eq_u32_e32 vcc_lo, 0, v1
	v_mov_b32_e32 v1, 0
	s_or_not1_b32 s7, vcc_lo, exec_lo
.LBB0_123:                              ;   in Loop: Header=BB0_121 Depth=2
	s_wait_xcnt 0x0
	s_or_b32 exec_lo, exec_lo, s12
	s_and_saveexec_b32 s12, s7
	s_cbranch_execz .LBB0_125
; %bb.124:                              ;   in Loop: Header=BB0_121 Depth=2
	s_wait_loadcnt 0x0
	v_cmp_eq_u32_e32 vcc_lo, s4, v7
	v_cmp_eq_u32_e64 s0, s4, v9
	s_and_b32 s0, vcc_lo, s0
	s_delay_alu instid0(SALU_CYCLE_1)
	s_or_not1_b32 s0, s0, exec_lo
.LBB0_125:                              ;   in Loop: Header=BB0_121 Depth=2
	s_or_b32 exec_lo, exec_lo, s12
	s_delay_alu instid0(SALU_CYCLE_1) | instskip(NEXT) | instid1(SALU_CYCLE_1)
	s_and_b32 s0, exec_lo, s0
	s_or_b32 s6, s0, s6
	s_delay_alu instid0(SALU_CYCLE_1)
	s_and_not1_b32 exec_lo, exec_lo, s6
	s_cbranch_execnz .LBB0_121
; %bb.126:                              ;   in Loop: Header=BB0_121 Depth=2
	s_or_b32 exec_lo, exec_lo, s6
	s_wait_loadcnt 0x0
	v_dual_mov_b32 v7, v8 :: v_dual_mov_b32 v1, 0
	s_mov_b32 s6, 0
	s_delay_alu instid0(VALU_DEP_1) | instskip(SKIP_1) | instid1(SALU_CYCLE_1)
	v_cmp_eq_u64_e32 vcc_lo, s[4:5], v[6:7]
	s_or_b32 s1, vcc_lo, s1
	s_and_not1_b32 exec_lo, exec_lo, s1
	s_cbranch_execnz .LBB0_121
; %bb.127:                              ;   in Loop: Header=BB0_1 Depth=1
	s_or_b32 exec_lo, exec_lo, s1
	s_add_co_i32 s4, s2, 18
	s_mov_b32 s1, s3
	s_bfe_u32 s0, s4, 0x100003
	v_dual_mov_b32 v2, s4 :: v_dual_mov_b32 v3, s4
	s_mulk_i32 s0, 0x20c5
	v_dual_mov_b32 v5, s4 :: v_dual_mov_b32 v1, 0
	s_lshr_b32 s0, s0, 20
	s_mov_b32 s5, s3
	s_mulk_i32 s0, 0x3e8
	s_delay_alu instid0(SALU_CYCLE_1) | instskip(NEXT) | instid1(SALU_CYCLE_1)
	s_sub_co_i32 s0, s4, s0
	s_and_b32 s0, s0, 0xffff
	s_delay_alu instid0(SALU_CYCLE_1) | instskip(NEXT) | instid1(SALU_CYCLE_1)
	s_lshl_b32 s0, s0, 12
	v_add_nc_u64_e32 v[6:7], s[0:1], v[10:11]
	v_add_nc_u64_e32 v[14:15], s[0:1], v[12:13]
	s_mov_b32 s1, 0
	global_store_b128 v[6:7], v[2:5], off th:TH_STORE_NT
.LBB0_128:                              ;   Parent Loop BB0_1 Depth=1
                                        ; =>  This Inner Loop Header: Depth=2
	s_wait_loadcnt 0x0
	global_load_b128 v[6:9], v[14:15], off th:TH_LOAD_NT
	v_add_nc_u32_e32 v1, 1, v1
	s_mov_b32 s0, -1
	s_mov_b32 s7, -1
	s_mov_b32 s12, exec_lo
	s_wait_xcnt 0x0
	v_cmpx_eq_u32_e32 0xf4240, v1
	s_cbranch_execz .LBB0_130
; %bb.129:                              ;   in Loop: Header=BB0_128 Depth=2
	s_wait_loadcnt 0x0
	s_wait_storecnt 0x0
	global_load_b32 v1, v4, s[10:11] scope:SCOPE_SYS
	s_wait_loadcnt 0x0
	global_inv scope:SCOPE_SYS
	v_cmp_eq_u32_e32 vcc_lo, 0, v1
	v_mov_b32_e32 v1, 0
	s_or_not1_b32 s7, vcc_lo, exec_lo
.LBB0_130:                              ;   in Loop: Header=BB0_128 Depth=2
	s_wait_xcnt 0x0
	s_or_b32 exec_lo, exec_lo, s12
	s_and_saveexec_b32 s12, s7
	s_cbranch_execz .LBB0_132
; %bb.131:                              ;   in Loop: Header=BB0_128 Depth=2
	s_wait_loadcnt 0x0
	v_cmp_eq_u32_e32 vcc_lo, s4, v7
	v_cmp_eq_u32_e64 s0, s4, v9
	s_and_b32 s0, vcc_lo, s0
	s_delay_alu instid0(SALU_CYCLE_1)
	s_or_not1_b32 s0, s0, exec_lo
.LBB0_132:                              ;   in Loop: Header=BB0_128 Depth=2
	s_or_b32 exec_lo, exec_lo, s12
	s_delay_alu instid0(SALU_CYCLE_1) | instskip(NEXT) | instid1(SALU_CYCLE_1)
	s_and_b32 s0, exec_lo, s0
	s_or_b32 s6, s0, s6
	s_delay_alu instid0(SALU_CYCLE_1)
	s_and_not1_b32 exec_lo, exec_lo, s6
	s_cbranch_execnz .LBB0_128
; %bb.133:                              ;   in Loop: Header=BB0_128 Depth=2
	s_or_b32 exec_lo, exec_lo, s6
	s_wait_loadcnt 0x0
	v_dual_mov_b32 v7, v8 :: v_dual_mov_b32 v1, 0
	s_mov_b32 s6, 0
	s_delay_alu instid0(VALU_DEP_1) | instskip(SKIP_1) | instid1(SALU_CYCLE_1)
	v_cmp_eq_u64_e32 vcc_lo, s[4:5], v[6:7]
	s_or_b32 s1, vcc_lo, s1
	s_and_not1_b32 exec_lo, exec_lo, s1
	s_cbranch_execnz .LBB0_128
; %bb.134:                              ;   in Loop: Header=BB0_1 Depth=1
	s_or_b32 exec_lo, exec_lo, s1
	s_add_co_i32 s4, s2, 19
	s_mov_b32 s1, s3
	s_bfe_u32 s0, s4, 0x100003
	v_dual_mov_b32 v2, s4 :: v_dual_mov_b32 v3, s4
	s_mulk_i32 s0, 0x20c5
	v_dual_mov_b32 v5, s4 :: v_dual_mov_b32 v1, 0
	s_lshr_b32 s0, s0, 20
	s_mov_b32 s5, s3
	s_mulk_i32 s0, 0x3e8
	s_delay_alu instid0(SALU_CYCLE_1) | instskip(NEXT) | instid1(SALU_CYCLE_1)
	s_sub_co_i32 s0, s4, s0
	s_and_b32 s0, s0, 0xffff
	s_delay_alu instid0(SALU_CYCLE_1) | instskip(NEXT) | instid1(SALU_CYCLE_1)
	s_lshl_b32 s0, s0, 12
	v_add_nc_u64_e32 v[6:7], s[0:1], v[10:11]
	v_add_nc_u64_e32 v[14:15], s[0:1], v[12:13]
	s_mov_b32 s1, 0
	global_store_b128 v[6:7], v[2:5], off th:TH_STORE_NT
.LBB0_135:                              ;   Parent Loop BB0_1 Depth=1
                                        ; =>  This Inner Loop Header: Depth=2
	s_wait_loadcnt 0x0
	global_load_b128 v[6:9], v[14:15], off th:TH_LOAD_NT
	v_add_nc_u32_e32 v1, 1, v1
	s_mov_b32 s0, -1
	s_mov_b32 s7, -1
	s_mov_b32 s12, exec_lo
	s_wait_xcnt 0x0
	v_cmpx_eq_u32_e32 0xf4240, v1
	s_cbranch_execz .LBB0_137
; %bb.136:                              ;   in Loop: Header=BB0_135 Depth=2
	s_wait_loadcnt 0x0
	s_wait_storecnt 0x0
	global_load_b32 v1, v4, s[10:11] scope:SCOPE_SYS
	s_wait_loadcnt 0x0
	global_inv scope:SCOPE_SYS
	v_cmp_eq_u32_e32 vcc_lo, 0, v1
	v_mov_b32_e32 v1, 0
	s_or_not1_b32 s7, vcc_lo, exec_lo
.LBB0_137:                              ;   in Loop: Header=BB0_135 Depth=2
	s_wait_xcnt 0x0
	s_or_b32 exec_lo, exec_lo, s12
	s_and_saveexec_b32 s12, s7
	s_cbranch_execz .LBB0_139
; %bb.138:                              ;   in Loop: Header=BB0_135 Depth=2
	s_wait_loadcnt 0x0
	v_cmp_eq_u32_e32 vcc_lo, s4, v7
	v_cmp_eq_u32_e64 s0, s4, v9
	s_and_b32 s0, vcc_lo, s0
	s_delay_alu instid0(SALU_CYCLE_1)
	s_or_not1_b32 s0, s0, exec_lo
.LBB0_139:                              ;   in Loop: Header=BB0_135 Depth=2
	s_or_b32 exec_lo, exec_lo, s12
	s_delay_alu instid0(SALU_CYCLE_1) | instskip(NEXT) | instid1(SALU_CYCLE_1)
	s_and_b32 s0, exec_lo, s0
	s_or_b32 s6, s0, s6
	s_delay_alu instid0(SALU_CYCLE_1)
	s_and_not1_b32 exec_lo, exec_lo, s6
	s_cbranch_execnz .LBB0_135
; %bb.140:                              ;   in Loop: Header=BB0_135 Depth=2
	s_or_b32 exec_lo, exec_lo, s6
	s_wait_loadcnt 0x0
	v_dual_mov_b32 v7, v8 :: v_dual_mov_b32 v1, 0
	s_mov_b32 s6, 0
	s_delay_alu instid0(VALU_DEP_1) | instskip(SKIP_1) | instid1(SALU_CYCLE_1)
	v_cmp_eq_u64_e32 vcc_lo, s[4:5], v[6:7]
	s_or_b32 s1, vcc_lo, s1
	s_and_not1_b32 exec_lo, exec_lo, s1
	s_cbranch_execnz .LBB0_135
; %bb.141:                              ;   in Loop: Header=BB0_1 Depth=1
	s_or_b32 exec_lo, exec_lo, s1
	s_add_co_i32 s4, s2, 20
	s_mov_b32 s1, s3
	s_bfe_u32 s0, s4, 0x100003
	v_dual_mov_b32 v2, s4 :: v_dual_mov_b32 v3, s4
	s_mulk_i32 s0, 0x20c5
	v_dual_mov_b32 v5, s4 :: v_dual_mov_b32 v1, 0
	s_lshr_b32 s0, s0, 20
	s_mov_b32 s5, s3
	s_mulk_i32 s0, 0x3e8
	s_delay_alu instid0(SALU_CYCLE_1) | instskip(NEXT) | instid1(SALU_CYCLE_1)
	s_sub_co_i32 s0, s4, s0
	s_and_b32 s0, s0, 0xffff
	s_delay_alu instid0(SALU_CYCLE_1) | instskip(NEXT) | instid1(SALU_CYCLE_1)
	s_lshl_b32 s0, s0, 12
	v_add_nc_u64_e32 v[6:7], s[0:1], v[10:11]
	v_add_nc_u64_e32 v[14:15], s[0:1], v[12:13]
	s_mov_b32 s1, 0
	global_store_b128 v[6:7], v[2:5], off th:TH_STORE_NT
.LBB0_142:                              ;   Parent Loop BB0_1 Depth=1
                                        ; =>  This Inner Loop Header: Depth=2
	s_wait_loadcnt 0x0
	global_load_b128 v[6:9], v[14:15], off th:TH_LOAD_NT
	v_add_nc_u32_e32 v1, 1, v1
	s_mov_b32 s0, -1
	s_mov_b32 s7, -1
	s_mov_b32 s12, exec_lo
	s_wait_xcnt 0x0
	v_cmpx_eq_u32_e32 0xf4240, v1
	s_cbranch_execz .LBB0_144
; %bb.143:                              ;   in Loop: Header=BB0_142 Depth=2
	s_wait_loadcnt 0x0
	s_wait_storecnt 0x0
	global_load_b32 v1, v4, s[10:11] scope:SCOPE_SYS
	s_wait_loadcnt 0x0
	global_inv scope:SCOPE_SYS
	v_cmp_eq_u32_e32 vcc_lo, 0, v1
	v_mov_b32_e32 v1, 0
	s_or_not1_b32 s7, vcc_lo, exec_lo
.LBB0_144:                              ;   in Loop: Header=BB0_142 Depth=2
	s_wait_xcnt 0x0
	s_or_b32 exec_lo, exec_lo, s12
	s_and_saveexec_b32 s12, s7
	s_cbranch_execz .LBB0_146
; %bb.145:                              ;   in Loop: Header=BB0_142 Depth=2
	s_wait_loadcnt 0x0
	v_cmp_eq_u32_e32 vcc_lo, s4, v7
	v_cmp_eq_u32_e64 s0, s4, v9
	s_and_b32 s0, vcc_lo, s0
	s_delay_alu instid0(SALU_CYCLE_1)
	s_or_not1_b32 s0, s0, exec_lo
.LBB0_146:                              ;   in Loop: Header=BB0_142 Depth=2
	s_or_b32 exec_lo, exec_lo, s12
	s_delay_alu instid0(SALU_CYCLE_1) | instskip(NEXT) | instid1(SALU_CYCLE_1)
	s_and_b32 s0, exec_lo, s0
	s_or_b32 s6, s0, s6
	s_delay_alu instid0(SALU_CYCLE_1)
	s_and_not1_b32 exec_lo, exec_lo, s6
	s_cbranch_execnz .LBB0_142
; %bb.147:                              ;   in Loop: Header=BB0_142 Depth=2
	s_or_b32 exec_lo, exec_lo, s6
	s_wait_loadcnt 0x0
	v_dual_mov_b32 v7, v8 :: v_dual_mov_b32 v1, 0
	s_mov_b32 s6, 0
	s_delay_alu instid0(VALU_DEP_1) | instskip(SKIP_1) | instid1(SALU_CYCLE_1)
	v_cmp_eq_u64_e32 vcc_lo, s[4:5], v[6:7]
	s_or_b32 s1, vcc_lo, s1
	s_and_not1_b32 exec_lo, exec_lo, s1
	s_cbranch_execnz .LBB0_142
; %bb.148:                              ;   in Loop: Header=BB0_1 Depth=1
	s_or_b32 exec_lo, exec_lo, s1
	s_add_co_i32 s4, s2, 21
	s_mov_b32 s1, s3
	s_bfe_u32 s0, s4, 0x100003
	v_dual_mov_b32 v2, s4 :: v_dual_mov_b32 v3, s4
	s_mulk_i32 s0, 0x20c5
	v_dual_mov_b32 v5, s4 :: v_dual_mov_b32 v1, 0
	s_lshr_b32 s0, s0, 20
	s_mov_b32 s5, s3
	s_mulk_i32 s0, 0x3e8
	s_delay_alu instid0(SALU_CYCLE_1) | instskip(NEXT) | instid1(SALU_CYCLE_1)
	s_sub_co_i32 s0, s4, s0
	s_and_b32 s0, s0, 0xffff
	s_delay_alu instid0(SALU_CYCLE_1) | instskip(NEXT) | instid1(SALU_CYCLE_1)
	s_lshl_b32 s0, s0, 12
	v_add_nc_u64_e32 v[6:7], s[0:1], v[10:11]
	v_add_nc_u64_e32 v[14:15], s[0:1], v[12:13]
	s_mov_b32 s1, 0
	global_store_b128 v[6:7], v[2:5], off th:TH_STORE_NT
.LBB0_149:                              ;   Parent Loop BB0_1 Depth=1
                                        ; =>  This Inner Loop Header: Depth=2
	s_wait_loadcnt 0x0
	global_load_b128 v[6:9], v[14:15], off th:TH_LOAD_NT
	v_add_nc_u32_e32 v1, 1, v1
	s_mov_b32 s0, -1
	s_mov_b32 s7, -1
	s_mov_b32 s12, exec_lo
	s_wait_xcnt 0x0
	v_cmpx_eq_u32_e32 0xf4240, v1
	s_cbranch_execz .LBB0_151
; %bb.150:                              ;   in Loop: Header=BB0_149 Depth=2
	s_wait_loadcnt 0x0
	s_wait_storecnt 0x0
	global_load_b32 v1, v4, s[10:11] scope:SCOPE_SYS
	s_wait_loadcnt 0x0
	global_inv scope:SCOPE_SYS
	v_cmp_eq_u32_e32 vcc_lo, 0, v1
	v_mov_b32_e32 v1, 0
	s_or_not1_b32 s7, vcc_lo, exec_lo
.LBB0_151:                              ;   in Loop: Header=BB0_149 Depth=2
	s_wait_xcnt 0x0
	s_or_b32 exec_lo, exec_lo, s12
	s_and_saveexec_b32 s12, s7
	s_cbranch_execz .LBB0_153
; %bb.152:                              ;   in Loop: Header=BB0_149 Depth=2
	s_wait_loadcnt 0x0
	v_cmp_eq_u32_e32 vcc_lo, s4, v7
	v_cmp_eq_u32_e64 s0, s4, v9
	s_and_b32 s0, vcc_lo, s0
	s_delay_alu instid0(SALU_CYCLE_1)
	s_or_not1_b32 s0, s0, exec_lo
.LBB0_153:                              ;   in Loop: Header=BB0_149 Depth=2
	s_or_b32 exec_lo, exec_lo, s12
	s_delay_alu instid0(SALU_CYCLE_1) | instskip(NEXT) | instid1(SALU_CYCLE_1)
	s_and_b32 s0, exec_lo, s0
	s_or_b32 s6, s0, s6
	s_delay_alu instid0(SALU_CYCLE_1)
	s_and_not1_b32 exec_lo, exec_lo, s6
	s_cbranch_execnz .LBB0_149
; %bb.154:                              ;   in Loop: Header=BB0_149 Depth=2
	s_or_b32 exec_lo, exec_lo, s6
	s_wait_loadcnt 0x0
	v_dual_mov_b32 v7, v8 :: v_dual_mov_b32 v1, 0
	s_mov_b32 s6, 0
	s_delay_alu instid0(VALU_DEP_1) | instskip(SKIP_1) | instid1(SALU_CYCLE_1)
	v_cmp_eq_u64_e32 vcc_lo, s[4:5], v[6:7]
	s_or_b32 s1, vcc_lo, s1
	s_and_not1_b32 exec_lo, exec_lo, s1
	s_cbranch_execnz .LBB0_149
; %bb.155:                              ;   in Loop: Header=BB0_1 Depth=1
	s_or_b32 exec_lo, exec_lo, s1
	s_add_co_i32 s4, s2, 22
	s_mov_b32 s1, s3
	s_bfe_u32 s0, s4, 0x100003
	v_dual_mov_b32 v2, s4 :: v_dual_mov_b32 v3, s4
	s_mulk_i32 s0, 0x20c5
	v_dual_mov_b32 v5, s4 :: v_dual_mov_b32 v1, 0
	s_lshr_b32 s0, s0, 20
	s_mov_b32 s5, s3
	s_mulk_i32 s0, 0x3e8
	s_delay_alu instid0(SALU_CYCLE_1) | instskip(NEXT) | instid1(SALU_CYCLE_1)
	s_sub_co_i32 s0, s4, s0
	s_and_b32 s0, s0, 0xffff
	s_delay_alu instid0(SALU_CYCLE_1) | instskip(NEXT) | instid1(SALU_CYCLE_1)
	s_lshl_b32 s0, s0, 12
	v_add_nc_u64_e32 v[6:7], s[0:1], v[10:11]
	v_add_nc_u64_e32 v[14:15], s[0:1], v[12:13]
	s_mov_b32 s1, 0
	global_store_b128 v[6:7], v[2:5], off th:TH_STORE_NT
.LBB0_156:                              ;   Parent Loop BB0_1 Depth=1
                                        ; =>  This Inner Loop Header: Depth=2
	s_wait_loadcnt 0x0
	global_load_b128 v[6:9], v[14:15], off th:TH_LOAD_NT
	v_add_nc_u32_e32 v1, 1, v1
	s_mov_b32 s0, -1
	s_mov_b32 s7, -1
	s_mov_b32 s12, exec_lo
	s_wait_xcnt 0x0
	v_cmpx_eq_u32_e32 0xf4240, v1
	s_cbranch_execz .LBB0_158
; %bb.157:                              ;   in Loop: Header=BB0_156 Depth=2
	s_wait_loadcnt 0x0
	s_wait_storecnt 0x0
	global_load_b32 v1, v4, s[10:11] scope:SCOPE_SYS
	s_wait_loadcnt 0x0
	global_inv scope:SCOPE_SYS
	v_cmp_eq_u32_e32 vcc_lo, 0, v1
	v_mov_b32_e32 v1, 0
	s_or_not1_b32 s7, vcc_lo, exec_lo
.LBB0_158:                              ;   in Loop: Header=BB0_156 Depth=2
	s_wait_xcnt 0x0
	s_or_b32 exec_lo, exec_lo, s12
	s_and_saveexec_b32 s12, s7
	s_cbranch_execz .LBB0_160
; %bb.159:                              ;   in Loop: Header=BB0_156 Depth=2
	s_wait_loadcnt 0x0
	v_cmp_eq_u32_e32 vcc_lo, s4, v7
	v_cmp_eq_u32_e64 s0, s4, v9
	s_and_b32 s0, vcc_lo, s0
	s_delay_alu instid0(SALU_CYCLE_1)
	s_or_not1_b32 s0, s0, exec_lo
.LBB0_160:                              ;   in Loop: Header=BB0_156 Depth=2
	s_or_b32 exec_lo, exec_lo, s12
	s_delay_alu instid0(SALU_CYCLE_1) | instskip(NEXT) | instid1(SALU_CYCLE_1)
	s_and_b32 s0, exec_lo, s0
	s_or_b32 s6, s0, s6
	s_delay_alu instid0(SALU_CYCLE_1)
	s_and_not1_b32 exec_lo, exec_lo, s6
	s_cbranch_execnz .LBB0_156
; %bb.161:                              ;   in Loop: Header=BB0_156 Depth=2
	s_or_b32 exec_lo, exec_lo, s6
	s_wait_loadcnt 0x0
	v_dual_mov_b32 v7, v8 :: v_dual_mov_b32 v1, 0
	s_mov_b32 s6, 0
	s_delay_alu instid0(VALU_DEP_1) | instskip(SKIP_1) | instid1(SALU_CYCLE_1)
	v_cmp_eq_u64_e32 vcc_lo, s[4:5], v[6:7]
	s_or_b32 s1, vcc_lo, s1
	s_and_not1_b32 exec_lo, exec_lo, s1
	s_cbranch_execnz .LBB0_156
; %bb.162:                              ;   in Loop: Header=BB0_1 Depth=1
	s_or_b32 exec_lo, exec_lo, s1
	s_add_co_i32 s4, s2, 23
	s_mov_b32 s1, s3
	s_bfe_u32 s0, s4, 0x100003
	v_dual_mov_b32 v2, s4 :: v_dual_mov_b32 v3, s4
	s_mulk_i32 s0, 0x20c5
	v_dual_mov_b32 v5, s4 :: v_dual_mov_b32 v1, 0
	s_lshr_b32 s0, s0, 20
	s_mov_b32 s5, s3
	s_mulk_i32 s0, 0x3e8
	s_delay_alu instid0(SALU_CYCLE_1) | instskip(NEXT) | instid1(SALU_CYCLE_1)
	s_sub_co_i32 s0, s4, s0
	s_and_b32 s0, s0, 0xffff
	s_delay_alu instid0(SALU_CYCLE_1) | instskip(NEXT) | instid1(SALU_CYCLE_1)
	s_lshl_b32 s0, s0, 12
	v_add_nc_u64_e32 v[6:7], s[0:1], v[10:11]
	v_add_nc_u64_e32 v[14:15], s[0:1], v[12:13]
	s_mov_b32 s1, 0
	global_store_b128 v[6:7], v[2:5], off th:TH_STORE_NT
.LBB0_163:                              ;   Parent Loop BB0_1 Depth=1
                                        ; =>  This Inner Loop Header: Depth=2
	s_wait_loadcnt 0x0
	global_load_b128 v[6:9], v[14:15], off th:TH_LOAD_NT
	v_add_nc_u32_e32 v1, 1, v1
	s_mov_b32 s0, -1
	s_mov_b32 s7, -1
	s_mov_b32 s12, exec_lo
	s_wait_xcnt 0x0
	v_cmpx_eq_u32_e32 0xf4240, v1
	s_cbranch_execz .LBB0_165
; %bb.164:                              ;   in Loop: Header=BB0_163 Depth=2
	s_wait_loadcnt 0x0
	s_wait_storecnt 0x0
	global_load_b32 v1, v4, s[10:11] scope:SCOPE_SYS
	s_wait_loadcnt 0x0
	global_inv scope:SCOPE_SYS
	v_cmp_eq_u32_e32 vcc_lo, 0, v1
	v_mov_b32_e32 v1, 0
	s_or_not1_b32 s7, vcc_lo, exec_lo
.LBB0_165:                              ;   in Loop: Header=BB0_163 Depth=2
	s_wait_xcnt 0x0
	s_or_b32 exec_lo, exec_lo, s12
	s_and_saveexec_b32 s12, s7
	s_cbranch_execz .LBB0_167
; %bb.166:                              ;   in Loop: Header=BB0_163 Depth=2
	s_wait_loadcnt 0x0
	v_cmp_eq_u32_e32 vcc_lo, s4, v7
	v_cmp_eq_u32_e64 s0, s4, v9
	s_and_b32 s0, vcc_lo, s0
	s_delay_alu instid0(SALU_CYCLE_1)
	s_or_not1_b32 s0, s0, exec_lo
.LBB0_167:                              ;   in Loop: Header=BB0_163 Depth=2
	s_or_b32 exec_lo, exec_lo, s12
	s_delay_alu instid0(SALU_CYCLE_1) | instskip(NEXT) | instid1(SALU_CYCLE_1)
	s_and_b32 s0, exec_lo, s0
	s_or_b32 s6, s0, s6
	s_delay_alu instid0(SALU_CYCLE_1)
	s_and_not1_b32 exec_lo, exec_lo, s6
	s_cbranch_execnz .LBB0_163
; %bb.168:                              ;   in Loop: Header=BB0_163 Depth=2
	s_or_b32 exec_lo, exec_lo, s6
	s_wait_loadcnt 0x0
	v_dual_mov_b32 v7, v8 :: v_dual_mov_b32 v1, 0
	s_mov_b32 s6, 0
	s_delay_alu instid0(VALU_DEP_1) | instskip(SKIP_1) | instid1(SALU_CYCLE_1)
	v_cmp_eq_u64_e32 vcc_lo, s[4:5], v[6:7]
	s_or_b32 s1, vcc_lo, s1
	s_and_not1_b32 exec_lo, exec_lo, s1
	s_cbranch_execnz .LBB0_163
; %bb.169:                              ;   in Loop: Header=BB0_1 Depth=1
	s_or_b32 exec_lo, exec_lo, s1
	s_add_co_i32 s4, s2, 24
	s_mov_b32 s1, s3
	s_bfe_u32 s0, s4, 0x100003
	v_dual_mov_b32 v2, s4 :: v_dual_mov_b32 v3, s4
	s_mulk_i32 s0, 0x20c5
	v_dual_mov_b32 v5, s4 :: v_dual_mov_b32 v1, 0
	s_lshr_b32 s0, s0, 20
	s_mov_b32 s5, s3
	s_mulk_i32 s0, 0x3e8
	s_delay_alu instid0(SALU_CYCLE_1) | instskip(NEXT) | instid1(SALU_CYCLE_1)
	s_sub_co_i32 s0, s4, s0
	s_and_b32 s0, s0, 0xffff
	s_delay_alu instid0(SALU_CYCLE_1) | instskip(NEXT) | instid1(SALU_CYCLE_1)
	s_lshl_b32 s0, s0, 12
	v_add_nc_u64_e32 v[6:7], s[0:1], v[10:11]
	v_add_nc_u64_e32 v[14:15], s[0:1], v[12:13]
	s_mov_b32 s1, 0
	global_store_b128 v[6:7], v[2:5], off th:TH_STORE_NT
.LBB0_170:                              ;   Parent Loop BB0_1 Depth=1
                                        ; =>  This Inner Loop Header: Depth=2
	s_wait_loadcnt 0x0
	global_load_b128 v[6:9], v[14:15], off th:TH_LOAD_NT
	v_add_nc_u32_e32 v1, 1, v1
	s_mov_b32 s0, -1
	s_mov_b32 s7, -1
	s_mov_b32 s12, exec_lo
	s_wait_xcnt 0x0
	v_cmpx_eq_u32_e32 0xf4240, v1
	s_cbranch_execz .LBB0_172
; %bb.171:                              ;   in Loop: Header=BB0_170 Depth=2
	s_wait_loadcnt 0x0
	s_wait_storecnt 0x0
	global_load_b32 v1, v4, s[10:11] scope:SCOPE_SYS
	s_wait_loadcnt 0x0
	global_inv scope:SCOPE_SYS
	v_cmp_eq_u32_e32 vcc_lo, 0, v1
	v_mov_b32_e32 v1, 0
	s_or_not1_b32 s7, vcc_lo, exec_lo
.LBB0_172:                              ;   in Loop: Header=BB0_170 Depth=2
	s_wait_xcnt 0x0
	s_or_b32 exec_lo, exec_lo, s12
	s_and_saveexec_b32 s12, s7
	s_cbranch_execz .LBB0_174
; %bb.173:                              ;   in Loop: Header=BB0_170 Depth=2
	s_wait_loadcnt 0x0
	v_cmp_eq_u32_e32 vcc_lo, s4, v7
	v_cmp_eq_u32_e64 s0, s4, v9
	s_and_b32 s0, vcc_lo, s0
	s_delay_alu instid0(SALU_CYCLE_1)
	s_or_not1_b32 s0, s0, exec_lo
.LBB0_174:                              ;   in Loop: Header=BB0_170 Depth=2
	s_or_b32 exec_lo, exec_lo, s12
	s_delay_alu instid0(SALU_CYCLE_1) | instskip(NEXT) | instid1(SALU_CYCLE_1)
	s_and_b32 s0, exec_lo, s0
	s_or_b32 s6, s0, s6
	s_delay_alu instid0(SALU_CYCLE_1)
	s_and_not1_b32 exec_lo, exec_lo, s6
	s_cbranch_execnz .LBB0_170
; %bb.175:                              ;   in Loop: Header=BB0_170 Depth=2
	s_or_b32 exec_lo, exec_lo, s6
	s_wait_loadcnt 0x0
	v_dual_mov_b32 v7, v8 :: v_dual_mov_b32 v1, 0
	s_mov_b32 s6, 0
	s_delay_alu instid0(VALU_DEP_1) | instskip(SKIP_1) | instid1(SALU_CYCLE_1)
	v_cmp_eq_u64_e32 vcc_lo, s[4:5], v[6:7]
	s_or_b32 s1, vcc_lo, s1
	s_and_not1_b32 exec_lo, exec_lo, s1
	s_cbranch_execnz .LBB0_170
; %bb.176:                              ;   in Loop: Header=BB0_1 Depth=1
	s_or_b32 exec_lo, exec_lo, s1
	s_add_co_i32 s4, s2, 25
	s_mov_b32 s1, s3
	s_bfe_u32 s0, s4, 0x100003
	v_dual_mov_b32 v2, s4 :: v_dual_mov_b32 v3, s4
	s_mulk_i32 s0, 0x20c5
	v_dual_mov_b32 v5, s4 :: v_dual_mov_b32 v1, 0
	s_lshr_b32 s0, s0, 20
	s_mov_b32 s5, s3
	s_mulk_i32 s0, 0x3e8
	s_delay_alu instid0(SALU_CYCLE_1) | instskip(NEXT) | instid1(SALU_CYCLE_1)
	s_sub_co_i32 s0, s4, s0
	s_and_b32 s0, s0, 0xffff
	s_delay_alu instid0(SALU_CYCLE_1) | instskip(NEXT) | instid1(SALU_CYCLE_1)
	s_lshl_b32 s0, s0, 12
	v_add_nc_u64_e32 v[6:7], s[0:1], v[10:11]
	v_add_nc_u64_e32 v[14:15], s[0:1], v[12:13]
	s_mov_b32 s1, 0
	global_store_b128 v[6:7], v[2:5], off th:TH_STORE_NT
.LBB0_177:                              ;   Parent Loop BB0_1 Depth=1
                                        ; =>  This Inner Loop Header: Depth=2
	s_wait_loadcnt 0x0
	global_load_b128 v[6:9], v[14:15], off th:TH_LOAD_NT
	v_add_nc_u32_e32 v1, 1, v1
	s_mov_b32 s0, -1
	s_mov_b32 s7, -1
	s_mov_b32 s12, exec_lo
	s_wait_xcnt 0x0
	v_cmpx_eq_u32_e32 0xf4240, v1
	s_cbranch_execz .LBB0_179
; %bb.178:                              ;   in Loop: Header=BB0_177 Depth=2
	s_wait_loadcnt 0x0
	s_wait_storecnt 0x0
	global_load_b32 v1, v4, s[10:11] scope:SCOPE_SYS
	s_wait_loadcnt 0x0
	global_inv scope:SCOPE_SYS
	v_cmp_eq_u32_e32 vcc_lo, 0, v1
	v_mov_b32_e32 v1, 0
	s_or_not1_b32 s7, vcc_lo, exec_lo
.LBB0_179:                              ;   in Loop: Header=BB0_177 Depth=2
	s_wait_xcnt 0x0
	s_or_b32 exec_lo, exec_lo, s12
	s_and_saveexec_b32 s12, s7
	s_cbranch_execz .LBB0_181
; %bb.180:                              ;   in Loop: Header=BB0_177 Depth=2
	s_wait_loadcnt 0x0
	v_cmp_eq_u32_e32 vcc_lo, s4, v7
	v_cmp_eq_u32_e64 s0, s4, v9
	s_and_b32 s0, vcc_lo, s0
	s_delay_alu instid0(SALU_CYCLE_1)
	s_or_not1_b32 s0, s0, exec_lo
.LBB0_181:                              ;   in Loop: Header=BB0_177 Depth=2
	s_or_b32 exec_lo, exec_lo, s12
	s_delay_alu instid0(SALU_CYCLE_1) | instskip(NEXT) | instid1(SALU_CYCLE_1)
	s_and_b32 s0, exec_lo, s0
	s_or_b32 s6, s0, s6
	s_delay_alu instid0(SALU_CYCLE_1)
	s_and_not1_b32 exec_lo, exec_lo, s6
	s_cbranch_execnz .LBB0_177
; %bb.182:                              ;   in Loop: Header=BB0_177 Depth=2
	s_or_b32 exec_lo, exec_lo, s6
	s_wait_loadcnt 0x0
	v_dual_mov_b32 v7, v8 :: v_dual_mov_b32 v1, 0
	s_mov_b32 s6, 0
	s_delay_alu instid0(VALU_DEP_1) | instskip(SKIP_1) | instid1(SALU_CYCLE_1)
	v_cmp_eq_u64_e32 vcc_lo, s[4:5], v[6:7]
	s_or_b32 s1, vcc_lo, s1
	s_and_not1_b32 exec_lo, exec_lo, s1
	s_cbranch_execnz .LBB0_177
; %bb.183:                              ;   in Loop: Header=BB0_1 Depth=1
	s_or_b32 exec_lo, exec_lo, s1
	s_add_co_i32 s4, s2, 26
	s_mov_b32 s1, s3
	s_bfe_u32 s0, s4, 0x100003
	v_dual_mov_b32 v2, s4 :: v_dual_mov_b32 v3, s4
	s_mulk_i32 s0, 0x20c5
	v_dual_mov_b32 v5, s4 :: v_dual_mov_b32 v1, 0
	s_lshr_b32 s0, s0, 20
	s_mov_b32 s5, s3
	s_mulk_i32 s0, 0x3e8
	s_delay_alu instid0(SALU_CYCLE_1) | instskip(NEXT) | instid1(SALU_CYCLE_1)
	s_sub_co_i32 s0, s4, s0
	s_and_b32 s0, s0, 0xffff
	s_delay_alu instid0(SALU_CYCLE_1) | instskip(NEXT) | instid1(SALU_CYCLE_1)
	s_lshl_b32 s0, s0, 12
	v_add_nc_u64_e32 v[6:7], s[0:1], v[10:11]
	v_add_nc_u64_e32 v[14:15], s[0:1], v[12:13]
	s_mov_b32 s1, 0
	global_store_b128 v[6:7], v[2:5], off th:TH_STORE_NT
.LBB0_184:                              ;   Parent Loop BB0_1 Depth=1
                                        ; =>  This Inner Loop Header: Depth=2
	s_wait_loadcnt 0x0
	global_load_b128 v[6:9], v[14:15], off th:TH_LOAD_NT
	v_add_nc_u32_e32 v1, 1, v1
	s_mov_b32 s0, -1
	s_mov_b32 s7, -1
	s_mov_b32 s12, exec_lo
	s_wait_xcnt 0x0
	v_cmpx_eq_u32_e32 0xf4240, v1
	s_cbranch_execz .LBB0_186
; %bb.185:                              ;   in Loop: Header=BB0_184 Depth=2
	s_wait_loadcnt 0x0
	s_wait_storecnt 0x0
	global_load_b32 v1, v4, s[10:11] scope:SCOPE_SYS
	s_wait_loadcnt 0x0
	global_inv scope:SCOPE_SYS
	v_cmp_eq_u32_e32 vcc_lo, 0, v1
	v_mov_b32_e32 v1, 0
	s_or_not1_b32 s7, vcc_lo, exec_lo
.LBB0_186:                              ;   in Loop: Header=BB0_184 Depth=2
	s_wait_xcnt 0x0
	s_or_b32 exec_lo, exec_lo, s12
	s_and_saveexec_b32 s12, s7
	s_cbranch_execz .LBB0_188
; %bb.187:                              ;   in Loop: Header=BB0_184 Depth=2
	s_wait_loadcnt 0x0
	v_cmp_eq_u32_e32 vcc_lo, s4, v7
	v_cmp_eq_u32_e64 s0, s4, v9
	s_and_b32 s0, vcc_lo, s0
	s_delay_alu instid0(SALU_CYCLE_1)
	s_or_not1_b32 s0, s0, exec_lo
.LBB0_188:                              ;   in Loop: Header=BB0_184 Depth=2
	s_or_b32 exec_lo, exec_lo, s12
	s_delay_alu instid0(SALU_CYCLE_1) | instskip(NEXT) | instid1(SALU_CYCLE_1)
	s_and_b32 s0, exec_lo, s0
	s_or_b32 s6, s0, s6
	s_delay_alu instid0(SALU_CYCLE_1)
	s_and_not1_b32 exec_lo, exec_lo, s6
	s_cbranch_execnz .LBB0_184
; %bb.189:                              ;   in Loop: Header=BB0_184 Depth=2
	s_or_b32 exec_lo, exec_lo, s6
	s_wait_loadcnt 0x0
	v_dual_mov_b32 v7, v8 :: v_dual_mov_b32 v1, 0
	s_mov_b32 s6, 0
	s_delay_alu instid0(VALU_DEP_1) | instskip(SKIP_1) | instid1(SALU_CYCLE_1)
	v_cmp_eq_u64_e32 vcc_lo, s[4:5], v[6:7]
	s_or_b32 s1, vcc_lo, s1
	s_and_not1_b32 exec_lo, exec_lo, s1
	s_cbranch_execnz .LBB0_184
; %bb.190:                              ;   in Loop: Header=BB0_1 Depth=1
	s_or_b32 exec_lo, exec_lo, s1
	s_add_co_i32 s4, s2, 27
	s_mov_b32 s1, s3
	s_bfe_u32 s0, s4, 0x100003
	v_dual_mov_b32 v2, s4 :: v_dual_mov_b32 v3, s4
	s_mulk_i32 s0, 0x20c5
	v_dual_mov_b32 v5, s4 :: v_dual_mov_b32 v1, 0
	s_lshr_b32 s0, s0, 20
	s_mov_b32 s5, s3
	s_mulk_i32 s0, 0x3e8
	s_delay_alu instid0(SALU_CYCLE_1) | instskip(NEXT) | instid1(SALU_CYCLE_1)
	s_sub_co_i32 s0, s4, s0
	s_and_b32 s0, s0, 0xffff
	s_delay_alu instid0(SALU_CYCLE_1) | instskip(NEXT) | instid1(SALU_CYCLE_1)
	s_lshl_b32 s0, s0, 12
	v_add_nc_u64_e32 v[6:7], s[0:1], v[10:11]
	v_add_nc_u64_e32 v[14:15], s[0:1], v[12:13]
	s_mov_b32 s1, 0
	global_store_b128 v[6:7], v[2:5], off th:TH_STORE_NT
.LBB0_191:                              ;   Parent Loop BB0_1 Depth=1
                                        ; =>  This Inner Loop Header: Depth=2
	s_wait_loadcnt 0x0
	global_load_b128 v[6:9], v[14:15], off th:TH_LOAD_NT
	v_add_nc_u32_e32 v1, 1, v1
	s_mov_b32 s0, -1
	s_mov_b32 s7, -1
	s_mov_b32 s12, exec_lo
	s_wait_xcnt 0x0
	v_cmpx_eq_u32_e32 0xf4240, v1
	s_cbranch_execz .LBB0_193
; %bb.192:                              ;   in Loop: Header=BB0_191 Depth=2
	s_wait_loadcnt 0x0
	s_wait_storecnt 0x0
	global_load_b32 v1, v4, s[10:11] scope:SCOPE_SYS
	s_wait_loadcnt 0x0
	global_inv scope:SCOPE_SYS
	v_cmp_eq_u32_e32 vcc_lo, 0, v1
	v_mov_b32_e32 v1, 0
	s_or_not1_b32 s7, vcc_lo, exec_lo
.LBB0_193:                              ;   in Loop: Header=BB0_191 Depth=2
	s_wait_xcnt 0x0
	s_or_b32 exec_lo, exec_lo, s12
	s_and_saveexec_b32 s12, s7
	s_cbranch_execz .LBB0_195
; %bb.194:                              ;   in Loop: Header=BB0_191 Depth=2
	s_wait_loadcnt 0x0
	v_cmp_eq_u32_e32 vcc_lo, s4, v7
	v_cmp_eq_u32_e64 s0, s4, v9
	s_and_b32 s0, vcc_lo, s0
	s_delay_alu instid0(SALU_CYCLE_1)
	s_or_not1_b32 s0, s0, exec_lo
.LBB0_195:                              ;   in Loop: Header=BB0_191 Depth=2
	s_or_b32 exec_lo, exec_lo, s12
	s_delay_alu instid0(SALU_CYCLE_1) | instskip(NEXT) | instid1(SALU_CYCLE_1)
	s_and_b32 s0, exec_lo, s0
	s_or_b32 s6, s0, s6
	s_delay_alu instid0(SALU_CYCLE_1)
	s_and_not1_b32 exec_lo, exec_lo, s6
	s_cbranch_execnz .LBB0_191
; %bb.196:                              ;   in Loop: Header=BB0_191 Depth=2
	s_or_b32 exec_lo, exec_lo, s6
	s_wait_loadcnt 0x0
	v_dual_mov_b32 v7, v8 :: v_dual_mov_b32 v1, 0
	s_mov_b32 s6, 0
	s_delay_alu instid0(VALU_DEP_1) | instskip(SKIP_1) | instid1(SALU_CYCLE_1)
	v_cmp_eq_u64_e32 vcc_lo, s[4:5], v[6:7]
	s_or_b32 s1, vcc_lo, s1
	s_and_not1_b32 exec_lo, exec_lo, s1
	s_cbranch_execnz .LBB0_191
; %bb.197:                              ;   in Loop: Header=BB0_1 Depth=1
	s_or_b32 exec_lo, exec_lo, s1
	s_add_co_i32 s4, s2, 28
	s_mov_b32 s1, s3
	s_bfe_u32 s0, s4, 0x100003
	v_dual_mov_b32 v2, s4 :: v_dual_mov_b32 v3, s4
	s_mulk_i32 s0, 0x20c5
	v_dual_mov_b32 v5, s4 :: v_dual_mov_b32 v1, 0
	s_lshr_b32 s0, s0, 20
	s_mov_b32 s5, s3
	s_mulk_i32 s0, 0x3e8
	s_delay_alu instid0(SALU_CYCLE_1) | instskip(NEXT) | instid1(SALU_CYCLE_1)
	s_sub_co_i32 s0, s4, s0
	s_and_b32 s0, s0, 0xffff
	s_delay_alu instid0(SALU_CYCLE_1) | instskip(NEXT) | instid1(SALU_CYCLE_1)
	s_lshl_b32 s0, s0, 12
	v_add_nc_u64_e32 v[6:7], s[0:1], v[10:11]
	v_add_nc_u64_e32 v[14:15], s[0:1], v[12:13]
	s_mov_b32 s1, 0
	global_store_b128 v[6:7], v[2:5], off th:TH_STORE_NT
.LBB0_198:                              ;   Parent Loop BB0_1 Depth=1
                                        ; =>  This Inner Loop Header: Depth=2
	s_wait_loadcnt 0x0
	global_load_b128 v[6:9], v[14:15], off th:TH_LOAD_NT
	v_add_nc_u32_e32 v1, 1, v1
	s_mov_b32 s0, -1
	s_mov_b32 s7, -1
	s_mov_b32 s12, exec_lo
	s_wait_xcnt 0x0
	v_cmpx_eq_u32_e32 0xf4240, v1
	s_cbranch_execz .LBB0_200
; %bb.199:                              ;   in Loop: Header=BB0_198 Depth=2
	s_wait_loadcnt 0x0
	s_wait_storecnt 0x0
	global_load_b32 v1, v4, s[10:11] scope:SCOPE_SYS
	s_wait_loadcnt 0x0
	global_inv scope:SCOPE_SYS
	v_cmp_eq_u32_e32 vcc_lo, 0, v1
	v_mov_b32_e32 v1, 0
	s_or_not1_b32 s7, vcc_lo, exec_lo
.LBB0_200:                              ;   in Loop: Header=BB0_198 Depth=2
	s_wait_xcnt 0x0
	s_or_b32 exec_lo, exec_lo, s12
	s_and_saveexec_b32 s12, s7
	s_cbranch_execz .LBB0_202
; %bb.201:                              ;   in Loop: Header=BB0_198 Depth=2
	s_wait_loadcnt 0x0
	v_cmp_eq_u32_e32 vcc_lo, s4, v7
	v_cmp_eq_u32_e64 s0, s4, v9
	s_and_b32 s0, vcc_lo, s0
	s_delay_alu instid0(SALU_CYCLE_1)
	s_or_not1_b32 s0, s0, exec_lo
.LBB0_202:                              ;   in Loop: Header=BB0_198 Depth=2
	s_or_b32 exec_lo, exec_lo, s12
	s_delay_alu instid0(SALU_CYCLE_1) | instskip(NEXT) | instid1(SALU_CYCLE_1)
	s_and_b32 s0, exec_lo, s0
	s_or_b32 s6, s0, s6
	s_delay_alu instid0(SALU_CYCLE_1)
	s_and_not1_b32 exec_lo, exec_lo, s6
	s_cbranch_execnz .LBB0_198
; %bb.203:                              ;   in Loop: Header=BB0_198 Depth=2
	s_or_b32 exec_lo, exec_lo, s6
	s_wait_loadcnt 0x0
	v_dual_mov_b32 v7, v8 :: v_dual_mov_b32 v1, 0
	s_mov_b32 s6, 0
	s_delay_alu instid0(VALU_DEP_1) | instskip(SKIP_1) | instid1(SALU_CYCLE_1)
	v_cmp_eq_u64_e32 vcc_lo, s[4:5], v[6:7]
	s_or_b32 s1, vcc_lo, s1
	s_and_not1_b32 exec_lo, exec_lo, s1
	s_cbranch_execnz .LBB0_198
; %bb.204:                              ;   in Loop: Header=BB0_1 Depth=1
	s_or_b32 exec_lo, exec_lo, s1
	s_add_co_i32 s4, s2, 29
	s_mov_b32 s1, s3
	s_bfe_u32 s0, s4, 0x100003
	v_dual_mov_b32 v2, s4 :: v_dual_mov_b32 v3, s4
	s_mulk_i32 s0, 0x20c5
	v_dual_mov_b32 v5, s4 :: v_dual_mov_b32 v1, 0
	s_lshr_b32 s0, s0, 20
	s_mov_b32 s5, s3
	s_mulk_i32 s0, 0x3e8
	s_delay_alu instid0(SALU_CYCLE_1) | instskip(NEXT) | instid1(SALU_CYCLE_1)
	s_sub_co_i32 s0, s4, s0
	s_and_b32 s0, s0, 0xffff
	s_delay_alu instid0(SALU_CYCLE_1) | instskip(NEXT) | instid1(SALU_CYCLE_1)
	s_lshl_b32 s0, s0, 12
	v_add_nc_u64_e32 v[6:7], s[0:1], v[10:11]
	v_add_nc_u64_e32 v[14:15], s[0:1], v[12:13]
	s_mov_b32 s1, 0
	global_store_b128 v[6:7], v[2:5], off th:TH_STORE_NT
.LBB0_205:                              ;   Parent Loop BB0_1 Depth=1
                                        ; =>  This Inner Loop Header: Depth=2
	s_wait_loadcnt 0x0
	global_load_b128 v[6:9], v[14:15], off th:TH_LOAD_NT
	v_add_nc_u32_e32 v1, 1, v1
	s_mov_b32 s0, -1
	s_mov_b32 s7, -1
	s_mov_b32 s12, exec_lo
	s_wait_xcnt 0x0
	v_cmpx_eq_u32_e32 0xf4240, v1
	s_cbranch_execz .LBB0_207
; %bb.206:                              ;   in Loop: Header=BB0_205 Depth=2
	s_wait_loadcnt 0x0
	s_wait_storecnt 0x0
	global_load_b32 v1, v4, s[10:11] scope:SCOPE_SYS
	s_wait_loadcnt 0x0
	global_inv scope:SCOPE_SYS
	v_cmp_eq_u32_e32 vcc_lo, 0, v1
	v_mov_b32_e32 v1, 0
	s_or_not1_b32 s7, vcc_lo, exec_lo
.LBB0_207:                              ;   in Loop: Header=BB0_205 Depth=2
	s_wait_xcnt 0x0
	s_or_b32 exec_lo, exec_lo, s12
	s_and_saveexec_b32 s12, s7
	s_cbranch_execz .LBB0_209
; %bb.208:                              ;   in Loop: Header=BB0_205 Depth=2
	s_wait_loadcnt 0x0
	v_cmp_eq_u32_e32 vcc_lo, s4, v7
	v_cmp_eq_u32_e64 s0, s4, v9
	s_and_b32 s0, vcc_lo, s0
	s_delay_alu instid0(SALU_CYCLE_1)
	s_or_not1_b32 s0, s0, exec_lo
.LBB0_209:                              ;   in Loop: Header=BB0_205 Depth=2
	s_or_b32 exec_lo, exec_lo, s12
	s_delay_alu instid0(SALU_CYCLE_1) | instskip(NEXT) | instid1(SALU_CYCLE_1)
	s_and_b32 s0, exec_lo, s0
	s_or_b32 s6, s0, s6
	s_delay_alu instid0(SALU_CYCLE_1)
	s_and_not1_b32 exec_lo, exec_lo, s6
	s_cbranch_execnz .LBB0_205
; %bb.210:                              ;   in Loop: Header=BB0_205 Depth=2
	s_or_b32 exec_lo, exec_lo, s6
	s_wait_loadcnt 0x0
	v_dual_mov_b32 v7, v8 :: v_dual_mov_b32 v1, 0
	s_mov_b32 s6, 0
	s_delay_alu instid0(VALU_DEP_1) | instskip(SKIP_1) | instid1(SALU_CYCLE_1)
	v_cmp_eq_u64_e32 vcc_lo, s[4:5], v[6:7]
	s_or_b32 s1, vcc_lo, s1
	s_and_not1_b32 exec_lo, exec_lo, s1
	s_cbranch_execnz .LBB0_205
; %bb.211:                              ;   in Loop: Header=BB0_1 Depth=1
	s_or_b32 exec_lo, exec_lo, s1
	s_add_co_i32 s4, s2, 30
	s_mov_b32 s1, s3
	s_bfe_u32 s0, s4, 0x100003
	v_dual_mov_b32 v2, s4 :: v_dual_mov_b32 v3, s4
	s_mulk_i32 s0, 0x20c5
	v_dual_mov_b32 v5, s4 :: v_dual_mov_b32 v1, 0
	s_lshr_b32 s0, s0, 20
	s_mov_b32 s5, s3
	s_mulk_i32 s0, 0x3e8
	s_delay_alu instid0(SALU_CYCLE_1) | instskip(NEXT) | instid1(SALU_CYCLE_1)
	s_sub_co_i32 s0, s4, s0
	s_and_b32 s0, s0, 0xffff
	s_delay_alu instid0(SALU_CYCLE_1) | instskip(NEXT) | instid1(SALU_CYCLE_1)
	s_lshl_b32 s0, s0, 12
	v_add_nc_u64_e32 v[6:7], s[0:1], v[10:11]
	v_add_nc_u64_e32 v[14:15], s[0:1], v[12:13]
	s_mov_b32 s1, 0
	global_store_b128 v[6:7], v[2:5], off th:TH_STORE_NT
.LBB0_212:                              ;   Parent Loop BB0_1 Depth=1
                                        ; =>  This Inner Loop Header: Depth=2
	s_wait_loadcnt 0x0
	global_load_b128 v[6:9], v[14:15], off th:TH_LOAD_NT
	v_add_nc_u32_e32 v1, 1, v1
	s_mov_b32 s0, -1
	s_mov_b32 s7, -1
	s_mov_b32 s12, exec_lo
	s_wait_xcnt 0x0
	v_cmpx_eq_u32_e32 0xf4240, v1
	s_cbranch_execz .LBB0_214
; %bb.213:                              ;   in Loop: Header=BB0_212 Depth=2
	s_wait_loadcnt 0x0
	s_wait_storecnt 0x0
	global_load_b32 v1, v4, s[10:11] scope:SCOPE_SYS
	s_wait_loadcnt 0x0
	global_inv scope:SCOPE_SYS
	v_cmp_eq_u32_e32 vcc_lo, 0, v1
	v_mov_b32_e32 v1, 0
	s_or_not1_b32 s7, vcc_lo, exec_lo
.LBB0_214:                              ;   in Loop: Header=BB0_212 Depth=2
	s_wait_xcnt 0x0
	s_or_b32 exec_lo, exec_lo, s12
	s_and_saveexec_b32 s12, s7
	s_cbranch_execz .LBB0_216
; %bb.215:                              ;   in Loop: Header=BB0_212 Depth=2
	s_wait_loadcnt 0x0
	v_cmp_eq_u32_e32 vcc_lo, s4, v7
	v_cmp_eq_u32_e64 s0, s4, v9
	s_and_b32 s0, vcc_lo, s0
	s_delay_alu instid0(SALU_CYCLE_1)
	s_or_not1_b32 s0, s0, exec_lo
.LBB0_216:                              ;   in Loop: Header=BB0_212 Depth=2
	s_or_b32 exec_lo, exec_lo, s12
	s_delay_alu instid0(SALU_CYCLE_1) | instskip(NEXT) | instid1(SALU_CYCLE_1)
	s_and_b32 s0, exec_lo, s0
	s_or_b32 s6, s0, s6
	s_delay_alu instid0(SALU_CYCLE_1)
	s_and_not1_b32 exec_lo, exec_lo, s6
	s_cbranch_execnz .LBB0_212
; %bb.217:                              ;   in Loop: Header=BB0_212 Depth=2
	s_or_b32 exec_lo, exec_lo, s6
	s_wait_loadcnt 0x0
	v_dual_mov_b32 v7, v8 :: v_dual_mov_b32 v1, 0
	s_mov_b32 s6, 0
	s_delay_alu instid0(VALU_DEP_1) | instskip(SKIP_1) | instid1(SALU_CYCLE_1)
	v_cmp_eq_u64_e32 vcc_lo, s[4:5], v[6:7]
	s_or_b32 s1, vcc_lo, s1
	s_and_not1_b32 exec_lo, exec_lo, s1
	s_cbranch_execnz .LBB0_212
; %bb.218:                              ;   in Loop: Header=BB0_1 Depth=1
	s_or_b32 exec_lo, exec_lo, s1
	s_add_co_i32 s4, s2, 31
	s_mov_b32 s1, s3
	s_bfe_u32 s0, s4, 0x100003
	v_dual_mov_b32 v2, s4 :: v_dual_mov_b32 v3, s4
	s_mulk_i32 s0, 0x20c5
	v_dual_mov_b32 v5, s4 :: v_dual_mov_b32 v1, 0
	s_lshr_b32 s0, s0, 20
	s_mov_b32 s5, s3
	s_mulk_i32 s0, 0x3e8
	s_delay_alu instid0(SALU_CYCLE_1) | instskip(NEXT) | instid1(SALU_CYCLE_1)
	s_sub_co_i32 s0, s4, s0
	s_and_b32 s0, s0, 0xffff
	s_delay_alu instid0(SALU_CYCLE_1) | instskip(NEXT) | instid1(SALU_CYCLE_1)
	s_lshl_b32 s0, s0, 12
	v_add_nc_u64_e32 v[6:7], s[0:1], v[10:11]
	v_add_nc_u64_e32 v[14:15], s[0:1], v[12:13]
	s_mov_b32 s1, 0
	global_store_b128 v[6:7], v[2:5], off th:TH_STORE_NT
.LBB0_219:                              ;   Parent Loop BB0_1 Depth=1
                                        ; =>  This Inner Loop Header: Depth=2
	s_wait_loadcnt 0x0
	global_load_b128 v[6:9], v[14:15], off th:TH_LOAD_NT
	v_add_nc_u32_e32 v1, 1, v1
	s_mov_b32 s0, -1
	s_mov_b32 s7, -1
	s_mov_b32 s12, exec_lo
	s_wait_xcnt 0x0
	v_cmpx_eq_u32_e32 0xf4240, v1
	s_cbranch_execz .LBB0_221
; %bb.220:                              ;   in Loop: Header=BB0_219 Depth=2
	s_wait_loadcnt 0x0
	s_wait_storecnt 0x0
	global_load_b32 v1, v4, s[10:11] scope:SCOPE_SYS
	s_wait_loadcnt 0x0
	global_inv scope:SCOPE_SYS
	v_cmp_eq_u32_e32 vcc_lo, 0, v1
	v_mov_b32_e32 v1, 0
	s_or_not1_b32 s7, vcc_lo, exec_lo
.LBB0_221:                              ;   in Loop: Header=BB0_219 Depth=2
	s_wait_xcnt 0x0
	s_or_b32 exec_lo, exec_lo, s12
	s_and_saveexec_b32 s12, s7
	s_cbranch_execz .LBB0_223
; %bb.222:                              ;   in Loop: Header=BB0_219 Depth=2
	s_wait_loadcnt 0x0
	v_cmp_eq_u32_e32 vcc_lo, s4, v7
	v_cmp_eq_u32_e64 s0, s4, v9
	s_and_b32 s0, vcc_lo, s0
	s_delay_alu instid0(SALU_CYCLE_1)
	s_or_not1_b32 s0, s0, exec_lo
.LBB0_223:                              ;   in Loop: Header=BB0_219 Depth=2
	s_or_b32 exec_lo, exec_lo, s12
	s_delay_alu instid0(SALU_CYCLE_1) | instskip(NEXT) | instid1(SALU_CYCLE_1)
	s_and_b32 s0, exec_lo, s0
	s_or_b32 s6, s0, s6
	s_delay_alu instid0(SALU_CYCLE_1)
	s_and_not1_b32 exec_lo, exec_lo, s6
	s_cbranch_execnz .LBB0_219
; %bb.224:                              ;   in Loop: Header=BB0_219 Depth=2
	s_or_b32 exec_lo, exec_lo, s6
	s_wait_loadcnt 0x0
	v_dual_mov_b32 v7, v8 :: v_dual_mov_b32 v1, 0
	s_mov_b32 s6, 0
	s_delay_alu instid0(VALU_DEP_1) | instskip(SKIP_1) | instid1(SALU_CYCLE_1)
	v_cmp_eq_u64_e32 vcc_lo, s[4:5], v[6:7]
	s_or_b32 s1, vcc_lo, s1
	s_and_not1_b32 exec_lo, exec_lo, s1
	s_cbranch_execnz .LBB0_219
; %bb.225:                              ;   in Loop: Header=BB0_1 Depth=1
	s_or_b32 exec_lo, exec_lo, s1
	s_add_co_i32 s4, s2, 32
	s_mov_b32 s1, s3
	s_bfe_u32 s0, s4, 0x100003
	v_dual_mov_b32 v2, s4 :: v_dual_mov_b32 v3, s4
	s_mulk_i32 s0, 0x20c5
	v_dual_mov_b32 v5, s4 :: v_dual_mov_b32 v1, 0
	s_lshr_b32 s0, s0, 20
	s_mov_b32 s5, s3
	s_mulk_i32 s0, 0x3e8
	s_delay_alu instid0(SALU_CYCLE_1) | instskip(NEXT) | instid1(SALU_CYCLE_1)
	s_sub_co_i32 s0, s4, s0
	s_and_b32 s0, s0, 0xffff
	s_delay_alu instid0(SALU_CYCLE_1) | instskip(NEXT) | instid1(SALU_CYCLE_1)
	s_lshl_b32 s0, s0, 12
	v_add_nc_u64_e32 v[6:7], s[0:1], v[10:11]
	v_add_nc_u64_e32 v[14:15], s[0:1], v[12:13]
	s_mov_b32 s1, 0
	global_store_b128 v[6:7], v[2:5], off th:TH_STORE_NT
.LBB0_226:                              ;   Parent Loop BB0_1 Depth=1
                                        ; =>  This Inner Loop Header: Depth=2
	s_wait_loadcnt 0x0
	global_load_b128 v[6:9], v[14:15], off th:TH_LOAD_NT
	v_add_nc_u32_e32 v1, 1, v1
	s_mov_b32 s0, -1
	s_mov_b32 s7, -1
	s_mov_b32 s12, exec_lo
	s_wait_xcnt 0x0
	v_cmpx_eq_u32_e32 0xf4240, v1
	s_cbranch_execz .LBB0_228
; %bb.227:                              ;   in Loop: Header=BB0_226 Depth=2
	s_wait_loadcnt 0x0
	s_wait_storecnt 0x0
	global_load_b32 v1, v4, s[10:11] scope:SCOPE_SYS
	s_wait_loadcnt 0x0
	global_inv scope:SCOPE_SYS
	v_cmp_eq_u32_e32 vcc_lo, 0, v1
	v_mov_b32_e32 v1, 0
	s_or_not1_b32 s7, vcc_lo, exec_lo
.LBB0_228:                              ;   in Loop: Header=BB0_226 Depth=2
	s_wait_xcnt 0x0
	s_or_b32 exec_lo, exec_lo, s12
	s_and_saveexec_b32 s12, s7
	s_cbranch_execz .LBB0_230
; %bb.229:                              ;   in Loop: Header=BB0_226 Depth=2
	s_wait_loadcnt 0x0
	v_cmp_eq_u32_e32 vcc_lo, s4, v7
	v_cmp_eq_u32_e64 s0, s4, v9
	s_and_b32 s0, vcc_lo, s0
	s_delay_alu instid0(SALU_CYCLE_1)
	s_or_not1_b32 s0, s0, exec_lo
.LBB0_230:                              ;   in Loop: Header=BB0_226 Depth=2
	s_or_b32 exec_lo, exec_lo, s12
	s_delay_alu instid0(SALU_CYCLE_1) | instskip(NEXT) | instid1(SALU_CYCLE_1)
	s_and_b32 s0, exec_lo, s0
	s_or_b32 s6, s0, s6
	s_delay_alu instid0(SALU_CYCLE_1)
	s_and_not1_b32 exec_lo, exec_lo, s6
	s_cbranch_execnz .LBB0_226
; %bb.231:                              ;   in Loop: Header=BB0_226 Depth=2
	s_or_b32 exec_lo, exec_lo, s6
	s_wait_loadcnt 0x0
	v_dual_mov_b32 v7, v8 :: v_dual_mov_b32 v1, 0
	s_mov_b32 s6, 0
	s_delay_alu instid0(VALU_DEP_1) | instskip(SKIP_1) | instid1(SALU_CYCLE_1)
	v_cmp_eq_u64_e32 vcc_lo, s[4:5], v[6:7]
	s_or_b32 s1, vcc_lo, s1
	s_and_not1_b32 exec_lo, exec_lo, s1
	s_cbranch_execnz .LBB0_226
; %bb.232:                              ;   in Loop: Header=BB0_1 Depth=1
	s_or_b32 exec_lo, exec_lo, s1
	s_add_co_i32 s4, s2, 33
	s_mov_b32 s1, s3
	s_bfe_u32 s0, s4, 0x100003
	v_dual_mov_b32 v2, s4 :: v_dual_mov_b32 v3, s4
	s_mulk_i32 s0, 0x20c5
	v_dual_mov_b32 v5, s4 :: v_dual_mov_b32 v1, 0
	s_lshr_b32 s0, s0, 20
	s_mov_b32 s5, s3
	s_mulk_i32 s0, 0x3e8
	s_delay_alu instid0(SALU_CYCLE_1) | instskip(NEXT) | instid1(SALU_CYCLE_1)
	s_sub_co_i32 s0, s4, s0
	s_and_b32 s0, s0, 0xffff
	s_delay_alu instid0(SALU_CYCLE_1) | instskip(NEXT) | instid1(SALU_CYCLE_1)
	s_lshl_b32 s0, s0, 12
	v_add_nc_u64_e32 v[6:7], s[0:1], v[10:11]
	v_add_nc_u64_e32 v[14:15], s[0:1], v[12:13]
	s_mov_b32 s1, 0
	global_store_b128 v[6:7], v[2:5], off th:TH_STORE_NT
.LBB0_233:                              ;   Parent Loop BB0_1 Depth=1
                                        ; =>  This Inner Loop Header: Depth=2
	s_wait_loadcnt 0x0
	global_load_b128 v[6:9], v[14:15], off th:TH_LOAD_NT
	v_add_nc_u32_e32 v1, 1, v1
	s_mov_b32 s0, -1
	s_mov_b32 s7, -1
	s_mov_b32 s12, exec_lo
	s_wait_xcnt 0x0
	v_cmpx_eq_u32_e32 0xf4240, v1
	s_cbranch_execz .LBB0_235
; %bb.234:                              ;   in Loop: Header=BB0_233 Depth=2
	s_wait_loadcnt 0x0
	s_wait_storecnt 0x0
	global_load_b32 v1, v4, s[10:11] scope:SCOPE_SYS
	s_wait_loadcnt 0x0
	global_inv scope:SCOPE_SYS
	v_cmp_eq_u32_e32 vcc_lo, 0, v1
	v_mov_b32_e32 v1, 0
	s_or_not1_b32 s7, vcc_lo, exec_lo
.LBB0_235:                              ;   in Loop: Header=BB0_233 Depth=2
	s_wait_xcnt 0x0
	s_or_b32 exec_lo, exec_lo, s12
	s_and_saveexec_b32 s12, s7
	s_cbranch_execz .LBB0_237
; %bb.236:                              ;   in Loop: Header=BB0_233 Depth=2
	s_wait_loadcnt 0x0
	v_cmp_eq_u32_e32 vcc_lo, s4, v7
	v_cmp_eq_u32_e64 s0, s4, v9
	s_and_b32 s0, vcc_lo, s0
	s_delay_alu instid0(SALU_CYCLE_1)
	s_or_not1_b32 s0, s0, exec_lo
.LBB0_237:                              ;   in Loop: Header=BB0_233 Depth=2
	s_or_b32 exec_lo, exec_lo, s12
	s_delay_alu instid0(SALU_CYCLE_1) | instskip(NEXT) | instid1(SALU_CYCLE_1)
	s_and_b32 s0, exec_lo, s0
	s_or_b32 s6, s0, s6
	s_delay_alu instid0(SALU_CYCLE_1)
	s_and_not1_b32 exec_lo, exec_lo, s6
	s_cbranch_execnz .LBB0_233
; %bb.238:                              ;   in Loop: Header=BB0_233 Depth=2
	s_or_b32 exec_lo, exec_lo, s6
	s_wait_loadcnt 0x0
	v_dual_mov_b32 v7, v8 :: v_dual_mov_b32 v1, 0
	s_mov_b32 s6, 0
	s_delay_alu instid0(VALU_DEP_1) | instskip(SKIP_1) | instid1(SALU_CYCLE_1)
	v_cmp_eq_u64_e32 vcc_lo, s[4:5], v[6:7]
	s_or_b32 s1, vcc_lo, s1
	s_and_not1_b32 exec_lo, exec_lo, s1
	s_cbranch_execnz .LBB0_233
; %bb.239:                              ;   in Loop: Header=BB0_1 Depth=1
	s_or_b32 exec_lo, exec_lo, s1
	s_add_co_i32 s4, s2, 34
	s_mov_b32 s1, s3
	s_bfe_u32 s0, s4, 0x100003
	v_dual_mov_b32 v2, s4 :: v_dual_mov_b32 v3, s4
	s_mulk_i32 s0, 0x20c5
	v_dual_mov_b32 v5, s4 :: v_dual_mov_b32 v1, 0
	s_lshr_b32 s0, s0, 20
	s_mov_b32 s5, s3
	s_mulk_i32 s0, 0x3e8
	s_delay_alu instid0(SALU_CYCLE_1) | instskip(NEXT) | instid1(SALU_CYCLE_1)
	s_sub_co_i32 s0, s4, s0
	s_and_b32 s0, s0, 0xffff
	s_delay_alu instid0(SALU_CYCLE_1) | instskip(NEXT) | instid1(SALU_CYCLE_1)
	s_lshl_b32 s0, s0, 12
	v_add_nc_u64_e32 v[6:7], s[0:1], v[10:11]
	v_add_nc_u64_e32 v[14:15], s[0:1], v[12:13]
	s_mov_b32 s1, 0
	global_store_b128 v[6:7], v[2:5], off th:TH_STORE_NT
.LBB0_240:                              ;   Parent Loop BB0_1 Depth=1
                                        ; =>  This Inner Loop Header: Depth=2
	s_wait_loadcnt 0x0
	global_load_b128 v[6:9], v[14:15], off th:TH_LOAD_NT
	v_add_nc_u32_e32 v1, 1, v1
	s_mov_b32 s0, -1
	s_mov_b32 s7, -1
	s_mov_b32 s12, exec_lo
	s_wait_xcnt 0x0
	v_cmpx_eq_u32_e32 0xf4240, v1
	s_cbranch_execz .LBB0_242
; %bb.241:                              ;   in Loop: Header=BB0_240 Depth=2
	s_wait_loadcnt 0x0
	s_wait_storecnt 0x0
	global_load_b32 v1, v4, s[10:11] scope:SCOPE_SYS
	s_wait_loadcnt 0x0
	global_inv scope:SCOPE_SYS
	v_cmp_eq_u32_e32 vcc_lo, 0, v1
	v_mov_b32_e32 v1, 0
	s_or_not1_b32 s7, vcc_lo, exec_lo
.LBB0_242:                              ;   in Loop: Header=BB0_240 Depth=2
	s_wait_xcnt 0x0
	s_or_b32 exec_lo, exec_lo, s12
	s_and_saveexec_b32 s12, s7
	s_cbranch_execz .LBB0_244
; %bb.243:                              ;   in Loop: Header=BB0_240 Depth=2
	s_wait_loadcnt 0x0
	v_cmp_eq_u32_e32 vcc_lo, s4, v7
	v_cmp_eq_u32_e64 s0, s4, v9
	s_and_b32 s0, vcc_lo, s0
	s_delay_alu instid0(SALU_CYCLE_1)
	s_or_not1_b32 s0, s0, exec_lo
.LBB0_244:                              ;   in Loop: Header=BB0_240 Depth=2
	s_or_b32 exec_lo, exec_lo, s12
	s_delay_alu instid0(SALU_CYCLE_1) | instskip(NEXT) | instid1(SALU_CYCLE_1)
	s_and_b32 s0, exec_lo, s0
	s_or_b32 s6, s0, s6
	s_delay_alu instid0(SALU_CYCLE_1)
	s_and_not1_b32 exec_lo, exec_lo, s6
	s_cbranch_execnz .LBB0_240
; %bb.245:                              ;   in Loop: Header=BB0_240 Depth=2
	s_or_b32 exec_lo, exec_lo, s6
	s_wait_loadcnt 0x0
	v_dual_mov_b32 v7, v8 :: v_dual_mov_b32 v1, 0
	s_mov_b32 s6, 0
	s_delay_alu instid0(VALU_DEP_1) | instskip(SKIP_1) | instid1(SALU_CYCLE_1)
	v_cmp_eq_u64_e32 vcc_lo, s[4:5], v[6:7]
	s_or_b32 s1, vcc_lo, s1
	s_and_not1_b32 exec_lo, exec_lo, s1
	s_cbranch_execnz .LBB0_240
; %bb.246:                              ;   in Loop: Header=BB0_1 Depth=1
	s_or_b32 exec_lo, exec_lo, s1
	s_add_co_i32 s4, s2, 35
	s_mov_b32 s1, s3
	s_bfe_u32 s0, s4, 0x100003
	v_dual_mov_b32 v2, s4 :: v_dual_mov_b32 v3, s4
	s_mulk_i32 s0, 0x20c5
	v_dual_mov_b32 v5, s4 :: v_dual_mov_b32 v1, 0
	s_lshr_b32 s0, s0, 20
	s_mov_b32 s5, s3
	s_mulk_i32 s0, 0x3e8
	s_delay_alu instid0(SALU_CYCLE_1) | instskip(NEXT) | instid1(SALU_CYCLE_1)
	s_sub_co_i32 s0, s4, s0
	s_and_b32 s0, s0, 0xffff
	s_delay_alu instid0(SALU_CYCLE_1) | instskip(NEXT) | instid1(SALU_CYCLE_1)
	s_lshl_b32 s0, s0, 12
	v_add_nc_u64_e32 v[6:7], s[0:1], v[10:11]
	v_add_nc_u64_e32 v[14:15], s[0:1], v[12:13]
	s_mov_b32 s1, 0
	global_store_b128 v[6:7], v[2:5], off th:TH_STORE_NT
.LBB0_247:                              ;   Parent Loop BB0_1 Depth=1
                                        ; =>  This Inner Loop Header: Depth=2
	s_wait_loadcnt 0x0
	global_load_b128 v[6:9], v[14:15], off th:TH_LOAD_NT
	v_add_nc_u32_e32 v1, 1, v1
	s_mov_b32 s0, -1
	s_mov_b32 s7, -1
	s_mov_b32 s12, exec_lo
	s_wait_xcnt 0x0
	v_cmpx_eq_u32_e32 0xf4240, v1
	s_cbranch_execz .LBB0_249
; %bb.248:                              ;   in Loop: Header=BB0_247 Depth=2
	s_wait_loadcnt 0x0
	s_wait_storecnt 0x0
	global_load_b32 v1, v4, s[10:11] scope:SCOPE_SYS
	s_wait_loadcnt 0x0
	global_inv scope:SCOPE_SYS
	v_cmp_eq_u32_e32 vcc_lo, 0, v1
	v_mov_b32_e32 v1, 0
	s_or_not1_b32 s7, vcc_lo, exec_lo
.LBB0_249:                              ;   in Loop: Header=BB0_247 Depth=2
	s_wait_xcnt 0x0
	s_or_b32 exec_lo, exec_lo, s12
	s_and_saveexec_b32 s12, s7
	s_cbranch_execz .LBB0_251
; %bb.250:                              ;   in Loop: Header=BB0_247 Depth=2
	s_wait_loadcnt 0x0
	v_cmp_eq_u32_e32 vcc_lo, s4, v7
	v_cmp_eq_u32_e64 s0, s4, v9
	s_and_b32 s0, vcc_lo, s0
	s_delay_alu instid0(SALU_CYCLE_1)
	s_or_not1_b32 s0, s0, exec_lo
.LBB0_251:                              ;   in Loop: Header=BB0_247 Depth=2
	s_or_b32 exec_lo, exec_lo, s12
	s_delay_alu instid0(SALU_CYCLE_1) | instskip(NEXT) | instid1(SALU_CYCLE_1)
	s_and_b32 s0, exec_lo, s0
	s_or_b32 s6, s0, s6
	s_delay_alu instid0(SALU_CYCLE_1)
	s_and_not1_b32 exec_lo, exec_lo, s6
	s_cbranch_execnz .LBB0_247
; %bb.252:                              ;   in Loop: Header=BB0_247 Depth=2
	s_or_b32 exec_lo, exec_lo, s6
	s_wait_loadcnt 0x0
	v_dual_mov_b32 v7, v8 :: v_dual_mov_b32 v1, 0
	s_mov_b32 s6, 0
	s_delay_alu instid0(VALU_DEP_1) | instskip(SKIP_1) | instid1(SALU_CYCLE_1)
	v_cmp_eq_u64_e32 vcc_lo, s[4:5], v[6:7]
	s_or_b32 s1, vcc_lo, s1
	s_and_not1_b32 exec_lo, exec_lo, s1
	s_cbranch_execnz .LBB0_247
; %bb.253:                              ;   in Loop: Header=BB0_1 Depth=1
	s_or_b32 exec_lo, exec_lo, s1
	s_add_co_i32 s4, s2, 36
	s_mov_b32 s1, s3
	s_bfe_u32 s0, s4, 0x100003
	v_dual_mov_b32 v2, s4 :: v_dual_mov_b32 v3, s4
	s_mulk_i32 s0, 0x20c5
	v_dual_mov_b32 v5, s4 :: v_dual_mov_b32 v1, 0
	s_lshr_b32 s0, s0, 20
	s_mov_b32 s5, s3
	s_mulk_i32 s0, 0x3e8
	s_delay_alu instid0(SALU_CYCLE_1) | instskip(NEXT) | instid1(SALU_CYCLE_1)
	s_sub_co_i32 s0, s4, s0
	s_and_b32 s0, s0, 0xffff
	s_delay_alu instid0(SALU_CYCLE_1) | instskip(NEXT) | instid1(SALU_CYCLE_1)
	s_lshl_b32 s0, s0, 12
	v_add_nc_u64_e32 v[6:7], s[0:1], v[10:11]
	v_add_nc_u64_e32 v[14:15], s[0:1], v[12:13]
	s_mov_b32 s1, 0
	global_store_b128 v[6:7], v[2:5], off th:TH_STORE_NT
.LBB0_254:                              ;   Parent Loop BB0_1 Depth=1
                                        ; =>  This Inner Loop Header: Depth=2
	s_wait_loadcnt 0x0
	global_load_b128 v[6:9], v[14:15], off th:TH_LOAD_NT
	v_add_nc_u32_e32 v1, 1, v1
	s_mov_b32 s0, -1
	s_mov_b32 s7, -1
	s_mov_b32 s12, exec_lo
	s_wait_xcnt 0x0
	v_cmpx_eq_u32_e32 0xf4240, v1
	s_cbranch_execz .LBB0_256
; %bb.255:                              ;   in Loop: Header=BB0_254 Depth=2
	s_wait_loadcnt 0x0
	s_wait_storecnt 0x0
	global_load_b32 v1, v4, s[10:11] scope:SCOPE_SYS
	s_wait_loadcnt 0x0
	global_inv scope:SCOPE_SYS
	v_cmp_eq_u32_e32 vcc_lo, 0, v1
	v_mov_b32_e32 v1, 0
	s_or_not1_b32 s7, vcc_lo, exec_lo
.LBB0_256:                              ;   in Loop: Header=BB0_254 Depth=2
	s_wait_xcnt 0x0
	s_or_b32 exec_lo, exec_lo, s12
	s_and_saveexec_b32 s12, s7
	s_cbranch_execz .LBB0_258
; %bb.257:                              ;   in Loop: Header=BB0_254 Depth=2
	s_wait_loadcnt 0x0
	v_cmp_eq_u32_e32 vcc_lo, s4, v7
	v_cmp_eq_u32_e64 s0, s4, v9
	s_and_b32 s0, vcc_lo, s0
	s_delay_alu instid0(SALU_CYCLE_1)
	s_or_not1_b32 s0, s0, exec_lo
.LBB0_258:                              ;   in Loop: Header=BB0_254 Depth=2
	s_or_b32 exec_lo, exec_lo, s12
	s_delay_alu instid0(SALU_CYCLE_1) | instskip(NEXT) | instid1(SALU_CYCLE_1)
	s_and_b32 s0, exec_lo, s0
	s_or_b32 s6, s0, s6
	s_delay_alu instid0(SALU_CYCLE_1)
	s_and_not1_b32 exec_lo, exec_lo, s6
	s_cbranch_execnz .LBB0_254
; %bb.259:                              ;   in Loop: Header=BB0_254 Depth=2
	s_or_b32 exec_lo, exec_lo, s6
	s_wait_loadcnt 0x0
	v_dual_mov_b32 v7, v8 :: v_dual_mov_b32 v1, 0
	s_mov_b32 s6, 0
	s_delay_alu instid0(VALU_DEP_1) | instskip(SKIP_1) | instid1(SALU_CYCLE_1)
	v_cmp_eq_u64_e32 vcc_lo, s[4:5], v[6:7]
	s_or_b32 s1, vcc_lo, s1
	s_and_not1_b32 exec_lo, exec_lo, s1
	s_cbranch_execnz .LBB0_254
; %bb.260:                              ;   in Loop: Header=BB0_1 Depth=1
	s_or_b32 exec_lo, exec_lo, s1
	s_add_co_i32 s4, s2, 37
	s_mov_b32 s1, s3
	s_bfe_u32 s0, s4, 0x100003
	v_dual_mov_b32 v2, s4 :: v_dual_mov_b32 v3, s4
	s_mulk_i32 s0, 0x20c5
	v_dual_mov_b32 v5, s4 :: v_dual_mov_b32 v1, 0
	s_lshr_b32 s0, s0, 20
	s_mov_b32 s5, s3
	s_mulk_i32 s0, 0x3e8
	s_delay_alu instid0(SALU_CYCLE_1) | instskip(NEXT) | instid1(SALU_CYCLE_1)
	s_sub_co_i32 s0, s4, s0
	s_and_b32 s0, s0, 0xffff
	s_delay_alu instid0(SALU_CYCLE_1) | instskip(NEXT) | instid1(SALU_CYCLE_1)
	s_lshl_b32 s0, s0, 12
	v_add_nc_u64_e32 v[6:7], s[0:1], v[10:11]
	v_add_nc_u64_e32 v[14:15], s[0:1], v[12:13]
	s_mov_b32 s1, 0
	global_store_b128 v[6:7], v[2:5], off th:TH_STORE_NT
.LBB0_261:                              ;   Parent Loop BB0_1 Depth=1
                                        ; =>  This Inner Loop Header: Depth=2
	s_wait_loadcnt 0x0
	global_load_b128 v[6:9], v[14:15], off th:TH_LOAD_NT
	v_add_nc_u32_e32 v1, 1, v1
	s_mov_b32 s0, -1
	s_mov_b32 s7, -1
	s_mov_b32 s12, exec_lo
	s_wait_xcnt 0x0
	v_cmpx_eq_u32_e32 0xf4240, v1
	s_cbranch_execz .LBB0_263
; %bb.262:                              ;   in Loop: Header=BB0_261 Depth=2
	s_wait_loadcnt 0x0
	s_wait_storecnt 0x0
	global_load_b32 v1, v4, s[10:11] scope:SCOPE_SYS
	s_wait_loadcnt 0x0
	global_inv scope:SCOPE_SYS
	v_cmp_eq_u32_e32 vcc_lo, 0, v1
	v_mov_b32_e32 v1, 0
	s_or_not1_b32 s7, vcc_lo, exec_lo
.LBB0_263:                              ;   in Loop: Header=BB0_261 Depth=2
	s_wait_xcnt 0x0
	s_or_b32 exec_lo, exec_lo, s12
	s_and_saveexec_b32 s12, s7
	s_cbranch_execz .LBB0_265
; %bb.264:                              ;   in Loop: Header=BB0_261 Depth=2
	s_wait_loadcnt 0x0
	v_cmp_eq_u32_e32 vcc_lo, s4, v7
	v_cmp_eq_u32_e64 s0, s4, v9
	s_and_b32 s0, vcc_lo, s0
	s_delay_alu instid0(SALU_CYCLE_1)
	s_or_not1_b32 s0, s0, exec_lo
.LBB0_265:                              ;   in Loop: Header=BB0_261 Depth=2
	s_or_b32 exec_lo, exec_lo, s12
	s_delay_alu instid0(SALU_CYCLE_1) | instskip(NEXT) | instid1(SALU_CYCLE_1)
	s_and_b32 s0, exec_lo, s0
	s_or_b32 s6, s0, s6
	s_delay_alu instid0(SALU_CYCLE_1)
	s_and_not1_b32 exec_lo, exec_lo, s6
	s_cbranch_execnz .LBB0_261
; %bb.266:                              ;   in Loop: Header=BB0_261 Depth=2
	s_or_b32 exec_lo, exec_lo, s6
	s_wait_loadcnt 0x0
	v_dual_mov_b32 v7, v8 :: v_dual_mov_b32 v1, 0
	s_mov_b32 s6, 0
	s_delay_alu instid0(VALU_DEP_1) | instskip(SKIP_1) | instid1(SALU_CYCLE_1)
	v_cmp_eq_u64_e32 vcc_lo, s[4:5], v[6:7]
	s_or_b32 s1, vcc_lo, s1
	s_and_not1_b32 exec_lo, exec_lo, s1
	s_cbranch_execnz .LBB0_261
; %bb.267:                              ;   in Loop: Header=BB0_1 Depth=1
	s_or_b32 exec_lo, exec_lo, s1
	s_add_co_i32 s4, s2, 38
	s_mov_b32 s1, s3
	s_bfe_u32 s0, s4, 0x100003
	v_dual_mov_b32 v2, s4 :: v_dual_mov_b32 v3, s4
	s_mulk_i32 s0, 0x20c5
	v_dual_mov_b32 v5, s4 :: v_dual_mov_b32 v1, 0
	s_lshr_b32 s0, s0, 20
	s_mov_b32 s5, s3
	s_mulk_i32 s0, 0x3e8
	s_delay_alu instid0(SALU_CYCLE_1) | instskip(NEXT) | instid1(SALU_CYCLE_1)
	s_sub_co_i32 s0, s4, s0
	s_and_b32 s0, s0, 0xffff
	s_delay_alu instid0(SALU_CYCLE_1) | instskip(NEXT) | instid1(SALU_CYCLE_1)
	s_lshl_b32 s0, s0, 12
	v_add_nc_u64_e32 v[6:7], s[0:1], v[10:11]
	v_add_nc_u64_e32 v[14:15], s[0:1], v[12:13]
	s_mov_b32 s1, 0
	global_store_b128 v[6:7], v[2:5], off th:TH_STORE_NT
.LBB0_268:                              ;   Parent Loop BB0_1 Depth=1
                                        ; =>  This Inner Loop Header: Depth=2
	s_wait_loadcnt 0x0
	global_load_b128 v[6:9], v[14:15], off th:TH_LOAD_NT
	v_add_nc_u32_e32 v1, 1, v1
	s_mov_b32 s0, -1
	s_mov_b32 s7, -1
	s_mov_b32 s12, exec_lo
	s_wait_xcnt 0x0
	v_cmpx_eq_u32_e32 0xf4240, v1
	s_cbranch_execz .LBB0_270
; %bb.269:                              ;   in Loop: Header=BB0_268 Depth=2
	s_wait_loadcnt 0x0
	s_wait_storecnt 0x0
	global_load_b32 v1, v4, s[10:11] scope:SCOPE_SYS
	s_wait_loadcnt 0x0
	global_inv scope:SCOPE_SYS
	v_cmp_eq_u32_e32 vcc_lo, 0, v1
	v_mov_b32_e32 v1, 0
	s_or_not1_b32 s7, vcc_lo, exec_lo
.LBB0_270:                              ;   in Loop: Header=BB0_268 Depth=2
	s_wait_xcnt 0x0
	s_or_b32 exec_lo, exec_lo, s12
	s_and_saveexec_b32 s12, s7
	s_cbranch_execz .LBB0_272
; %bb.271:                              ;   in Loop: Header=BB0_268 Depth=2
	s_wait_loadcnt 0x0
	v_cmp_eq_u32_e32 vcc_lo, s4, v7
	v_cmp_eq_u32_e64 s0, s4, v9
	s_and_b32 s0, vcc_lo, s0
	s_delay_alu instid0(SALU_CYCLE_1)
	s_or_not1_b32 s0, s0, exec_lo
.LBB0_272:                              ;   in Loop: Header=BB0_268 Depth=2
	s_or_b32 exec_lo, exec_lo, s12
	s_delay_alu instid0(SALU_CYCLE_1) | instskip(NEXT) | instid1(SALU_CYCLE_1)
	s_and_b32 s0, exec_lo, s0
	s_or_b32 s6, s0, s6
	s_delay_alu instid0(SALU_CYCLE_1)
	s_and_not1_b32 exec_lo, exec_lo, s6
	s_cbranch_execnz .LBB0_268
; %bb.273:                              ;   in Loop: Header=BB0_268 Depth=2
	s_or_b32 exec_lo, exec_lo, s6
	s_wait_loadcnt 0x0
	v_dual_mov_b32 v7, v8 :: v_dual_mov_b32 v1, 0
	s_mov_b32 s6, 0
	s_delay_alu instid0(VALU_DEP_1) | instskip(SKIP_1) | instid1(SALU_CYCLE_1)
	v_cmp_eq_u64_e32 vcc_lo, s[4:5], v[6:7]
	s_or_b32 s1, vcc_lo, s1
	s_and_not1_b32 exec_lo, exec_lo, s1
	s_cbranch_execnz .LBB0_268
; %bb.274:                              ;   in Loop: Header=BB0_1 Depth=1
	s_or_b32 exec_lo, exec_lo, s1
	s_add_co_i32 s4, s2, 39
	s_mov_b32 s1, s3
	s_bfe_u32 s0, s4, 0x100003
	v_dual_mov_b32 v2, s4 :: v_dual_mov_b32 v3, s4
	s_mulk_i32 s0, 0x20c5
	v_dual_mov_b32 v5, s4 :: v_dual_mov_b32 v1, 0
	s_lshr_b32 s0, s0, 20
	s_mov_b32 s5, s3
	s_mulk_i32 s0, 0x3e8
	s_delay_alu instid0(SALU_CYCLE_1) | instskip(NEXT) | instid1(SALU_CYCLE_1)
	s_sub_co_i32 s0, s4, s0
	s_and_b32 s0, s0, 0xffff
	s_delay_alu instid0(SALU_CYCLE_1) | instskip(NEXT) | instid1(SALU_CYCLE_1)
	s_lshl_b32 s0, s0, 12
	v_add_nc_u64_e32 v[6:7], s[0:1], v[10:11]
	v_add_nc_u64_e32 v[14:15], s[0:1], v[12:13]
	s_mov_b32 s1, 0
	global_store_b128 v[6:7], v[2:5], off th:TH_STORE_NT
.LBB0_275:                              ;   Parent Loop BB0_1 Depth=1
                                        ; =>  This Inner Loop Header: Depth=2
	s_wait_loadcnt 0x0
	global_load_b128 v[6:9], v[14:15], off th:TH_LOAD_NT
	v_add_nc_u32_e32 v1, 1, v1
	s_mov_b32 s0, -1
	s_mov_b32 s7, -1
	s_mov_b32 s12, exec_lo
	s_wait_xcnt 0x0
	v_cmpx_eq_u32_e32 0xf4240, v1
	s_cbranch_execz .LBB0_277
; %bb.276:                              ;   in Loop: Header=BB0_275 Depth=2
	s_wait_loadcnt 0x0
	s_wait_storecnt 0x0
	global_load_b32 v1, v4, s[10:11] scope:SCOPE_SYS
	s_wait_loadcnt 0x0
	global_inv scope:SCOPE_SYS
	v_cmp_eq_u32_e32 vcc_lo, 0, v1
	v_mov_b32_e32 v1, 0
	s_or_not1_b32 s7, vcc_lo, exec_lo
.LBB0_277:                              ;   in Loop: Header=BB0_275 Depth=2
	s_wait_xcnt 0x0
	s_or_b32 exec_lo, exec_lo, s12
	s_and_saveexec_b32 s12, s7
	s_cbranch_execz .LBB0_279
; %bb.278:                              ;   in Loop: Header=BB0_275 Depth=2
	s_wait_loadcnt 0x0
	v_cmp_eq_u32_e32 vcc_lo, s4, v7
	v_cmp_eq_u32_e64 s0, s4, v9
	s_and_b32 s0, vcc_lo, s0
	s_delay_alu instid0(SALU_CYCLE_1)
	s_or_not1_b32 s0, s0, exec_lo
.LBB0_279:                              ;   in Loop: Header=BB0_275 Depth=2
	s_or_b32 exec_lo, exec_lo, s12
	s_delay_alu instid0(SALU_CYCLE_1) | instskip(NEXT) | instid1(SALU_CYCLE_1)
	s_and_b32 s0, exec_lo, s0
	s_or_b32 s6, s0, s6
	s_delay_alu instid0(SALU_CYCLE_1)
	s_and_not1_b32 exec_lo, exec_lo, s6
	s_cbranch_execnz .LBB0_275
; %bb.280:                              ;   in Loop: Header=BB0_275 Depth=2
	s_or_b32 exec_lo, exec_lo, s6
	s_wait_loadcnt 0x0
	v_dual_mov_b32 v7, v8 :: v_dual_mov_b32 v1, 0
	s_mov_b32 s6, 0
	s_delay_alu instid0(VALU_DEP_1) | instskip(SKIP_1) | instid1(SALU_CYCLE_1)
	v_cmp_eq_u64_e32 vcc_lo, s[4:5], v[6:7]
	s_or_b32 s1, vcc_lo, s1
	s_and_not1_b32 exec_lo, exec_lo, s1
	s_cbranch_execnz .LBB0_275
; %bb.281:                              ;   in Loop: Header=BB0_1 Depth=1
	s_or_b32 exec_lo, exec_lo, s1
	s_add_co_i32 s4, s2, 40
	s_mov_b32 s1, s3
	s_bfe_u32 s0, s4, 0x100003
	v_dual_mov_b32 v2, s4 :: v_dual_mov_b32 v3, s4
	s_mulk_i32 s0, 0x20c5
	v_dual_mov_b32 v5, s4 :: v_dual_mov_b32 v1, 0
	s_lshr_b32 s0, s0, 20
	s_mov_b32 s5, s3
	s_mulk_i32 s0, 0x3e8
	s_delay_alu instid0(SALU_CYCLE_1) | instskip(NEXT) | instid1(SALU_CYCLE_1)
	s_sub_co_i32 s0, s4, s0
	s_and_b32 s0, s0, 0xffff
	s_delay_alu instid0(SALU_CYCLE_1) | instskip(NEXT) | instid1(SALU_CYCLE_1)
	s_lshl_b32 s0, s0, 12
	v_add_nc_u64_e32 v[6:7], s[0:1], v[10:11]
	v_add_nc_u64_e32 v[14:15], s[0:1], v[12:13]
	s_mov_b32 s1, 0
	global_store_b128 v[6:7], v[2:5], off th:TH_STORE_NT
.LBB0_282:                              ;   Parent Loop BB0_1 Depth=1
                                        ; =>  This Inner Loop Header: Depth=2
	s_wait_loadcnt 0x0
	global_load_b128 v[6:9], v[14:15], off th:TH_LOAD_NT
	v_add_nc_u32_e32 v1, 1, v1
	s_mov_b32 s0, -1
	s_mov_b32 s7, -1
	s_mov_b32 s12, exec_lo
	s_wait_xcnt 0x0
	v_cmpx_eq_u32_e32 0xf4240, v1
	s_cbranch_execz .LBB0_284
; %bb.283:                              ;   in Loop: Header=BB0_282 Depth=2
	s_wait_loadcnt 0x0
	s_wait_storecnt 0x0
	global_load_b32 v1, v4, s[10:11] scope:SCOPE_SYS
	s_wait_loadcnt 0x0
	global_inv scope:SCOPE_SYS
	v_cmp_eq_u32_e32 vcc_lo, 0, v1
	v_mov_b32_e32 v1, 0
	s_or_not1_b32 s7, vcc_lo, exec_lo
.LBB0_284:                              ;   in Loop: Header=BB0_282 Depth=2
	s_wait_xcnt 0x0
	s_or_b32 exec_lo, exec_lo, s12
	s_and_saveexec_b32 s12, s7
	s_cbranch_execz .LBB0_286
; %bb.285:                              ;   in Loop: Header=BB0_282 Depth=2
	s_wait_loadcnt 0x0
	v_cmp_eq_u32_e32 vcc_lo, s4, v7
	v_cmp_eq_u32_e64 s0, s4, v9
	s_and_b32 s0, vcc_lo, s0
	s_delay_alu instid0(SALU_CYCLE_1)
	s_or_not1_b32 s0, s0, exec_lo
.LBB0_286:                              ;   in Loop: Header=BB0_282 Depth=2
	s_or_b32 exec_lo, exec_lo, s12
	s_delay_alu instid0(SALU_CYCLE_1) | instskip(NEXT) | instid1(SALU_CYCLE_1)
	s_and_b32 s0, exec_lo, s0
	s_or_b32 s6, s0, s6
	s_delay_alu instid0(SALU_CYCLE_1)
	s_and_not1_b32 exec_lo, exec_lo, s6
	s_cbranch_execnz .LBB0_282
; %bb.287:                              ;   in Loop: Header=BB0_282 Depth=2
	s_or_b32 exec_lo, exec_lo, s6
	s_wait_loadcnt 0x0
	v_dual_mov_b32 v7, v8 :: v_dual_mov_b32 v1, 0
	s_mov_b32 s6, 0
	s_delay_alu instid0(VALU_DEP_1) | instskip(SKIP_1) | instid1(SALU_CYCLE_1)
	v_cmp_eq_u64_e32 vcc_lo, s[4:5], v[6:7]
	s_or_b32 s1, vcc_lo, s1
	s_and_not1_b32 exec_lo, exec_lo, s1
	s_cbranch_execnz .LBB0_282
; %bb.288:                              ;   in Loop: Header=BB0_1 Depth=1
	s_or_b32 exec_lo, exec_lo, s1
	s_add_co_i32 s4, s2, 41
	s_mov_b32 s1, s3
	s_bfe_u32 s0, s4, 0x100003
	v_dual_mov_b32 v2, s4 :: v_dual_mov_b32 v3, s4
	s_mulk_i32 s0, 0x20c5
	v_dual_mov_b32 v5, s4 :: v_dual_mov_b32 v1, 0
	s_lshr_b32 s0, s0, 20
	s_mov_b32 s5, s3
	s_mulk_i32 s0, 0x3e8
	s_delay_alu instid0(SALU_CYCLE_1) | instskip(NEXT) | instid1(SALU_CYCLE_1)
	s_sub_co_i32 s0, s4, s0
	s_and_b32 s0, s0, 0xffff
	s_delay_alu instid0(SALU_CYCLE_1) | instskip(NEXT) | instid1(SALU_CYCLE_1)
	s_lshl_b32 s0, s0, 12
	v_add_nc_u64_e32 v[6:7], s[0:1], v[10:11]
	v_add_nc_u64_e32 v[14:15], s[0:1], v[12:13]
	s_mov_b32 s1, 0
	global_store_b128 v[6:7], v[2:5], off th:TH_STORE_NT
.LBB0_289:                              ;   Parent Loop BB0_1 Depth=1
                                        ; =>  This Inner Loop Header: Depth=2
	s_wait_loadcnt 0x0
	global_load_b128 v[6:9], v[14:15], off th:TH_LOAD_NT
	v_add_nc_u32_e32 v1, 1, v1
	s_mov_b32 s0, -1
	s_mov_b32 s7, -1
	s_mov_b32 s12, exec_lo
	s_wait_xcnt 0x0
	v_cmpx_eq_u32_e32 0xf4240, v1
	s_cbranch_execz .LBB0_291
; %bb.290:                              ;   in Loop: Header=BB0_289 Depth=2
	s_wait_loadcnt 0x0
	s_wait_storecnt 0x0
	global_load_b32 v1, v4, s[10:11] scope:SCOPE_SYS
	s_wait_loadcnt 0x0
	global_inv scope:SCOPE_SYS
	v_cmp_eq_u32_e32 vcc_lo, 0, v1
	v_mov_b32_e32 v1, 0
	s_or_not1_b32 s7, vcc_lo, exec_lo
.LBB0_291:                              ;   in Loop: Header=BB0_289 Depth=2
	s_wait_xcnt 0x0
	s_or_b32 exec_lo, exec_lo, s12
	s_and_saveexec_b32 s12, s7
	s_cbranch_execz .LBB0_293
; %bb.292:                              ;   in Loop: Header=BB0_289 Depth=2
	s_wait_loadcnt 0x0
	v_cmp_eq_u32_e32 vcc_lo, s4, v7
	v_cmp_eq_u32_e64 s0, s4, v9
	s_and_b32 s0, vcc_lo, s0
	s_delay_alu instid0(SALU_CYCLE_1)
	s_or_not1_b32 s0, s0, exec_lo
.LBB0_293:                              ;   in Loop: Header=BB0_289 Depth=2
	s_or_b32 exec_lo, exec_lo, s12
	s_delay_alu instid0(SALU_CYCLE_1) | instskip(NEXT) | instid1(SALU_CYCLE_1)
	s_and_b32 s0, exec_lo, s0
	s_or_b32 s6, s0, s6
	s_delay_alu instid0(SALU_CYCLE_1)
	s_and_not1_b32 exec_lo, exec_lo, s6
	s_cbranch_execnz .LBB0_289
; %bb.294:                              ;   in Loop: Header=BB0_289 Depth=2
	s_or_b32 exec_lo, exec_lo, s6
	s_wait_loadcnt 0x0
	v_dual_mov_b32 v7, v8 :: v_dual_mov_b32 v1, 0
	s_mov_b32 s6, 0
	s_delay_alu instid0(VALU_DEP_1) | instskip(SKIP_1) | instid1(SALU_CYCLE_1)
	v_cmp_eq_u64_e32 vcc_lo, s[4:5], v[6:7]
	s_or_b32 s1, vcc_lo, s1
	s_and_not1_b32 exec_lo, exec_lo, s1
	s_cbranch_execnz .LBB0_289
; %bb.295:                              ;   in Loop: Header=BB0_1 Depth=1
	s_or_b32 exec_lo, exec_lo, s1
	s_add_co_i32 s4, s2, 42
	s_mov_b32 s1, s3
	s_bfe_u32 s0, s4, 0x100003
	v_dual_mov_b32 v2, s4 :: v_dual_mov_b32 v3, s4
	s_mulk_i32 s0, 0x20c5
	v_dual_mov_b32 v5, s4 :: v_dual_mov_b32 v1, 0
	s_lshr_b32 s0, s0, 20
	s_mov_b32 s5, s3
	s_mulk_i32 s0, 0x3e8
	s_delay_alu instid0(SALU_CYCLE_1) | instskip(NEXT) | instid1(SALU_CYCLE_1)
	s_sub_co_i32 s0, s4, s0
	s_and_b32 s0, s0, 0xffff
	s_delay_alu instid0(SALU_CYCLE_1) | instskip(NEXT) | instid1(SALU_CYCLE_1)
	s_lshl_b32 s0, s0, 12
	v_add_nc_u64_e32 v[6:7], s[0:1], v[10:11]
	v_add_nc_u64_e32 v[14:15], s[0:1], v[12:13]
	s_mov_b32 s1, 0
	global_store_b128 v[6:7], v[2:5], off th:TH_STORE_NT
.LBB0_296:                              ;   Parent Loop BB0_1 Depth=1
                                        ; =>  This Inner Loop Header: Depth=2
	s_wait_loadcnt 0x0
	global_load_b128 v[6:9], v[14:15], off th:TH_LOAD_NT
	v_add_nc_u32_e32 v1, 1, v1
	s_mov_b32 s0, -1
	s_mov_b32 s7, -1
	s_mov_b32 s12, exec_lo
	s_wait_xcnt 0x0
	v_cmpx_eq_u32_e32 0xf4240, v1
	s_cbranch_execz .LBB0_298
; %bb.297:                              ;   in Loop: Header=BB0_296 Depth=2
	s_wait_loadcnt 0x0
	s_wait_storecnt 0x0
	global_load_b32 v1, v4, s[10:11] scope:SCOPE_SYS
	s_wait_loadcnt 0x0
	global_inv scope:SCOPE_SYS
	v_cmp_eq_u32_e32 vcc_lo, 0, v1
	v_mov_b32_e32 v1, 0
	s_or_not1_b32 s7, vcc_lo, exec_lo
.LBB0_298:                              ;   in Loop: Header=BB0_296 Depth=2
	s_wait_xcnt 0x0
	s_or_b32 exec_lo, exec_lo, s12
	s_and_saveexec_b32 s12, s7
	s_cbranch_execz .LBB0_300
; %bb.299:                              ;   in Loop: Header=BB0_296 Depth=2
	s_wait_loadcnt 0x0
	v_cmp_eq_u32_e32 vcc_lo, s4, v7
	v_cmp_eq_u32_e64 s0, s4, v9
	s_and_b32 s0, vcc_lo, s0
	s_delay_alu instid0(SALU_CYCLE_1)
	s_or_not1_b32 s0, s0, exec_lo
.LBB0_300:                              ;   in Loop: Header=BB0_296 Depth=2
	s_or_b32 exec_lo, exec_lo, s12
	s_delay_alu instid0(SALU_CYCLE_1) | instskip(NEXT) | instid1(SALU_CYCLE_1)
	s_and_b32 s0, exec_lo, s0
	s_or_b32 s6, s0, s6
	s_delay_alu instid0(SALU_CYCLE_1)
	s_and_not1_b32 exec_lo, exec_lo, s6
	s_cbranch_execnz .LBB0_296
; %bb.301:                              ;   in Loop: Header=BB0_296 Depth=2
	s_or_b32 exec_lo, exec_lo, s6
	s_wait_loadcnt 0x0
	v_dual_mov_b32 v7, v8 :: v_dual_mov_b32 v1, 0
	s_mov_b32 s6, 0
	s_delay_alu instid0(VALU_DEP_1) | instskip(SKIP_1) | instid1(SALU_CYCLE_1)
	v_cmp_eq_u64_e32 vcc_lo, s[4:5], v[6:7]
	s_or_b32 s1, vcc_lo, s1
	s_and_not1_b32 exec_lo, exec_lo, s1
	s_cbranch_execnz .LBB0_296
; %bb.302:                              ;   in Loop: Header=BB0_1 Depth=1
	s_or_b32 exec_lo, exec_lo, s1
	s_add_co_i32 s4, s2, 43
	s_mov_b32 s1, s3
	s_bfe_u32 s0, s4, 0x100003
	v_dual_mov_b32 v2, s4 :: v_dual_mov_b32 v3, s4
	s_mulk_i32 s0, 0x20c5
	v_dual_mov_b32 v5, s4 :: v_dual_mov_b32 v1, 0
	s_lshr_b32 s0, s0, 20
	s_mov_b32 s5, s3
	s_mulk_i32 s0, 0x3e8
	s_delay_alu instid0(SALU_CYCLE_1) | instskip(NEXT) | instid1(SALU_CYCLE_1)
	s_sub_co_i32 s0, s4, s0
	s_and_b32 s0, s0, 0xffff
	s_delay_alu instid0(SALU_CYCLE_1) | instskip(NEXT) | instid1(SALU_CYCLE_1)
	s_lshl_b32 s0, s0, 12
	v_add_nc_u64_e32 v[6:7], s[0:1], v[10:11]
	v_add_nc_u64_e32 v[14:15], s[0:1], v[12:13]
	s_mov_b32 s1, 0
	global_store_b128 v[6:7], v[2:5], off th:TH_STORE_NT
.LBB0_303:                              ;   Parent Loop BB0_1 Depth=1
                                        ; =>  This Inner Loop Header: Depth=2
	s_wait_loadcnt 0x0
	global_load_b128 v[6:9], v[14:15], off th:TH_LOAD_NT
	v_add_nc_u32_e32 v1, 1, v1
	s_mov_b32 s0, -1
	s_mov_b32 s7, -1
	s_mov_b32 s12, exec_lo
	s_wait_xcnt 0x0
	v_cmpx_eq_u32_e32 0xf4240, v1
	s_cbranch_execz .LBB0_305
; %bb.304:                              ;   in Loop: Header=BB0_303 Depth=2
	s_wait_loadcnt 0x0
	s_wait_storecnt 0x0
	global_load_b32 v1, v4, s[10:11] scope:SCOPE_SYS
	s_wait_loadcnt 0x0
	global_inv scope:SCOPE_SYS
	v_cmp_eq_u32_e32 vcc_lo, 0, v1
	v_mov_b32_e32 v1, 0
	s_or_not1_b32 s7, vcc_lo, exec_lo
.LBB0_305:                              ;   in Loop: Header=BB0_303 Depth=2
	s_wait_xcnt 0x0
	s_or_b32 exec_lo, exec_lo, s12
	s_and_saveexec_b32 s12, s7
	s_cbranch_execz .LBB0_307
; %bb.306:                              ;   in Loop: Header=BB0_303 Depth=2
	s_wait_loadcnt 0x0
	v_cmp_eq_u32_e32 vcc_lo, s4, v7
	v_cmp_eq_u32_e64 s0, s4, v9
	s_and_b32 s0, vcc_lo, s0
	s_delay_alu instid0(SALU_CYCLE_1)
	s_or_not1_b32 s0, s0, exec_lo
.LBB0_307:                              ;   in Loop: Header=BB0_303 Depth=2
	s_or_b32 exec_lo, exec_lo, s12
	s_delay_alu instid0(SALU_CYCLE_1) | instskip(NEXT) | instid1(SALU_CYCLE_1)
	s_and_b32 s0, exec_lo, s0
	s_or_b32 s6, s0, s6
	s_delay_alu instid0(SALU_CYCLE_1)
	s_and_not1_b32 exec_lo, exec_lo, s6
	s_cbranch_execnz .LBB0_303
; %bb.308:                              ;   in Loop: Header=BB0_303 Depth=2
	s_or_b32 exec_lo, exec_lo, s6
	s_wait_loadcnt 0x0
	v_dual_mov_b32 v7, v8 :: v_dual_mov_b32 v1, 0
	s_mov_b32 s6, 0
	s_delay_alu instid0(VALU_DEP_1) | instskip(SKIP_1) | instid1(SALU_CYCLE_1)
	v_cmp_eq_u64_e32 vcc_lo, s[4:5], v[6:7]
	s_or_b32 s1, vcc_lo, s1
	s_and_not1_b32 exec_lo, exec_lo, s1
	s_cbranch_execnz .LBB0_303
; %bb.309:                              ;   in Loop: Header=BB0_1 Depth=1
	s_or_b32 exec_lo, exec_lo, s1
	s_add_co_i32 s4, s2, 44
	s_mov_b32 s1, s3
	s_bfe_u32 s0, s4, 0x100003
	v_dual_mov_b32 v2, s4 :: v_dual_mov_b32 v3, s4
	s_mulk_i32 s0, 0x20c5
	v_dual_mov_b32 v5, s4 :: v_dual_mov_b32 v1, 0
	s_lshr_b32 s0, s0, 20
	s_mov_b32 s5, s3
	s_mulk_i32 s0, 0x3e8
	s_delay_alu instid0(SALU_CYCLE_1) | instskip(NEXT) | instid1(SALU_CYCLE_1)
	s_sub_co_i32 s0, s4, s0
	s_and_b32 s0, s0, 0xffff
	s_delay_alu instid0(SALU_CYCLE_1) | instskip(NEXT) | instid1(SALU_CYCLE_1)
	s_lshl_b32 s0, s0, 12
	v_add_nc_u64_e32 v[6:7], s[0:1], v[10:11]
	v_add_nc_u64_e32 v[14:15], s[0:1], v[12:13]
	s_mov_b32 s1, 0
	global_store_b128 v[6:7], v[2:5], off th:TH_STORE_NT
.LBB0_310:                              ;   Parent Loop BB0_1 Depth=1
                                        ; =>  This Inner Loop Header: Depth=2
	s_wait_loadcnt 0x0
	global_load_b128 v[6:9], v[14:15], off th:TH_LOAD_NT
	v_add_nc_u32_e32 v1, 1, v1
	s_mov_b32 s0, -1
	s_mov_b32 s7, -1
	s_mov_b32 s12, exec_lo
	s_wait_xcnt 0x0
	v_cmpx_eq_u32_e32 0xf4240, v1
	s_cbranch_execz .LBB0_312
; %bb.311:                              ;   in Loop: Header=BB0_310 Depth=2
	s_wait_loadcnt 0x0
	s_wait_storecnt 0x0
	global_load_b32 v1, v4, s[10:11] scope:SCOPE_SYS
	s_wait_loadcnt 0x0
	global_inv scope:SCOPE_SYS
	v_cmp_eq_u32_e32 vcc_lo, 0, v1
	v_mov_b32_e32 v1, 0
	s_or_not1_b32 s7, vcc_lo, exec_lo
.LBB0_312:                              ;   in Loop: Header=BB0_310 Depth=2
	s_wait_xcnt 0x0
	s_or_b32 exec_lo, exec_lo, s12
	s_and_saveexec_b32 s12, s7
	s_cbranch_execz .LBB0_314
; %bb.313:                              ;   in Loop: Header=BB0_310 Depth=2
	s_wait_loadcnt 0x0
	v_cmp_eq_u32_e32 vcc_lo, s4, v7
	v_cmp_eq_u32_e64 s0, s4, v9
	s_and_b32 s0, vcc_lo, s0
	s_delay_alu instid0(SALU_CYCLE_1)
	s_or_not1_b32 s0, s0, exec_lo
.LBB0_314:                              ;   in Loop: Header=BB0_310 Depth=2
	s_or_b32 exec_lo, exec_lo, s12
	s_delay_alu instid0(SALU_CYCLE_1) | instskip(NEXT) | instid1(SALU_CYCLE_1)
	s_and_b32 s0, exec_lo, s0
	s_or_b32 s6, s0, s6
	s_delay_alu instid0(SALU_CYCLE_1)
	s_and_not1_b32 exec_lo, exec_lo, s6
	s_cbranch_execnz .LBB0_310
; %bb.315:                              ;   in Loop: Header=BB0_310 Depth=2
	s_or_b32 exec_lo, exec_lo, s6
	s_wait_loadcnt 0x0
	v_dual_mov_b32 v7, v8 :: v_dual_mov_b32 v1, 0
	s_mov_b32 s6, 0
	s_delay_alu instid0(VALU_DEP_1) | instskip(SKIP_1) | instid1(SALU_CYCLE_1)
	v_cmp_eq_u64_e32 vcc_lo, s[4:5], v[6:7]
	s_or_b32 s1, vcc_lo, s1
	s_and_not1_b32 exec_lo, exec_lo, s1
	s_cbranch_execnz .LBB0_310
; %bb.316:                              ;   in Loop: Header=BB0_1 Depth=1
	s_or_b32 exec_lo, exec_lo, s1
	s_add_co_i32 s4, s2, 45
	s_mov_b32 s1, s3
	s_bfe_u32 s0, s4, 0x100003
	v_dual_mov_b32 v2, s4 :: v_dual_mov_b32 v3, s4
	s_mulk_i32 s0, 0x20c5
	v_dual_mov_b32 v5, s4 :: v_dual_mov_b32 v1, 0
	s_lshr_b32 s0, s0, 20
	s_mov_b32 s5, s3
	s_mulk_i32 s0, 0x3e8
	s_delay_alu instid0(SALU_CYCLE_1) | instskip(NEXT) | instid1(SALU_CYCLE_1)
	s_sub_co_i32 s0, s4, s0
	s_and_b32 s0, s0, 0xffff
	s_delay_alu instid0(SALU_CYCLE_1) | instskip(NEXT) | instid1(SALU_CYCLE_1)
	s_lshl_b32 s0, s0, 12
	v_add_nc_u64_e32 v[6:7], s[0:1], v[10:11]
	v_add_nc_u64_e32 v[14:15], s[0:1], v[12:13]
	s_mov_b32 s1, 0
	global_store_b128 v[6:7], v[2:5], off th:TH_STORE_NT
.LBB0_317:                              ;   Parent Loop BB0_1 Depth=1
                                        ; =>  This Inner Loop Header: Depth=2
	s_wait_loadcnt 0x0
	global_load_b128 v[6:9], v[14:15], off th:TH_LOAD_NT
	v_add_nc_u32_e32 v1, 1, v1
	s_mov_b32 s0, -1
	s_mov_b32 s7, -1
	s_mov_b32 s12, exec_lo
	s_wait_xcnt 0x0
	v_cmpx_eq_u32_e32 0xf4240, v1
	s_cbranch_execz .LBB0_319
; %bb.318:                              ;   in Loop: Header=BB0_317 Depth=2
	s_wait_loadcnt 0x0
	s_wait_storecnt 0x0
	global_load_b32 v1, v4, s[10:11] scope:SCOPE_SYS
	s_wait_loadcnt 0x0
	global_inv scope:SCOPE_SYS
	v_cmp_eq_u32_e32 vcc_lo, 0, v1
	v_mov_b32_e32 v1, 0
	s_or_not1_b32 s7, vcc_lo, exec_lo
.LBB0_319:                              ;   in Loop: Header=BB0_317 Depth=2
	s_wait_xcnt 0x0
	s_or_b32 exec_lo, exec_lo, s12
	s_and_saveexec_b32 s12, s7
	s_cbranch_execz .LBB0_321
; %bb.320:                              ;   in Loop: Header=BB0_317 Depth=2
	s_wait_loadcnt 0x0
	v_cmp_eq_u32_e32 vcc_lo, s4, v7
	v_cmp_eq_u32_e64 s0, s4, v9
	s_and_b32 s0, vcc_lo, s0
	s_delay_alu instid0(SALU_CYCLE_1)
	s_or_not1_b32 s0, s0, exec_lo
.LBB0_321:                              ;   in Loop: Header=BB0_317 Depth=2
	s_or_b32 exec_lo, exec_lo, s12
	s_delay_alu instid0(SALU_CYCLE_1) | instskip(NEXT) | instid1(SALU_CYCLE_1)
	s_and_b32 s0, exec_lo, s0
	s_or_b32 s6, s0, s6
	s_delay_alu instid0(SALU_CYCLE_1)
	s_and_not1_b32 exec_lo, exec_lo, s6
	s_cbranch_execnz .LBB0_317
; %bb.322:                              ;   in Loop: Header=BB0_317 Depth=2
	s_or_b32 exec_lo, exec_lo, s6
	s_wait_loadcnt 0x0
	v_dual_mov_b32 v7, v8 :: v_dual_mov_b32 v1, 0
	s_mov_b32 s6, 0
	s_delay_alu instid0(VALU_DEP_1) | instskip(SKIP_1) | instid1(SALU_CYCLE_1)
	v_cmp_eq_u64_e32 vcc_lo, s[4:5], v[6:7]
	s_or_b32 s1, vcc_lo, s1
	s_and_not1_b32 exec_lo, exec_lo, s1
	s_cbranch_execnz .LBB0_317
; %bb.323:                              ;   in Loop: Header=BB0_1 Depth=1
	s_or_b32 exec_lo, exec_lo, s1
	s_add_co_i32 s4, s2, 46
	s_mov_b32 s1, s3
	s_bfe_u32 s0, s4, 0x100003
	v_dual_mov_b32 v2, s4 :: v_dual_mov_b32 v3, s4
	s_mulk_i32 s0, 0x20c5
	v_dual_mov_b32 v5, s4 :: v_dual_mov_b32 v1, 0
	s_lshr_b32 s0, s0, 20
	s_mov_b32 s5, s3
	s_mulk_i32 s0, 0x3e8
	s_delay_alu instid0(SALU_CYCLE_1) | instskip(NEXT) | instid1(SALU_CYCLE_1)
	s_sub_co_i32 s0, s4, s0
	s_and_b32 s0, s0, 0xffff
	s_delay_alu instid0(SALU_CYCLE_1) | instskip(NEXT) | instid1(SALU_CYCLE_1)
	s_lshl_b32 s0, s0, 12
	v_add_nc_u64_e32 v[6:7], s[0:1], v[10:11]
	v_add_nc_u64_e32 v[14:15], s[0:1], v[12:13]
	s_mov_b32 s1, 0
	global_store_b128 v[6:7], v[2:5], off th:TH_STORE_NT
.LBB0_324:                              ;   Parent Loop BB0_1 Depth=1
                                        ; =>  This Inner Loop Header: Depth=2
	s_wait_loadcnt 0x0
	global_load_b128 v[6:9], v[14:15], off th:TH_LOAD_NT
	v_add_nc_u32_e32 v1, 1, v1
	s_mov_b32 s0, -1
	s_mov_b32 s7, -1
	s_mov_b32 s12, exec_lo
	s_wait_xcnt 0x0
	v_cmpx_eq_u32_e32 0xf4240, v1
	s_cbranch_execz .LBB0_326
; %bb.325:                              ;   in Loop: Header=BB0_324 Depth=2
	s_wait_loadcnt 0x0
	s_wait_storecnt 0x0
	global_load_b32 v1, v4, s[10:11] scope:SCOPE_SYS
	s_wait_loadcnt 0x0
	global_inv scope:SCOPE_SYS
	v_cmp_eq_u32_e32 vcc_lo, 0, v1
	v_mov_b32_e32 v1, 0
	s_or_not1_b32 s7, vcc_lo, exec_lo
.LBB0_326:                              ;   in Loop: Header=BB0_324 Depth=2
	s_wait_xcnt 0x0
	s_or_b32 exec_lo, exec_lo, s12
	s_and_saveexec_b32 s12, s7
	s_cbranch_execz .LBB0_328
; %bb.327:                              ;   in Loop: Header=BB0_324 Depth=2
	s_wait_loadcnt 0x0
	v_cmp_eq_u32_e32 vcc_lo, s4, v7
	v_cmp_eq_u32_e64 s0, s4, v9
	s_and_b32 s0, vcc_lo, s0
	s_delay_alu instid0(SALU_CYCLE_1)
	s_or_not1_b32 s0, s0, exec_lo
.LBB0_328:                              ;   in Loop: Header=BB0_324 Depth=2
	s_or_b32 exec_lo, exec_lo, s12
	s_delay_alu instid0(SALU_CYCLE_1) | instskip(NEXT) | instid1(SALU_CYCLE_1)
	s_and_b32 s0, exec_lo, s0
	s_or_b32 s6, s0, s6
	s_delay_alu instid0(SALU_CYCLE_1)
	s_and_not1_b32 exec_lo, exec_lo, s6
	s_cbranch_execnz .LBB0_324
; %bb.329:                              ;   in Loop: Header=BB0_324 Depth=2
	s_or_b32 exec_lo, exec_lo, s6
	s_wait_loadcnt 0x0
	v_dual_mov_b32 v7, v8 :: v_dual_mov_b32 v1, 0
	s_mov_b32 s6, 0
	s_delay_alu instid0(VALU_DEP_1) | instskip(SKIP_1) | instid1(SALU_CYCLE_1)
	v_cmp_eq_u64_e32 vcc_lo, s[4:5], v[6:7]
	s_or_b32 s1, vcc_lo, s1
	s_and_not1_b32 exec_lo, exec_lo, s1
	s_cbranch_execnz .LBB0_324
; %bb.330:                              ;   in Loop: Header=BB0_1 Depth=1
	s_or_b32 exec_lo, exec_lo, s1
	s_add_co_i32 s4, s2, 47
	s_mov_b32 s1, s3
	s_bfe_u32 s0, s4, 0x100003
	v_dual_mov_b32 v2, s4 :: v_dual_mov_b32 v3, s4
	s_mulk_i32 s0, 0x20c5
	v_dual_mov_b32 v5, s4 :: v_dual_mov_b32 v1, 0
	s_lshr_b32 s0, s0, 20
	s_mov_b32 s5, s3
	s_mulk_i32 s0, 0x3e8
	s_delay_alu instid0(SALU_CYCLE_1) | instskip(NEXT) | instid1(SALU_CYCLE_1)
	s_sub_co_i32 s0, s4, s0
	s_and_b32 s0, s0, 0xffff
	s_delay_alu instid0(SALU_CYCLE_1) | instskip(NEXT) | instid1(SALU_CYCLE_1)
	s_lshl_b32 s0, s0, 12
	v_add_nc_u64_e32 v[6:7], s[0:1], v[10:11]
	v_add_nc_u64_e32 v[14:15], s[0:1], v[12:13]
	s_mov_b32 s1, 0
	global_store_b128 v[6:7], v[2:5], off th:TH_STORE_NT
.LBB0_331:                              ;   Parent Loop BB0_1 Depth=1
                                        ; =>  This Inner Loop Header: Depth=2
	s_wait_loadcnt 0x0
	global_load_b128 v[6:9], v[14:15], off th:TH_LOAD_NT
	v_add_nc_u32_e32 v1, 1, v1
	s_mov_b32 s0, -1
	s_mov_b32 s7, -1
	s_mov_b32 s12, exec_lo
	s_wait_xcnt 0x0
	v_cmpx_eq_u32_e32 0xf4240, v1
	s_cbranch_execz .LBB0_333
; %bb.332:                              ;   in Loop: Header=BB0_331 Depth=2
	s_wait_loadcnt 0x0
	s_wait_storecnt 0x0
	global_load_b32 v1, v4, s[10:11] scope:SCOPE_SYS
	s_wait_loadcnt 0x0
	global_inv scope:SCOPE_SYS
	v_cmp_eq_u32_e32 vcc_lo, 0, v1
	v_mov_b32_e32 v1, 0
	s_or_not1_b32 s7, vcc_lo, exec_lo
.LBB0_333:                              ;   in Loop: Header=BB0_331 Depth=2
	s_wait_xcnt 0x0
	s_or_b32 exec_lo, exec_lo, s12
	s_and_saveexec_b32 s12, s7
	s_cbranch_execz .LBB0_335
; %bb.334:                              ;   in Loop: Header=BB0_331 Depth=2
	s_wait_loadcnt 0x0
	v_cmp_eq_u32_e32 vcc_lo, s4, v7
	v_cmp_eq_u32_e64 s0, s4, v9
	s_and_b32 s0, vcc_lo, s0
	s_delay_alu instid0(SALU_CYCLE_1)
	s_or_not1_b32 s0, s0, exec_lo
.LBB0_335:                              ;   in Loop: Header=BB0_331 Depth=2
	s_or_b32 exec_lo, exec_lo, s12
	s_delay_alu instid0(SALU_CYCLE_1) | instskip(NEXT) | instid1(SALU_CYCLE_1)
	s_and_b32 s0, exec_lo, s0
	s_or_b32 s6, s0, s6
	s_delay_alu instid0(SALU_CYCLE_1)
	s_and_not1_b32 exec_lo, exec_lo, s6
	s_cbranch_execnz .LBB0_331
; %bb.336:                              ;   in Loop: Header=BB0_331 Depth=2
	s_or_b32 exec_lo, exec_lo, s6
	s_wait_loadcnt 0x0
	v_dual_mov_b32 v7, v8 :: v_dual_mov_b32 v1, 0
	s_mov_b32 s6, 0
	s_delay_alu instid0(VALU_DEP_1) | instskip(SKIP_1) | instid1(SALU_CYCLE_1)
	v_cmp_eq_u64_e32 vcc_lo, s[4:5], v[6:7]
	s_or_b32 s1, vcc_lo, s1
	s_and_not1_b32 exec_lo, exec_lo, s1
	s_cbranch_execnz .LBB0_331
; %bb.337:                              ;   in Loop: Header=BB0_1 Depth=1
	s_or_b32 exec_lo, exec_lo, s1
	s_add_co_i32 s4, s2, 48
	s_mov_b32 s1, s3
	s_bfe_u32 s0, s4, 0x100003
	v_dual_mov_b32 v2, s4 :: v_dual_mov_b32 v3, s4
	s_mulk_i32 s0, 0x20c5
	v_dual_mov_b32 v5, s4 :: v_dual_mov_b32 v1, 0
	s_lshr_b32 s0, s0, 20
	s_mov_b32 s5, s3
	s_mulk_i32 s0, 0x3e8
	s_delay_alu instid0(SALU_CYCLE_1) | instskip(NEXT) | instid1(SALU_CYCLE_1)
	s_sub_co_i32 s0, s4, s0
	s_and_b32 s0, s0, 0xffff
	s_delay_alu instid0(SALU_CYCLE_1) | instskip(NEXT) | instid1(SALU_CYCLE_1)
	s_lshl_b32 s0, s0, 12
	v_add_nc_u64_e32 v[6:7], s[0:1], v[10:11]
	v_add_nc_u64_e32 v[14:15], s[0:1], v[12:13]
	s_mov_b32 s1, 0
	global_store_b128 v[6:7], v[2:5], off th:TH_STORE_NT
.LBB0_338:                              ;   Parent Loop BB0_1 Depth=1
                                        ; =>  This Inner Loop Header: Depth=2
	s_wait_loadcnt 0x0
	global_load_b128 v[6:9], v[14:15], off th:TH_LOAD_NT
	v_add_nc_u32_e32 v1, 1, v1
	s_mov_b32 s0, -1
	s_mov_b32 s7, -1
	s_mov_b32 s12, exec_lo
	s_wait_xcnt 0x0
	v_cmpx_eq_u32_e32 0xf4240, v1
	s_cbranch_execz .LBB0_340
; %bb.339:                              ;   in Loop: Header=BB0_338 Depth=2
	s_wait_loadcnt 0x0
	s_wait_storecnt 0x0
	global_load_b32 v1, v4, s[10:11] scope:SCOPE_SYS
	s_wait_loadcnt 0x0
	global_inv scope:SCOPE_SYS
	v_cmp_eq_u32_e32 vcc_lo, 0, v1
	v_mov_b32_e32 v1, 0
	s_or_not1_b32 s7, vcc_lo, exec_lo
.LBB0_340:                              ;   in Loop: Header=BB0_338 Depth=2
	s_wait_xcnt 0x0
	s_or_b32 exec_lo, exec_lo, s12
	s_and_saveexec_b32 s12, s7
	s_cbranch_execz .LBB0_342
; %bb.341:                              ;   in Loop: Header=BB0_338 Depth=2
	s_wait_loadcnt 0x0
	v_cmp_eq_u32_e32 vcc_lo, s4, v7
	v_cmp_eq_u32_e64 s0, s4, v9
	s_and_b32 s0, vcc_lo, s0
	s_delay_alu instid0(SALU_CYCLE_1)
	s_or_not1_b32 s0, s0, exec_lo
.LBB0_342:                              ;   in Loop: Header=BB0_338 Depth=2
	s_or_b32 exec_lo, exec_lo, s12
	s_delay_alu instid0(SALU_CYCLE_1) | instskip(NEXT) | instid1(SALU_CYCLE_1)
	s_and_b32 s0, exec_lo, s0
	s_or_b32 s6, s0, s6
	s_delay_alu instid0(SALU_CYCLE_1)
	s_and_not1_b32 exec_lo, exec_lo, s6
	s_cbranch_execnz .LBB0_338
; %bb.343:                              ;   in Loop: Header=BB0_338 Depth=2
	s_or_b32 exec_lo, exec_lo, s6
	s_wait_loadcnt 0x0
	v_dual_mov_b32 v7, v8 :: v_dual_mov_b32 v1, 0
	s_mov_b32 s6, 0
	s_delay_alu instid0(VALU_DEP_1) | instskip(SKIP_1) | instid1(SALU_CYCLE_1)
	v_cmp_eq_u64_e32 vcc_lo, s[4:5], v[6:7]
	s_or_b32 s1, vcc_lo, s1
	s_and_not1_b32 exec_lo, exec_lo, s1
	s_cbranch_execnz .LBB0_338
; %bb.344:                              ;   in Loop: Header=BB0_1 Depth=1
	s_or_b32 exec_lo, exec_lo, s1
	s_add_co_i32 s4, s2, 49
	s_mov_b32 s1, s3
	s_bfe_u32 s0, s4, 0x100003
	v_dual_mov_b32 v2, s4 :: v_dual_mov_b32 v3, s4
	s_mulk_i32 s0, 0x20c5
	v_dual_mov_b32 v5, s4 :: v_dual_mov_b32 v1, 0
	s_lshr_b32 s0, s0, 20
	s_mov_b32 s5, s3
	s_mulk_i32 s0, 0x3e8
	s_delay_alu instid0(SALU_CYCLE_1) | instskip(NEXT) | instid1(SALU_CYCLE_1)
	s_sub_co_i32 s0, s4, s0
	s_and_b32 s0, s0, 0xffff
	s_delay_alu instid0(SALU_CYCLE_1) | instskip(NEXT) | instid1(SALU_CYCLE_1)
	s_lshl_b32 s0, s0, 12
	v_add_nc_u64_e32 v[6:7], s[0:1], v[10:11]
	v_add_nc_u64_e32 v[14:15], s[0:1], v[12:13]
	s_mov_b32 s1, 0
	global_store_b128 v[6:7], v[2:5], off th:TH_STORE_NT
.LBB0_345:                              ;   Parent Loop BB0_1 Depth=1
                                        ; =>  This Inner Loop Header: Depth=2
	s_wait_loadcnt 0x0
	global_load_b128 v[6:9], v[14:15], off th:TH_LOAD_NT
	v_add_nc_u32_e32 v1, 1, v1
	s_mov_b32 s0, -1
	s_mov_b32 s7, -1
	s_mov_b32 s12, exec_lo
	s_wait_xcnt 0x0
	v_cmpx_eq_u32_e32 0xf4240, v1
	s_cbranch_execz .LBB0_347
; %bb.346:                              ;   in Loop: Header=BB0_345 Depth=2
	s_wait_loadcnt 0x0
	s_wait_storecnt 0x0
	global_load_b32 v1, v4, s[10:11] scope:SCOPE_SYS
	s_wait_loadcnt 0x0
	global_inv scope:SCOPE_SYS
	v_cmp_eq_u32_e32 vcc_lo, 0, v1
	v_mov_b32_e32 v1, 0
	s_or_not1_b32 s7, vcc_lo, exec_lo
.LBB0_347:                              ;   in Loop: Header=BB0_345 Depth=2
	s_wait_xcnt 0x0
	s_or_b32 exec_lo, exec_lo, s12
	s_and_saveexec_b32 s12, s7
	s_cbranch_execz .LBB0_349
; %bb.348:                              ;   in Loop: Header=BB0_345 Depth=2
	s_wait_loadcnt 0x0
	v_cmp_eq_u32_e32 vcc_lo, s4, v7
	v_cmp_eq_u32_e64 s0, s4, v9
	s_and_b32 s0, vcc_lo, s0
	s_delay_alu instid0(SALU_CYCLE_1)
	s_or_not1_b32 s0, s0, exec_lo
.LBB0_349:                              ;   in Loop: Header=BB0_345 Depth=2
	s_or_b32 exec_lo, exec_lo, s12
	s_delay_alu instid0(SALU_CYCLE_1) | instskip(NEXT) | instid1(SALU_CYCLE_1)
	s_and_b32 s0, exec_lo, s0
	s_or_b32 s6, s0, s6
	s_delay_alu instid0(SALU_CYCLE_1)
	s_and_not1_b32 exec_lo, exec_lo, s6
	s_cbranch_execnz .LBB0_345
; %bb.350:                              ;   in Loop: Header=BB0_345 Depth=2
	s_or_b32 exec_lo, exec_lo, s6
	s_wait_loadcnt 0x0
	v_dual_mov_b32 v7, v8 :: v_dual_mov_b32 v1, 0
	s_mov_b32 s6, 0
	s_delay_alu instid0(VALU_DEP_1) | instskip(SKIP_1) | instid1(SALU_CYCLE_1)
	v_cmp_eq_u64_e32 vcc_lo, s[4:5], v[6:7]
	s_or_b32 s1, vcc_lo, s1
	s_and_not1_b32 exec_lo, exec_lo, s1
	s_cbranch_execnz .LBB0_345
; %bb.351:                              ;   in Loop: Header=BB0_1 Depth=1
	s_or_b32 exec_lo, exec_lo, s1
	s_add_co_i32 s4, s2, 50
	s_mov_b32 s1, s3
	s_bfe_u32 s0, s4, 0x100003
	v_dual_mov_b32 v2, s4 :: v_dual_mov_b32 v3, s4
	s_mulk_i32 s0, 0x20c5
	v_dual_mov_b32 v5, s4 :: v_dual_mov_b32 v1, 0
	s_lshr_b32 s0, s0, 20
	s_mov_b32 s5, s3
	s_mulk_i32 s0, 0x3e8
	s_delay_alu instid0(SALU_CYCLE_1) | instskip(NEXT) | instid1(SALU_CYCLE_1)
	s_sub_co_i32 s0, s4, s0
	s_and_b32 s0, s0, 0xffff
	s_delay_alu instid0(SALU_CYCLE_1) | instskip(NEXT) | instid1(SALU_CYCLE_1)
	s_lshl_b32 s0, s0, 12
	v_add_nc_u64_e32 v[6:7], s[0:1], v[10:11]
	v_add_nc_u64_e32 v[14:15], s[0:1], v[12:13]
	s_mov_b32 s1, 0
	global_store_b128 v[6:7], v[2:5], off th:TH_STORE_NT
.LBB0_352:                              ;   Parent Loop BB0_1 Depth=1
                                        ; =>  This Inner Loop Header: Depth=2
	s_wait_loadcnt 0x0
	global_load_b128 v[6:9], v[14:15], off th:TH_LOAD_NT
	v_add_nc_u32_e32 v1, 1, v1
	s_mov_b32 s0, -1
	s_mov_b32 s7, -1
	s_mov_b32 s12, exec_lo
	s_wait_xcnt 0x0
	v_cmpx_eq_u32_e32 0xf4240, v1
	s_cbranch_execz .LBB0_354
; %bb.353:                              ;   in Loop: Header=BB0_352 Depth=2
	s_wait_loadcnt 0x0
	s_wait_storecnt 0x0
	global_load_b32 v1, v4, s[10:11] scope:SCOPE_SYS
	s_wait_loadcnt 0x0
	global_inv scope:SCOPE_SYS
	v_cmp_eq_u32_e32 vcc_lo, 0, v1
	v_mov_b32_e32 v1, 0
	s_or_not1_b32 s7, vcc_lo, exec_lo
.LBB0_354:                              ;   in Loop: Header=BB0_352 Depth=2
	s_wait_xcnt 0x0
	s_or_b32 exec_lo, exec_lo, s12
	s_and_saveexec_b32 s12, s7
	s_cbranch_execz .LBB0_356
; %bb.355:                              ;   in Loop: Header=BB0_352 Depth=2
	s_wait_loadcnt 0x0
	v_cmp_eq_u32_e32 vcc_lo, s4, v7
	v_cmp_eq_u32_e64 s0, s4, v9
	s_and_b32 s0, vcc_lo, s0
	s_delay_alu instid0(SALU_CYCLE_1)
	s_or_not1_b32 s0, s0, exec_lo
.LBB0_356:                              ;   in Loop: Header=BB0_352 Depth=2
	s_or_b32 exec_lo, exec_lo, s12
	s_delay_alu instid0(SALU_CYCLE_1) | instskip(NEXT) | instid1(SALU_CYCLE_1)
	s_and_b32 s0, exec_lo, s0
	s_or_b32 s6, s0, s6
	s_delay_alu instid0(SALU_CYCLE_1)
	s_and_not1_b32 exec_lo, exec_lo, s6
	s_cbranch_execnz .LBB0_352
; %bb.357:                              ;   in Loop: Header=BB0_352 Depth=2
	s_or_b32 exec_lo, exec_lo, s6
	s_wait_loadcnt 0x0
	v_dual_mov_b32 v7, v8 :: v_dual_mov_b32 v1, 0
	s_mov_b32 s6, 0
	s_delay_alu instid0(VALU_DEP_1) | instskip(SKIP_1) | instid1(SALU_CYCLE_1)
	v_cmp_eq_u64_e32 vcc_lo, s[4:5], v[6:7]
	s_or_b32 s1, vcc_lo, s1
	s_and_not1_b32 exec_lo, exec_lo, s1
	s_cbranch_execnz .LBB0_352
; %bb.358:                              ;   in Loop: Header=BB0_1 Depth=1
	s_or_b32 exec_lo, exec_lo, s1
	s_add_co_i32 s4, s2, 51
	s_mov_b32 s1, s3
	s_bfe_u32 s0, s4, 0x100003
	v_dual_mov_b32 v2, s4 :: v_dual_mov_b32 v3, s4
	s_mulk_i32 s0, 0x20c5
	v_dual_mov_b32 v5, s4 :: v_dual_mov_b32 v1, 0
	s_lshr_b32 s0, s0, 20
	s_mov_b32 s5, s3
	s_mulk_i32 s0, 0x3e8
	s_delay_alu instid0(SALU_CYCLE_1) | instskip(NEXT) | instid1(SALU_CYCLE_1)
	s_sub_co_i32 s0, s4, s0
	s_and_b32 s0, s0, 0xffff
	s_delay_alu instid0(SALU_CYCLE_1) | instskip(NEXT) | instid1(SALU_CYCLE_1)
	s_lshl_b32 s0, s0, 12
	v_add_nc_u64_e32 v[6:7], s[0:1], v[10:11]
	v_add_nc_u64_e32 v[14:15], s[0:1], v[12:13]
	s_mov_b32 s1, 0
	global_store_b128 v[6:7], v[2:5], off th:TH_STORE_NT
.LBB0_359:                              ;   Parent Loop BB0_1 Depth=1
                                        ; =>  This Inner Loop Header: Depth=2
	s_wait_loadcnt 0x0
	global_load_b128 v[6:9], v[14:15], off th:TH_LOAD_NT
	v_add_nc_u32_e32 v1, 1, v1
	s_mov_b32 s0, -1
	s_mov_b32 s7, -1
	s_mov_b32 s12, exec_lo
	s_wait_xcnt 0x0
	v_cmpx_eq_u32_e32 0xf4240, v1
	s_cbranch_execz .LBB0_361
; %bb.360:                              ;   in Loop: Header=BB0_359 Depth=2
	s_wait_loadcnt 0x0
	s_wait_storecnt 0x0
	global_load_b32 v1, v4, s[10:11] scope:SCOPE_SYS
	s_wait_loadcnt 0x0
	global_inv scope:SCOPE_SYS
	v_cmp_eq_u32_e32 vcc_lo, 0, v1
	v_mov_b32_e32 v1, 0
	s_or_not1_b32 s7, vcc_lo, exec_lo
.LBB0_361:                              ;   in Loop: Header=BB0_359 Depth=2
	s_wait_xcnt 0x0
	s_or_b32 exec_lo, exec_lo, s12
	s_and_saveexec_b32 s12, s7
	s_cbranch_execz .LBB0_363
; %bb.362:                              ;   in Loop: Header=BB0_359 Depth=2
	s_wait_loadcnt 0x0
	v_cmp_eq_u32_e32 vcc_lo, s4, v7
	v_cmp_eq_u32_e64 s0, s4, v9
	s_and_b32 s0, vcc_lo, s0
	s_delay_alu instid0(SALU_CYCLE_1)
	s_or_not1_b32 s0, s0, exec_lo
.LBB0_363:                              ;   in Loop: Header=BB0_359 Depth=2
	s_or_b32 exec_lo, exec_lo, s12
	s_delay_alu instid0(SALU_CYCLE_1) | instskip(NEXT) | instid1(SALU_CYCLE_1)
	s_and_b32 s0, exec_lo, s0
	s_or_b32 s6, s0, s6
	s_delay_alu instid0(SALU_CYCLE_1)
	s_and_not1_b32 exec_lo, exec_lo, s6
	s_cbranch_execnz .LBB0_359
; %bb.364:                              ;   in Loop: Header=BB0_359 Depth=2
	s_or_b32 exec_lo, exec_lo, s6
	s_wait_loadcnt 0x0
	v_dual_mov_b32 v7, v8 :: v_dual_mov_b32 v1, 0
	s_mov_b32 s6, 0
	s_delay_alu instid0(VALU_DEP_1) | instskip(SKIP_1) | instid1(SALU_CYCLE_1)
	v_cmp_eq_u64_e32 vcc_lo, s[4:5], v[6:7]
	s_or_b32 s1, vcc_lo, s1
	s_and_not1_b32 exec_lo, exec_lo, s1
	s_cbranch_execnz .LBB0_359
; %bb.365:                              ;   in Loop: Header=BB0_1 Depth=1
	s_or_b32 exec_lo, exec_lo, s1
	s_add_co_i32 s4, s2, 52
	s_mov_b32 s1, s3
	s_bfe_u32 s0, s4, 0x100003
	v_dual_mov_b32 v2, s4 :: v_dual_mov_b32 v3, s4
	s_mulk_i32 s0, 0x20c5
	v_dual_mov_b32 v5, s4 :: v_dual_mov_b32 v1, 0
	s_lshr_b32 s0, s0, 20
	s_mov_b32 s5, s3
	s_mulk_i32 s0, 0x3e8
	s_delay_alu instid0(SALU_CYCLE_1) | instskip(NEXT) | instid1(SALU_CYCLE_1)
	s_sub_co_i32 s0, s4, s0
	s_and_b32 s0, s0, 0xffff
	s_delay_alu instid0(SALU_CYCLE_1) | instskip(NEXT) | instid1(SALU_CYCLE_1)
	s_lshl_b32 s0, s0, 12
	v_add_nc_u64_e32 v[6:7], s[0:1], v[10:11]
	v_add_nc_u64_e32 v[14:15], s[0:1], v[12:13]
	s_mov_b32 s1, 0
	global_store_b128 v[6:7], v[2:5], off th:TH_STORE_NT
.LBB0_366:                              ;   Parent Loop BB0_1 Depth=1
                                        ; =>  This Inner Loop Header: Depth=2
	s_wait_loadcnt 0x0
	global_load_b128 v[6:9], v[14:15], off th:TH_LOAD_NT
	v_add_nc_u32_e32 v1, 1, v1
	s_mov_b32 s0, -1
	s_mov_b32 s7, -1
	s_mov_b32 s12, exec_lo
	s_wait_xcnt 0x0
	v_cmpx_eq_u32_e32 0xf4240, v1
	s_cbranch_execz .LBB0_368
; %bb.367:                              ;   in Loop: Header=BB0_366 Depth=2
	s_wait_loadcnt 0x0
	s_wait_storecnt 0x0
	global_load_b32 v1, v4, s[10:11] scope:SCOPE_SYS
	s_wait_loadcnt 0x0
	global_inv scope:SCOPE_SYS
	v_cmp_eq_u32_e32 vcc_lo, 0, v1
	v_mov_b32_e32 v1, 0
	s_or_not1_b32 s7, vcc_lo, exec_lo
.LBB0_368:                              ;   in Loop: Header=BB0_366 Depth=2
	s_wait_xcnt 0x0
	s_or_b32 exec_lo, exec_lo, s12
	s_and_saveexec_b32 s12, s7
	s_cbranch_execz .LBB0_370
; %bb.369:                              ;   in Loop: Header=BB0_366 Depth=2
	s_wait_loadcnt 0x0
	v_cmp_eq_u32_e32 vcc_lo, s4, v7
	v_cmp_eq_u32_e64 s0, s4, v9
	s_and_b32 s0, vcc_lo, s0
	s_delay_alu instid0(SALU_CYCLE_1)
	s_or_not1_b32 s0, s0, exec_lo
.LBB0_370:                              ;   in Loop: Header=BB0_366 Depth=2
	s_or_b32 exec_lo, exec_lo, s12
	s_delay_alu instid0(SALU_CYCLE_1) | instskip(NEXT) | instid1(SALU_CYCLE_1)
	s_and_b32 s0, exec_lo, s0
	s_or_b32 s6, s0, s6
	s_delay_alu instid0(SALU_CYCLE_1)
	s_and_not1_b32 exec_lo, exec_lo, s6
	s_cbranch_execnz .LBB0_366
; %bb.371:                              ;   in Loop: Header=BB0_366 Depth=2
	s_or_b32 exec_lo, exec_lo, s6
	s_wait_loadcnt 0x0
	v_dual_mov_b32 v7, v8 :: v_dual_mov_b32 v1, 0
	s_mov_b32 s6, 0
	s_delay_alu instid0(VALU_DEP_1) | instskip(SKIP_1) | instid1(SALU_CYCLE_1)
	v_cmp_eq_u64_e32 vcc_lo, s[4:5], v[6:7]
	s_or_b32 s1, vcc_lo, s1
	s_and_not1_b32 exec_lo, exec_lo, s1
	s_cbranch_execnz .LBB0_366
; %bb.372:                              ;   in Loop: Header=BB0_1 Depth=1
	s_or_b32 exec_lo, exec_lo, s1
	s_add_co_i32 s4, s2, 53
	s_mov_b32 s1, s3
	s_bfe_u32 s0, s4, 0x100003
	v_dual_mov_b32 v2, s4 :: v_dual_mov_b32 v3, s4
	s_mulk_i32 s0, 0x20c5
	v_dual_mov_b32 v5, s4 :: v_dual_mov_b32 v1, 0
	s_lshr_b32 s0, s0, 20
	s_mov_b32 s5, s3
	s_mulk_i32 s0, 0x3e8
	s_delay_alu instid0(SALU_CYCLE_1) | instskip(NEXT) | instid1(SALU_CYCLE_1)
	s_sub_co_i32 s0, s4, s0
	s_and_b32 s0, s0, 0xffff
	s_delay_alu instid0(SALU_CYCLE_1) | instskip(NEXT) | instid1(SALU_CYCLE_1)
	s_lshl_b32 s0, s0, 12
	v_add_nc_u64_e32 v[6:7], s[0:1], v[10:11]
	v_add_nc_u64_e32 v[14:15], s[0:1], v[12:13]
	s_mov_b32 s1, 0
	global_store_b128 v[6:7], v[2:5], off th:TH_STORE_NT
.LBB0_373:                              ;   Parent Loop BB0_1 Depth=1
                                        ; =>  This Inner Loop Header: Depth=2
	s_wait_loadcnt 0x0
	global_load_b128 v[6:9], v[14:15], off th:TH_LOAD_NT
	v_add_nc_u32_e32 v1, 1, v1
	s_mov_b32 s0, -1
	s_mov_b32 s7, -1
	s_mov_b32 s12, exec_lo
	s_wait_xcnt 0x0
	v_cmpx_eq_u32_e32 0xf4240, v1
	s_cbranch_execz .LBB0_375
; %bb.374:                              ;   in Loop: Header=BB0_373 Depth=2
	s_wait_loadcnt 0x0
	s_wait_storecnt 0x0
	global_load_b32 v1, v4, s[10:11] scope:SCOPE_SYS
	s_wait_loadcnt 0x0
	global_inv scope:SCOPE_SYS
	v_cmp_eq_u32_e32 vcc_lo, 0, v1
	v_mov_b32_e32 v1, 0
	s_or_not1_b32 s7, vcc_lo, exec_lo
.LBB0_375:                              ;   in Loop: Header=BB0_373 Depth=2
	s_wait_xcnt 0x0
	s_or_b32 exec_lo, exec_lo, s12
	s_and_saveexec_b32 s12, s7
	s_cbranch_execz .LBB0_377
; %bb.376:                              ;   in Loop: Header=BB0_373 Depth=2
	s_wait_loadcnt 0x0
	v_cmp_eq_u32_e32 vcc_lo, s4, v7
	v_cmp_eq_u32_e64 s0, s4, v9
	s_and_b32 s0, vcc_lo, s0
	s_delay_alu instid0(SALU_CYCLE_1)
	s_or_not1_b32 s0, s0, exec_lo
.LBB0_377:                              ;   in Loop: Header=BB0_373 Depth=2
	s_or_b32 exec_lo, exec_lo, s12
	s_delay_alu instid0(SALU_CYCLE_1) | instskip(NEXT) | instid1(SALU_CYCLE_1)
	s_and_b32 s0, exec_lo, s0
	s_or_b32 s6, s0, s6
	s_delay_alu instid0(SALU_CYCLE_1)
	s_and_not1_b32 exec_lo, exec_lo, s6
	s_cbranch_execnz .LBB0_373
; %bb.378:                              ;   in Loop: Header=BB0_373 Depth=2
	s_or_b32 exec_lo, exec_lo, s6
	s_wait_loadcnt 0x0
	v_dual_mov_b32 v7, v8 :: v_dual_mov_b32 v1, 0
	s_mov_b32 s6, 0
	s_delay_alu instid0(VALU_DEP_1) | instskip(SKIP_1) | instid1(SALU_CYCLE_1)
	v_cmp_eq_u64_e32 vcc_lo, s[4:5], v[6:7]
	s_or_b32 s1, vcc_lo, s1
	s_and_not1_b32 exec_lo, exec_lo, s1
	s_cbranch_execnz .LBB0_373
; %bb.379:                              ;   in Loop: Header=BB0_1 Depth=1
	s_or_b32 exec_lo, exec_lo, s1
	s_add_co_i32 s4, s2, 54
	s_mov_b32 s1, s3
	s_bfe_u32 s0, s4, 0x100003
	v_dual_mov_b32 v2, s4 :: v_dual_mov_b32 v3, s4
	s_mulk_i32 s0, 0x20c5
	v_dual_mov_b32 v5, s4 :: v_dual_mov_b32 v1, 0
	s_lshr_b32 s0, s0, 20
	s_mov_b32 s5, s3
	s_mulk_i32 s0, 0x3e8
	s_delay_alu instid0(SALU_CYCLE_1) | instskip(NEXT) | instid1(SALU_CYCLE_1)
	s_sub_co_i32 s0, s4, s0
	s_and_b32 s0, s0, 0xffff
	s_delay_alu instid0(SALU_CYCLE_1) | instskip(NEXT) | instid1(SALU_CYCLE_1)
	s_lshl_b32 s0, s0, 12
	v_add_nc_u64_e32 v[6:7], s[0:1], v[10:11]
	v_add_nc_u64_e32 v[14:15], s[0:1], v[12:13]
	s_mov_b32 s1, 0
	global_store_b128 v[6:7], v[2:5], off th:TH_STORE_NT
.LBB0_380:                              ;   Parent Loop BB0_1 Depth=1
                                        ; =>  This Inner Loop Header: Depth=2
	s_wait_loadcnt 0x0
	global_load_b128 v[6:9], v[14:15], off th:TH_LOAD_NT
	v_add_nc_u32_e32 v1, 1, v1
	s_mov_b32 s0, -1
	s_mov_b32 s7, -1
	s_mov_b32 s12, exec_lo
	s_wait_xcnt 0x0
	v_cmpx_eq_u32_e32 0xf4240, v1
	s_cbranch_execz .LBB0_382
; %bb.381:                              ;   in Loop: Header=BB0_380 Depth=2
	s_wait_loadcnt 0x0
	s_wait_storecnt 0x0
	global_load_b32 v1, v4, s[10:11] scope:SCOPE_SYS
	s_wait_loadcnt 0x0
	global_inv scope:SCOPE_SYS
	v_cmp_eq_u32_e32 vcc_lo, 0, v1
	v_mov_b32_e32 v1, 0
	s_or_not1_b32 s7, vcc_lo, exec_lo
.LBB0_382:                              ;   in Loop: Header=BB0_380 Depth=2
	s_wait_xcnt 0x0
	s_or_b32 exec_lo, exec_lo, s12
	s_and_saveexec_b32 s12, s7
	s_cbranch_execz .LBB0_384
; %bb.383:                              ;   in Loop: Header=BB0_380 Depth=2
	s_wait_loadcnt 0x0
	v_cmp_eq_u32_e32 vcc_lo, s4, v7
	v_cmp_eq_u32_e64 s0, s4, v9
	s_and_b32 s0, vcc_lo, s0
	s_delay_alu instid0(SALU_CYCLE_1)
	s_or_not1_b32 s0, s0, exec_lo
.LBB0_384:                              ;   in Loop: Header=BB0_380 Depth=2
	s_or_b32 exec_lo, exec_lo, s12
	s_delay_alu instid0(SALU_CYCLE_1) | instskip(NEXT) | instid1(SALU_CYCLE_1)
	s_and_b32 s0, exec_lo, s0
	s_or_b32 s6, s0, s6
	s_delay_alu instid0(SALU_CYCLE_1)
	s_and_not1_b32 exec_lo, exec_lo, s6
	s_cbranch_execnz .LBB0_380
; %bb.385:                              ;   in Loop: Header=BB0_380 Depth=2
	s_or_b32 exec_lo, exec_lo, s6
	s_wait_loadcnt 0x0
	v_dual_mov_b32 v7, v8 :: v_dual_mov_b32 v1, 0
	s_mov_b32 s6, 0
	s_delay_alu instid0(VALU_DEP_1) | instskip(SKIP_1) | instid1(SALU_CYCLE_1)
	v_cmp_eq_u64_e32 vcc_lo, s[4:5], v[6:7]
	s_or_b32 s1, vcc_lo, s1
	s_and_not1_b32 exec_lo, exec_lo, s1
	s_cbranch_execnz .LBB0_380
; %bb.386:                              ;   in Loop: Header=BB0_1 Depth=1
	s_or_b32 exec_lo, exec_lo, s1
	s_add_co_i32 s4, s2, 55
	s_mov_b32 s1, s3
	s_bfe_u32 s0, s4, 0x100003
	v_dual_mov_b32 v2, s4 :: v_dual_mov_b32 v3, s4
	s_mulk_i32 s0, 0x20c5
	v_dual_mov_b32 v5, s4 :: v_dual_mov_b32 v1, 0
	s_lshr_b32 s0, s0, 20
	s_mov_b32 s5, s3
	s_mulk_i32 s0, 0x3e8
	s_delay_alu instid0(SALU_CYCLE_1) | instskip(NEXT) | instid1(SALU_CYCLE_1)
	s_sub_co_i32 s0, s4, s0
	s_and_b32 s0, s0, 0xffff
	s_delay_alu instid0(SALU_CYCLE_1) | instskip(NEXT) | instid1(SALU_CYCLE_1)
	s_lshl_b32 s0, s0, 12
	v_add_nc_u64_e32 v[6:7], s[0:1], v[10:11]
	v_add_nc_u64_e32 v[14:15], s[0:1], v[12:13]
	s_mov_b32 s1, 0
	global_store_b128 v[6:7], v[2:5], off th:TH_STORE_NT
.LBB0_387:                              ;   Parent Loop BB0_1 Depth=1
                                        ; =>  This Inner Loop Header: Depth=2
	s_wait_loadcnt 0x0
	global_load_b128 v[6:9], v[14:15], off th:TH_LOAD_NT
	v_add_nc_u32_e32 v1, 1, v1
	s_mov_b32 s0, -1
	s_mov_b32 s7, -1
	s_mov_b32 s12, exec_lo
	s_wait_xcnt 0x0
	v_cmpx_eq_u32_e32 0xf4240, v1
	s_cbranch_execz .LBB0_389
; %bb.388:                              ;   in Loop: Header=BB0_387 Depth=2
	s_wait_loadcnt 0x0
	s_wait_storecnt 0x0
	global_load_b32 v1, v4, s[10:11] scope:SCOPE_SYS
	s_wait_loadcnt 0x0
	global_inv scope:SCOPE_SYS
	v_cmp_eq_u32_e32 vcc_lo, 0, v1
	v_mov_b32_e32 v1, 0
	s_or_not1_b32 s7, vcc_lo, exec_lo
.LBB0_389:                              ;   in Loop: Header=BB0_387 Depth=2
	s_wait_xcnt 0x0
	s_or_b32 exec_lo, exec_lo, s12
	s_and_saveexec_b32 s12, s7
	s_cbranch_execz .LBB0_391
; %bb.390:                              ;   in Loop: Header=BB0_387 Depth=2
	s_wait_loadcnt 0x0
	v_cmp_eq_u32_e32 vcc_lo, s4, v7
	v_cmp_eq_u32_e64 s0, s4, v9
	s_and_b32 s0, vcc_lo, s0
	s_delay_alu instid0(SALU_CYCLE_1)
	s_or_not1_b32 s0, s0, exec_lo
.LBB0_391:                              ;   in Loop: Header=BB0_387 Depth=2
	s_or_b32 exec_lo, exec_lo, s12
	s_delay_alu instid0(SALU_CYCLE_1) | instskip(NEXT) | instid1(SALU_CYCLE_1)
	s_and_b32 s0, exec_lo, s0
	s_or_b32 s6, s0, s6
	s_delay_alu instid0(SALU_CYCLE_1)
	s_and_not1_b32 exec_lo, exec_lo, s6
	s_cbranch_execnz .LBB0_387
; %bb.392:                              ;   in Loop: Header=BB0_387 Depth=2
	s_or_b32 exec_lo, exec_lo, s6
	s_wait_loadcnt 0x0
	v_dual_mov_b32 v7, v8 :: v_dual_mov_b32 v1, 0
	s_mov_b32 s6, 0
	s_delay_alu instid0(VALU_DEP_1) | instskip(SKIP_1) | instid1(SALU_CYCLE_1)
	v_cmp_eq_u64_e32 vcc_lo, s[4:5], v[6:7]
	s_or_b32 s1, vcc_lo, s1
	s_and_not1_b32 exec_lo, exec_lo, s1
	s_cbranch_execnz .LBB0_387
; %bb.393:                              ;   in Loop: Header=BB0_1 Depth=1
	s_or_b32 exec_lo, exec_lo, s1
	s_add_co_i32 s4, s2, 56
	s_mov_b32 s1, s3
	s_bfe_u32 s0, s4, 0x100003
	v_dual_mov_b32 v2, s4 :: v_dual_mov_b32 v3, s4
	s_mulk_i32 s0, 0x20c5
	v_dual_mov_b32 v5, s4 :: v_dual_mov_b32 v1, 0
	s_lshr_b32 s0, s0, 20
	s_mov_b32 s5, s3
	s_mulk_i32 s0, 0x3e8
	s_delay_alu instid0(SALU_CYCLE_1) | instskip(NEXT) | instid1(SALU_CYCLE_1)
	s_sub_co_i32 s0, s4, s0
	s_and_b32 s0, s0, 0xffff
	s_delay_alu instid0(SALU_CYCLE_1) | instskip(NEXT) | instid1(SALU_CYCLE_1)
	s_lshl_b32 s0, s0, 12
	v_add_nc_u64_e32 v[6:7], s[0:1], v[10:11]
	v_add_nc_u64_e32 v[14:15], s[0:1], v[12:13]
	s_mov_b32 s1, 0
	global_store_b128 v[6:7], v[2:5], off th:TH_STORE_NT
.LBB0_394:                              ;   Parent Loop BB0_1 Depth=1
                                        ; =>  This Inner Loop Header: Depth=2
	s_wait_loadcnt 0x0
	global_load_b128 v[6:9], v[14:15], off th:TH_LOAD_NT
	v_add_nc_u32_e32 v1, 1, v1
	s_mov_b32 s0, -1
	s_mov_b32 s7, -1
	s_mov_b32 s12, exec_lo
	s_wait_xcnt 0x0
	v_cmpx_eq_u32_e32 0xf4240, v1
	s_cbranch_execz .LBB0_396
; %bb.395:                              ;   in Loop: Header=BB0_394 Depth=2
	s_wait_loadcnt 0x0
	s_wait_storecnt 0x0
	global_load_b32 v1, v4, s[10:11] scope:SCOPE_SYS
	s_wait_loadcnt 0x0
	global_inv scope:SCOPE_SYS
	v_cmp_eq_u32_e32 vcc_lo, 0, v1
	v_mov_b32_e32 v1, 0
	s_or_not1_b32 s7, vcc_lo, exec_lo
.LBB0_396:                              ;   in Loop: Header=BB0_394 Depth=2
	s_wait_xcnt 0x0
	s_or_b32 exec_lo, exec_lo, s12
	s_and_saveexec_b32 s12, s7
	s_cbranch_execz .LBB0_398
; %bb.397:                              ;   in Loop: Header=BB0_394 Depth=2
	s_wait_loadcnt 0x0
	v_cmp_eq_u32_e32 vcc_lo, s4, v7
	v_cmp_eq_u32_e64 s0, s4, v9
	s_and_b32 s0, vcc_lo, s0
	s_delay_alu instid0(SALU_CYCLE_1)
	s_or_not1_b32 s0, s0, exec_lo
.LBB0_398:                              ;   in Loop: Header=BB0_394 Depth=2
	s_or_b32 exec_lo, exec_lo, s12
	s_delay_alu instid0(SALU_CYCLE_1) | instskip(NEXT) | instid1(SALU_CYCLE_1)
	s_and_b32 s0, exec_lo, s0
	s_or_b32 s6, s0, s6
	s_delay_alu instid0(SALU_CYCLE_1)
	s_and_not1_b32 exec_lo, exec_lo, s6
	s_cbranch_execnz .LBB0_394
; %bb.399:                              ;   in Loop: Header=BB0_394 Depth=2
	s_or_b32 exec_lo, exec_lo, s6
	s_wait_loadcnt 0x0
	v_dual_mov_b32 v7, v8 :: v_dual_mov_b32 v1, 0
	s_mov_b32 s6, 0
	s_delay_alu instid0(VALU_DEP_1) | instskip(SKIP_1) | instid1(SALU_CYCLE_1)
	v_cmp_eq_u64_e32 vcc_lo, s[4:5], v[6:7]
	s_or_b32 s1, vcc_lo, s1
	s_and_not1_b32 exec_lo, exec_lo, s1
	s_cbranch_execnz .LBB0_394
; %bb.400:                              ;   in Loop: Header=BB0_1 Depth=1
	s_or_b32 exec_lo, exec_lo, s1
	s_add_co_i32 s4, s2, 57
	s_mov_b32 s1, s3
	s_bfe_u32 s0, s4, 0x100003
	v_dual_mov_b32 v2, s4 :: v_dual_mov_b32 v3, s4
	s_mulk_i32 s0, 0x20c5
	v_dual_mov_b32 v5, s4 :: v_dual_mov_b32 v1, 0
	s_lshr_b32 s0, s0, 20
	s_mov_b32 s5, s3
	s_mulk_i32 s0, 0x3e8
	s_delay_alu instid0(SALU_CYCLE_1) | instskip(NEXT) | instid1(SALU_CYCLE_1)
	s_sub_co_i32 s0, s4, s0
	s_and_b32 s0, s0, 0xffff
	s_delay_alu instid0(SALU_CYCLE_1) | instskip(NEXT) | instid1(SALU_CYCLE_1)
	s_lshl_b32 s0, s0, 12
	v_add_nc_u64_e32 v[6:7], s[0:1], v[10:11]
	v_add_nc_u64_e32 v[14:15], s[0:1], v[12:13]
	s_mov_b32 s1, 0
	global_store_b128 v[6:7], v[2:5], off th:TH_STORE_NT
.LBB0_401:                              ;   Parent Loop BB0_1 Depth=1
                                        ; =>  This Inner Loop Header: Depth=2
	s_wait_loadcnt 0x0
	global_load_b128 v[6:9], v[14:15], off th:TH_LOAD_NT
	v_add_nc_u32_e32 v1, 1, v1
	s_mov_b32 s0, -1
	s_mov_b32 s7, -1
	s_mov_b32 s12, exec_lo
	s_wait_xcnt 0x0
	v_cmpx_eq_u32_e32 0xf4240, v1
	s_cbranch_execz .LBB0_403
; %bb.402:                              ;   in Loop: Header=BB0_401 Depth=2
	s_wait_loadcnt 0x0
	s_wait_storecnt 0x0
	global_load_b32 v1, v4, s[10:11] scope:SCOPE_SYS
	s_wait_loadcnt 0x0
	global_inv scope:SCOPE_SYS
	v_cmp_eq_u32_e32 vcc_lo, 0, v1
	v_mov_b32_e32 v1, 0
	s_or_not1_b32 s7, vcc_lo, exec_lo
.LBB0_403:                              ;   in Loop: Header=BB0_401 Depth=2
	s_wait_xcnt 0x0
	s_or_b32 exec_lo, exec_lo, s12
	s_and_saveexec_b32 s12, s7
	s_cbranch_execz .LBB0_405
; %bb.404:                              ;   in Loop: Header=BB0_401 Depth=2
	s_wait_loadcnt 0x0
	v_cmp_eq_u32_e32 vcc_lo, s4, v7
	v_cmp_eq_u32_e64 s0, s4, v9
	s_and_b32 s0, vcc_lo, s0
	s_delay_alu instid0(SALU_CYCLE_1)
	s_or_not1_b32 s0, s0, exec_lo
.LBB0_405:                              ;   in Loop: Header=BB0_401 Depth=2
	s_or_b32 exec_lo, exec_lo, s12
	s_delay_alu instid0(SALU_CYCLE_1) | instskip(NEXT) | instid1(SALU_CYCLE_1)
	s_and_b32 s0, exec_lo, s0
	s_or_b32 s6, s0, s6
	s_delay_alu instid0(SALU_CYCLE_1)
	s_and_not1_b32 exec_lo, exec_lo, s6
	s_cbranch_execnz .LBB0_401
; %bb.406:                              ;   in Loop: Header=BB0_401 Depth=2
	s_or_b32 exec_lo, exec_lo, s6
	s_wait_loadcnt 0x0
	v_dual_mov_b32 v7, v8 :: v_dual_mov_b32 v1, 0
	s_mov_b32 s6, 0
	s_delay_alu instid0(VALU_DEP_1) | instskip(SKIP_1) | instid1(SALU_CYCLE_1)
	v_cmp_eq_u64_e32 vcc_lo, s[4:5], v[6:7]
	s_or_b32 s1, vcc_lo, s1
	s_and_not1_b32 exec_lo, exec_lo, s1
	s_cbranch_execnz .LBB0_401
; %bb.407:                              ;   in Loop: Header=BB0_1 Depth=1
	s_or_b32 exec_lo, exec_lo, s1
	s_add_co_i32 s4, s2, 58
	s_mov_b32 s1, s3
	s_bfe_u32 s0, s4, 0x100003
	v_dual_mov_b32 v2, s4 :: v_dual_mov_b32 v3, s4
	s_mulk_i32 s0, 0x20c5
	v_dual_mov_b32 v5, s4 :: v_dual_mov_b32 v1, 0
	s_lshr_b32 s0, s0, 20
	s_mov_b32 s5, s3
	s_mulk_i32 s0, 0x3e8
	s_delay_alu instid0(SALU_CYCLE_1) | instskip(NEXT) | instid1(SALU_CYCLE_1)
	s_sub_co_i32 s0, s4, s0
	s_and_b32 s0, s0, 0xffff
	s_delay_alu instid0(SALU_CYCLE_1) | instskip(NEXT) | instid1(SALU_CYCLE_1)
	s_lshl_b32 s0, s0, 12
	v_add_nc_u64_e32 v[6:7], s[0:1], v[10:11]
	v_add_nc_u64_e32 v[14:15], s[0:1], v[12:13]
	s_mov_b32 s1, 0
	global_store_b128 v[6:7], v[2:5], off th:TH_STORE_NT
.LBB0_408:                              ;   Parent Loop BB0_1 Depth=1
                                        ; =>  This Inner Loop Header: Depth=2
	s_wait_loadcnt 0x0
	global_load_b128 v[6:9], v[14:15], off th:TH_LOAD_NT
	v_add_nc_u32_e32 v1, 1, v1
	s_mov_b32 s0, -1
	s_mov_b32 s7, -1
	s_mov_b32 s12, exec_lo
	s_wait_xcnt 0x0
	v_cmpx_eq_u32_e32 0xf4240, v1
	s_cbranch_execz .LBB0_410
; %bb.409:                              ;   in Loop: Header=BB0_408 Depth=2
	s_wait_loadcnt 0x0
	s_wait_storecnt 0x0
	global_load_b32 v1, v4, s[10:11] scope:SCOPE_SYS
	s_wait_loadcnt 0x0
	global_inv scope:SCOPE_SYS
	v_cmp_eq_u32_e32 vcc_lo, 0, v1
	v_mov_b32_e32 v1, 0
	s_or_not1_b32 s7, vcc_lo, exec_lo
.LBB0_410:                              ;   in Loop: Header=BB0_408 Depth=2
	s_wait_xcnt 0x0
	s_or_b32 exec_lo, exec_lo, s12
	s_and_saveexec_b32 s12, s7
	s_cbranch_execz .LBB0_412
; %bb.411:                              ;   in Loop: Header=BB0_408 Depth=2
	s_wait_loadcnt 0x0
	v_cmp_eq_u32_e32 vcc_lo, s4, v7
	v_cmp_eq_u32_e64 s0, s4, v9
	s_and_b32 s0, vcc_lo, s0
	s_delay_alu instid0(SALU_CYCLE_1)
	s_or_not1_b32 s0, s0, exec_lo
.LBB0_412:                              ;   in Loop: Header=BB0_408 Depth=2
	s_or_b32 exec_lo, exec_lo, s12
	s_delay_alu instid0(SALU_CYCLE_1) | instskip(NEXT) | instid1(SALU_CYCLE_1)
	s_and_b32 s0, exec_lo, s0
	s_or_b32 s6, s0, s6
	s_delay_alu instid0(SALU_CYCLE_1)
	s_and_not1_b32 exec_lo, exec_lo, s6
	s_cbranch_execnz .LBB0_408
; %bb.413:                              ;   in Loop: Header=BB0_408 Depth=2
	s_or_b32 exec_lo, exec_lo, s6
	s_wait_loadcnt 0x0
	v_dual_mov_b32 v7, v8 :: v_dual_mov_b32 v1, 0
	s_mov_b32 s6, 0
	s_delay_alu instid0(VALU_DEP_1) | instskip(SKIP_1) | instid1(SALU_CYCLE_1)
	v_cmp_eq_u64_e32 vcc_lo, s[4:5], v[6:7]
	s_or_b32 s1, vcc_lo, s1
	s_and_not1_b32 exec_lo, exec_lo, s1
	s_cbranch_execnz .LBB0_408
; %bb.414:                              ;   in Loop: Header=BB0_1 Depth=1
	s_or_b32 exec_lo, exec_lo, s1
	s_add_co_i32 s4, s2, 59
	s_mov_b32 s1, s3
	s_bfe_u32 s0, s4, 0x100003
	v_dual_mov_b32 v2, s4 :: v_dual_mov_b32 v3, s4
	s_mulk_i32 s0, 0x20c5
	v_dual_mov_b32 v5, s4 :: v_dual_mov_b32 v1, 0
	s_lshr_b32 s0, s0, 20
	s_mov_b32 s5, s3
	s_mulk_i32 s0, 0x3e8
	s_delay_alu instid0(SALU_CYCLE_1) | instskip(NEXT) | instid1(SALU_CYCLE_1)
	s_sub_co_i32 s0, s4, s0
	s_and_b32 s0, s0, 0xffff
	s_delay_alu instid0(SALU_CYCLE_1) | instskip(NEXT) | instid1(SALU_CYCLE_1)
	s_lshl_b32 s0, s0, 12
	v_add_nc_u64_e32 v[6:7], s[0:1], v[10:11]
	v_add_nc_u64_e32 v[14:15], s[0:1], v[12:13]
	s_mov_b32 s1, 0
	global_store_b128 v[6:7], v[2:5], off th:TH_STORE_NT
.LBB0_415:                              ;   Parent Loop BB0_1 Depth=1
                                        ; =>  This Inner Loop Header: Depth=2
	s_wait_loadcnt 0x0
	global_load_b128 v[6:9], v[14:15], off th:TH_LOAD_NT
	v_add_nc_u32_e32 v1, 1, v1
	s_mov_b32 s0, -1
	s_mov_b32 s7, -1
	s_mov_b32 s12, exec_lo
	s_wait_xcnt 0x0
	v_cmpx_eq_u32_e32 0xf4240, v1
	s_cbranch_execz .LBB0_417
; %bb.416:                              ;   in Loop: Header=BB0_415 Depth=2
	s_wait_loadcnt 0x0
	s_wait_storecnt 0x0
	global_load_b32 v1, v4, s[10:11] scope:SCOPE_SYS
	s_wait_loadcnt 0x0
	global_inv scope:SCOPE_SYS
	v_cmp_eq_u32_e32 vcc_lo, 0, v1
	v_mov_b32_e32 v1, 0
	s_or_not1_b32 s7, vcc_lo, exec_lo
.LBB0_417:                              ;   in Loop: Header=BB0_415 Depth=2
	s_wait_xcnt 0x0
	s_or_b32 exec_lo, exec_lo, s12
	s_and_saveexec_b32 s12, s7
	s_cbranch_execz .LBB0_419
; %bb.418:                              ;   in Loop: Header=BB0_415 Depth=2
	s_wait_loadcnt 0x0
	v_cmp_eq_u32_e32 vcc_lo, s4, v7
	v_cmp_eq_u32_e64 s0, s4, v9
	s_and_b32 s0, vcc_lo, s0
	s_delay_alu instid0(SALU_CYCLE_1)
	s_or_not1_b32 s0, s0, exec_lo
.LBB0_419:                              ;   in Loop: Header=BB0_415 Depth=2
	s_or_b32 exec_lo, exec_lo, s12
	s_delay_alu instid0(SALU_CYCLE_1) | instskip(NEXT) | instid1(SALU_CYCLE_1)
	s_and_b32 s0, exec_lo, s0
	s_or_b32 s6, s0, s6
	s_delay_alu instid0(SALU_CYCLE_1)
	s_and_not1_b32 exec_lo, exec_lo, s6
	s_cbranch_execnz .LBB0_415
; %bb.420:                              ;   in Loop: Header=BB0_415 Depth=2
	s_or_b32 exec_lo, exec_lo, s6
	s_wait_loadcnt 0x0
	v_dual_mov_b32 v7, v8 :: v_dual_mov_b32 v1, 0
	s_mov_b32 s6, 0
	s_delay_alu instid0(VALU_DEP_1) | instskip(SKIP_1) | instid1(SALU_CYCLE_1)
	v_cmp_eq_u64_e32 vcc_lo, s[4:5], v[6:7]
	s_or_b32 s1, vcc_lo, s1
	s_and_not1_b32 exec_lo, exec_lo, s1
	s_cbranch_execnz .LBB0_415
; %bb.421:                              ;   in Loop: Header=BB0_1 Depth=1
	s_or_b32 exec_lo, exec_lo, s1
	s_add_co_i32 s4, s2, 60
	s_mov_b32 s1, s3
	s_bfe_u32 s0, s4, 0x100003
	v_dual_mov_b32 v2, s4 :: v_dual_mov_b32 v3, s4
	s_mulk_i32 s0, 0x20c5
	v_dual_mov_b32 v5, s4 :: v_dual_mov_b32 v1, 0
	s_lshr_b32 s0, s0, 20
	s_mov_b32 s5, s3
	s_mulk_i32 s0, 0x3e8
	s_delay_alu instid0(SALU_CYCLE_1) | instskip(NEXT) | instid1(SALU_CYCLE_1)
	s_sub_co_i32 s0, s4, s0
	s_and_b32 s0, s0, 0xffff
	s_delay_alu instid0(SALU_CYCLE_1) | instskip(NEXT) | instid1(SALU_CYCLE_1)
	s_lshl_b32 s0, s0, 12
	v_add_nc_u64_e32 v[6:7], s[0:1], v[10:11]
	v_add_nc_u64_e32 v[14:15], s[0:1], v[12:13]
	s_mov_b32 s1, 0
	global_store_b128 v[6:7], v[2:5], off th:TH_STORE_NT
.LBB0_422:                              ;   Parent Loop BB0_1 Depth=1
                                        ; =>  This Inner Loop Header: Depth=2
	s_wait_loadcnt 0x0
	global_load_b128 v[6:9], v[14:15], off th:TH_LOAD_NT
	v_add_nc_u32_e32 v1, 1, v1
	s_mov_b32 s0, -1
	s_mov_b32 s7, -1
	s_mov_b32 s12, exec_lo
	s_wait_xcnt 0x0
	v_cmpx_eq_u32_e32 0xf4240, v1
	s_cbranch_execz .LBB0_424
; %bb.423:                              ;   in Loop: Header=BB0_422 Depth=2
	s_wait_loadcnt 0x0
	s_wait_storecnt 0x0
	global_load_b32 v1, v4, s[10:11] scope:SCOPE_SYS
	s_wait_loadcnt 0x0
	global_inv scope:SCOPE_SYS
	v_cmp_eq_u32_e32 vcc_lo, 0, v1
	v_mov_b32_e32 v1, 0
	s_or_not1_b32 s7, vcc_lo, exec_lo
.LBB0_424:                              ;   in Loop: Header=BB0_422 Depth=2
	s_wait_xcnt 0x0
	s_or_b32 exec_lo, exec_lo, s12
	s_and_saveexec_b32 s12, s7
	s_cbranch_execz .LBB0_426
; %bb.425:                              ;   in Loop: Header=BB0_422 Depth=2
	s_wait_loadcnt 0x0
	v_cmp_eq_u32_e32 vcc_lo, s4, v7
	v_cmp_eq_u32_e64 s0, s4, v9
	s_and_b32 s0, vcc_lo, s0
	s_delay_alu instid0(SALU_CYCLE_1)
	s_or_not1_b32 s0, s0, exec_lo
.LBB0_426:                              ;   in Loop: Header=BB0_422 Depth=2
	s_or_b32 exec_lo, exec_lo, s12
	s_delay_alu instid0(SALU_CYCLE_1) | instskip(NEXT) | instid1(SALU_CYCLE_1)
	s_and_b32 s0, exec_lo, s0
	s_or_b32 s6, s0, s6
	s_delay_alu instid0(SALU_CYCLE_1)
	s_and_not1_b32 exec_lo, exec_lo, s6
	s_cbranch_execnz .LBB0_422
; %bb.427:                              ;   in Loop: Header=BB0_422 Depth=2
	s_or_b32 exec_lo, exec_lo, s6
	s_wait_loadcnt 0x0
	v_dual_mov_b32 v7, v8 :: v_dual_mov_b32 v1, 0
	s_mov_b32 s6, 0
	s_delay_alu instid0(VALU_DEP_1) | instskip(SKIP_1) | instid1(SALU_CYCLE_1)
	v_cmp_eq_u64_e32 vcc_lo, s[4:5], v[6:7]
	s_or_b32 s1, vcc_lo, s1
	s_and_not1_b32 exec_lo, exec_lo, s1
	s_cbranch_execnz .LBB0_422
; %bb.428:                              ;   in Loop: Header=BB0_1 Depth=1
	s_or_b32 exec_lo, exec_lo, s1
	s_add_co_i32 s4, s2, 61
	s_mov_b32 s1, s3
	s_bfe_u32 s0, s4, 0x100003
	v_dual_mov_b32 v2, s4 :: v_dual_mov_b32 v3, s4
	s_mulk_i32 s0, 0x20c5
	v_dual_mov_b32 v5, s4 :: v_dual_mov_b32 v1, 0
	s_lshr_b32 s0, s0, 20
	s_mov_b32 s5, s3
	s_mulk_i32 s0, 0x3e8
	s_delay_alu instid0(SALU_CYCLE_1) | instskip(NEXT) | instid1(SALU_CYCLE_1)
	s_sub_co_i32 s0, s4, s0
	s_and_b32 s0, s0, 0xffff
	s_delay_alu instid0(SALU_CYCLE_1) | instskip(NEXT) | instid1(SALU_CYCLE_1)
	s_lshl_b32 s0, s0, 12
	v_add_nc_u64_e32 v[6:7], s[0:1], v[10:11]
	v_add_nc_u64_e32 v[14:15], s[0:1], v[12:13]
	s_mov_b32 s1, 0
	global_store_b128 v[6:7], v[2:5], off th:TH_STORE_NT
.LBB0_429:                              ;   Parent Loop BB0_1 Depth=1
                                        ; =>  This Inner Loop Header: Depth=2
	s_wait_loadcnt 0x0
	global_load_b128 v[6:9], v[14:15], off th:TH_LOAD_NT
	v_add_nc_u32_e32 v1, 1, v1
	s_mov_b32 s0, -1
	s_mov_b32 s7, -1
	s_mov_b32 s12, exec_lo
	s_wait_xcnt 0x0
	v_cmpx_eq_u32_e32 0xf4240, v1
	s_cbranch_execz .LBB0_431
; %bb.430:                              ;   in Loop: Header=BB0_429 Depth=2
	s_wait_loadcnt 0x0
	s_wait_storecnt 0x0
	global_load_b32 v1, v4, s[10:11] scope:SCOPE_SYS
	s_wait_loadcnt 0x0
	global_inv scope:SCOPE_SYS
	v_cmp_eq_u32_e32 vcc_lo, 0, v1
	v_mov_b32_e32 v1, 0
	s_or_not1_b32 s7, vcc_lo, exec_lo
.LBB0_431:                              ;   in Loop: Header=BB0_429 Depth=2
	s_wait_xcnt 0x0
	s_or_b32 exec_lo, exec_lo, s12
	s_and_saveexec_b32 s12, s7
	s_cbranch_execz .LBB0_433
; %bb.432:                              ;   in Loop: Header=BB0_429 Depth=2
	s_wait_loadcnt 0x0
	v_cmp_eq_u32_e32 vcc_lo, s4, v7
	v_cmp_eq_u32_e64 s0, s4, v9
	s_and_b32 s0, vcc_lo, s0
	s_delay_alu instid0(SALU_CYCLE_1)
	s_or_not1_b32 s0, s0, exec_lo
.LBB0_433:                              ;   in Loop: Header=BB0_429 Depth=2
	s_or_b32 exec_lo, exec_lo, s12
	s_delay_alu instid0(SALU_CYCLE_1) | instskip(NEXT) | instid1(SALU_CYCLE_1)
	s_and_b32 s0, exec_lo, s0
	s_or_b32 s6, s0, s6
	s_delay_alu instid0(SALU_CYCLE_1)
	s_and_not1_b32 exec_lo, exec_lo, s6
	s_cbranch_execnz .LBB0_429
; %bb.434:                              ;   in Loop: Header=BB0_429 Depth=2
	s_or_b32 exec_lo, exec_lo, s6
	s_wait_loadcnt 0x0
	v_dual_mov_b32 v7, v8 :: v_dual_mov_b32 v1, 0
	s_mov_b32 s6, 0
	s_delay_alu instid0(VALU_DEP_1) | instskip(SKIP_1) | instid1(SALU_CYCLE_1)
	v_cmp_eq_u64_e32 vcc_lo, s[4:5], v[6:7]
	s_or_b32 s1, vcc_lo, s1
	s_and_not1_b32 exec_lo, exec_lo, s1
	s_cbranch_execnz .LBB0_429
; %bb.435:                              ;   in Loop: Header=BB0_1 Depth=1
	s_or_b32 exec_lo, exec_lo, s1
	s_add_co_i32 s4, s2, 62
	s_mov_b32 s1, s3
	s_bfe_u32 s0, s4, 0x100003
	v_dual_mov_b32 v2, s4 :: v_dual_mov_b32 v3, s4
	s_mulk_i32 s0, 0x20c5
	v_dual_mov_b32 v5, s4 :: v_dual_mov_b32 v1, 0
	s_lshr_b32 s0, s0, 20
	s_mov_b32 s5, s3
	s_mulk_i32 s0, 0x3e8
	s_delay_alu instid0(SALU_CYCLE_1) | instskip(NEXT) | instid1(SALU_CYCLE_1)
	s_sub_co_i32 s0, s4, s0
	s_and_b32 s0, s0, 0xffff
	s_delay_alu instid0(SALU_CYCLE_1) | instskip(NEXT) | instid1(SALU_CYCLE_1)
	s_lshl_b32 s0, s0, 12
	v_add_nc_u64_e32 v[6:7], s[0:1], v[10:11]
	v_add_nc_u64_e32 v[14:15], s[0:1], v[12:13]
	s_mov_b32 s1, 0
	global_store_b128 v[6:7], v[2:5], off th:TH_STORE_NT
.LBB0_436:                              ;   Parent Loop BB0_1 Depth=1
                                        ; =>  This Inner Loop Header: Depth=2
	s_wait_loadcnt 0x0
	global_load_b128 v[6:9], v[14:15], off th:TH_LOAD_NT
	v_add_nc_u32_e32 v1, 1, v1
	s_mov_b32 s0, -1
	s_mov_b32 s7, -1
	s_mov_b32 s12, exec_lo
	s_wait_xcnt 0x0
	v_cmpx_eq_u32_e32 0xf4240, v1
	s_cbranch_execz .LBB0_438
; %bb.437:                              ;   in Loop: Header=BB0_436 Depth=2
	s_wait_loadcnt 0x0
	s_wait_storecnt 0x0
	global_load_b32 v1, v4, s[10:11] scope:SCOPE_SYS
	s_wait_loadcnt 0x0
	global_inv scope:SCOPE_SYS
	v_cmp_eq_u32_e32 vcc_lo, 0, v1
	v_mov_b32_e32 v1, 0
	s_or_not1_b32 s7, vcc_lo, exec_lo
.LBB0_438:                              ;   in Loop: Header=BB0_436 Depth=2
	s_wait_xcnt 0x0
	s_or_b32 exec_lo, exec_lo, s12
	s_and_saveexec_b32 s12, s7
	s_cbranch_execz .LBB0_440
; %bb.439:                              ;   in Loop: Header=BB0_436 Depth=2
	s_wait_loadcnt 0x0
	v_cmp_eq_u32_e32 vcc_lo, s4, v7
	v_cmp_eq_u32_e64 s0, s4, v9
	s_and_b32 s0, vcc_lo, s0
	s_delay_alu instid0(SALU_CYCLE_1)
	s_or_not1_b32 s0, s0, exec_lo
.LBB0_440:                              ;   in Loop: Header=BB0_436 Depth=2
	s_or_b32 exec_lo, exec_lo, s12
	s_delay_alu instid0(SALU_CYCLE_1) | instskip(NEXT) | instid1(SALU_CYCLE_1)
	s_and_b32 s0, exec_lo, s0
	s_or_b32 s6, s0, s6
	s_delay_alu instid0(SALU_CYCLE_1)
	s_and_not1_b32 exec_lo, exec_lo, s6
	s_cbranch_execnz .LBB0_436
; %bb.441:                              ;   in Loop: Header=BB0_436 Depth=2
	s_or_b32 exec_lo, exec_lo, s6
	s_wait_loadcnt 0x0
	v_dual_mov_b32 v7, v8 :: v_dual_mov_b32 v1, 0
	s_mov_b32 s6, 0
	s_delay_alu instid0(VALU_DEP_1) | instskip(SKIP_1) | instid1(SALU_CYCLE_1)
	v_cmp_eq_u64_e32 vcc_lo, s[4:5], v[6:7]
	s_or_b32 s1, vcc_lo, s1
	s_and_not1_b32 exec_lo, exec_lo, s1
	s_cbranch_execnz .LBB0_436
; %bb.442:                              ;   in Loop: Header=BB0_1 Depth=1
	s_or_b32 exec_lo, exec_lo, s1
	s_add_co_i32 s4, s2, 63
	s_mov_b32 s1, s3
	s_bfe_u32 s0, s4, 0x100003
	v_dual_mov_b32 v2, s4 :: v_dual_mov_b32 v3, s4
	s_mulk_i32 s0, 0x20c5
	v_dual_mov_b32 v5, s4 :: v_dual_mov_b32 v1, 0
	s_lshr_b32 s0, s0, 20
	s_mov_b32 s5, s3
	s_mulk_i32 s0, 0x3e8
	s_delay_alu instid0(SALU_CYCLE_1) | instskip(NEXT) | instid1(SALU_CYCLE_1)
	s_sub_co_i32 s0, s4, s0
	s_and_b32 s0, s0, 0xffff
	s_delay_alu instid0(SALU_CYCLE_1) | instskip(NEXT) | instid1(SALU_CYCLE_1)
	s_lshl_b32 s0, s0, 12
	v_add_nc_u64_e32 v[6:7], s[0:1], v[10:11]
	v_add_nc_u64_e32 v[14:15], s[0:1], v[12:13]
	s_mov_b32 s1, 0
	global_store_b128 v[6:7], v[2:5], off th:TH_STORE_NT
.LBB0_443:                              ;   Parent Loop BB0_1 Depth=1
                                        ; =>  This Inner Loop Header: Depth=2
	s_wait_loadcnt 0x0
	global_load_b128 v[6:9], v[14:15], off th:TH_LOAD_NT
	v_add_nc_u32_e32 v1, 1, v1
	s_mov_b32 s0, -1
	s_mov_b32 s7, -1
	s_mov_b32 s12, exec_lo
	s_wait_xcnt 0x0
	v_cmpx_eq_u32_e32 0xf4240, v1
	s_cbranch_execz .LBB0_445
; %bb.444:                              ;   in Loop: Header=BB0_443 Depth=2
	s_wait_loadcnt 0x0
	s_wait_storecnt 0x0
	global_load_b32 v1, v4, s[10:11] scope:SCOPE_SYS
	s_wait_loadcnt 0x0
	global_inv scope:SCOPE_SYS
	v_cmp_eq_u32_e32 vcc_lo, 0, v1
	v_mov_b32_e32 v1, 0
	s_or_not1_b32 s7, vcc_lo, exec_lo
.LBB0_445:                              ;   in Loop: Header=BB0_443 Depth=2
	s_wait_xcnt 0x0
	s_or_b32 exec_lo, exec_lo, s12
	s_and_saveexec_b32 s12, s7
	s_cbranch_execz .LBB0_447
; %bb.446:                              ;   in Loop: Header=BB0_443 Depth=2
	s_wait_loadcnt 0x0
	v_cmp_eq_u32_e32 vcc_lo, s4, v7
	v_cmp_eq_u32_e64 s0, s4, v9
	s_and_b32 s0, vcc_lo, s0
	s_delay_alu instid0(SALU_CYCLE_1)
	s_or_not1_b32 s0, s0, exec_lo
.LBB0_447:                              ;   in Loop: Header=BB0_443 Depth=2
	s_or_b32 exec_lo, exec_lo, s12
	s_delay_alu instid0(SALU_CYCLE_1) | instskip(NEXT) | instid1(SALU_CYCLE_1)
	s_and_b32 s0, exec_lo, s0
	s_or_b32 s6, s0, s6
	s_delay_alu instid0(SALU_CYCLE_1)
	s_and_not1_b32 exec_lo, exec_lo, s6
	s_cbranch_execnz .LBB0_443
; %bb.448:                              ;   in Loop: Header=BB0_443 Depth=2
	s_or_b32 exec_lo, exec_lo, s6
	s_wait_loadcnt 0x0
	v_dual_mov_b32 v7, v8 :: v_dual_mov_b32 v1, 0
	s_mov_b32 s6, 0
	s_delay_alu instid0(VALU_DEP_1) | instskip(SKIP_1) | instid1(SALU_CYCLE_1)
	v_cmp_eq_u64_e32 vcc_lo, s[4:5], v[6:7]
	s_or_b32 s1, vcc_lo, s1
	s_and_not1_b32 exec_lo, exec_lo, s1
	s_cbranch_execnz .LBB0_443
; %bb.449:                              ;   in Loop: Header=BB0_1 Depth=1
	s_or_b32 exec_lo, exec_lo, s1
	s_add_co_i32 s4, s2, 64
	s_mov_b32 s1, s3
	s_bfe_u32 s0, s4, 0x100003
	v_dual_mov_b32 v2, s4 :: v_dual_mov_b32 v3, s4
	s_mulk_i32 s0, 0x20c5
	v_dual_mov_b32 v5, s4 :: v_dual_mov_b32 v1, 0
	s_lshr_b32 s0, s0, 20
	s_mov_b32 s5, s3
	s_mulk_i32 s0, 0x3e8
	s_delay_alu instid0(SALU_CYCLE_1) | instskip(NEXT) | instid1(SALU_CYCLE_1)
	s_sub_co_i32 s0, s4, s0
	s_and_b32 s0, s0, 0xffff
	s_delay_alu instid0(SALU_CYCLE_1) | instskip(NEXT) | instid1(SALU_CYCLE_1)
	s_lshl_b32 s0, s0, 12
	v_add_nc_u64_e32 v[6:7], s[0:1], v[10:11]
	v_add_nc_u64_e32 v[14:15], s[0:1], v[12:13]
	s_mov_b32 s1, 0
	global_store_b128 v[6:7], v[2:5], off th:TH_STORE_NT
.LBB0_450:                              ;   Parent Loop BB0_1 Depth=1
                                        ; =>  This Inner Loop Header: Depth=2
	s_wait_loadcnt 0x0
	global_load_b128 v[6:9], v[14:15], off th:TH_LOAD_NT
	v_add_nc_u32_e32 v1, 1, v1
	s_mov_b32 s0, -1
	s_mov_b32 s7, -1
	s_mov_b32 s12, exec_lo
	s_wait_xcnt 0x0
	v_cmpx_eq_u32_e32 0xf4240, v1
	s_cbranch_execz .LBB0_452
; %bb.451:                              ;   in Loop: Header=BB0_450 Depth=2
	s_wait_loadcnt 0x0
	s_wait_storecnt 0x0
	global_load_b32 v1, v4, s[10:11] scope:SCOPE_SYS
	s_wait_loadcnt 0x0
	global_inv scope:SCOPE_SYS
	v_cmp_eq_u32_e32 vcc_lo, 0, v1
	v_mov_b32_e32 v1, 0
	s_or_not1_b32 s7, vcc_lo, exec_lo
.LBB0_452:                              ;   in Loop: Header=BB0_450 Depth=2
	s_wait_xcnt 0x0
	s_or_b32 exec_lo, exec_lo, s12
	s_and_saveexec_b32 s12, s7
	s_cbranch_execz .LBB0_454
; %bb.453:                              ;   in Loop: Header=BB0_450 Depth=2
	s_wait_loadcnt 0x0
	v_cmp_eq_u32_e32 vcc_lo, s4, v7
	v_cmp_eq_u32_e64 s0, s4, v9
	s_and_b32 s0, vcc_lo, s0
	s_delay_alu instid0(SALU_CYCLE_1)
	s_or_not1_b32 s0, s0, exec_lo
.LBB0_454:                              ;   in Loop: Header=BB0_450 Depth=2
	s_or_b32 exec_lo, exec_lo, s12
	s_delay_alu instid0(SALU_CYCLE_1) | instskip(NEXT) | instid1(SALU_CYCLE_1)
	s_and_b32 s0, exec_lo, s0
	s_or_b32 s6, s0, s6
	s_delay_alu instid0(SALU_CYCLE_1)
	s_and_not1_b32 exec_lo, exec_lo, s6
	s_cbranch_execnz .LBB0_450
; %bb.455:                              ;   in Loop: Header=BB0_450 Depth=2
	s_or_b32 exec_lo, exec_lo, s6
	s_wait_loadcnt 0x0
	v_dual_mov_b32 v7, v8 :: v_dual_mov_b32 v1, 0
	s_mov_b32 s6, 0
	s_delay_alu instid0(VALU_DEP_1) | instskip(SKIP_1) | instid1(SALU_CYCLE_1)
	v_cmp_eq_u64_e32 vcc_lo, s[4:5], v[6:7]
	s_or_b32 s1, vcc_lo, s1
	s_and_not1_b32 exec_lo, exec_lo, s1
	s_cbranch_execnz .LBB0_450
; %bb.456:                              ;   in Loop: Header=BB0_1 Depth=1
	s_or_b32 exec_lo, exec_lo, s1
	s_add_co_i32 s4, s2, 0x41
	s_mov_b32 s1, s3
	s_bfe_u32 s0, s4, 0x100003
	v_dual_mov_b32 v2, s4 :: v_dual_mov_b32 v3, s4
	s_mulk_i32 s0, 0x20c5
	v_dual_mov_b32 v5, s4 :: v_dual_mov_b32 v1, 0
	s_lshr_b32 s0, s0, 20
	s_mov_b32 s5, s3
	s_mulk_i32 s0, 0x3e8
	s_delay_alu instid0(SALU_CYCLE_1) | instskip(NEXT) | instid1(SALU_CYCLE_1)
	s_sub_co_i32 s0, s4, s0
	s_and_b32 s0, s0, 0xffff
	s_delay_alu instid0(SALU_CYCLE_1) | instskip(NEXT) | instid1(SALU_CYCLE_1)
	s_lshl_b32 s0, s0, 12
	v_add_nc_u64_e32 v[6:7], s[0:1], v[10:11]
	v_add_nc_u64_e32 v[14:15], s[0:1], v[12:13]
	s_mov_b32 s1, 0
	global_store_b128 v[6:7], v[2:5], off th:TH_STORE_NT
.LBB0_457:                              ;   Parent Loop BB0_1 Depth=1
                                        ; =>  This Inner Loop Header: Depth=2
	s_wait_loadcnt 0x0
	global_load_b128 v[6:9], v[14:15], off th:TH_LOAD_NT
	v_add_nc_u32_e32 v1, 1, v1
	s_mov_b32 s0, -1
	s_mov_b32 s7, -1
	s_mov_b32 s12, exec_lo
	s_wait_xcnt 0x0
	v_cmpx_eq_u32_e32 0xf4240, v1
	s_cbranch_execz .LBB0_459
; %bb.458:                              ;   in Loop: Header=BB0_457 Depth=2
	s_wait_loadcnt 0x0
	s_wait_storecnt 0x0
	global_load_b32 v1, v4, s[10:11] scope:SCOPE_SYS
	s_wait_loadcnt 0x0
	global_inv scope:SCOPE_SYS
	v_cmp_eq_u32_e32 vcc_lo, 0, v1
	v_mov_b32_e32 v1, 0
	s_or_not1_b32 s7, vcc_lo, exec_lo
.LBB0_459:                              ;   in Loop: Header=BB0_457 Depth=2
	s_wait_xcnt 0x0
	s_or_b32 exec_lo, exec_lo, s12
	s_and_saveexec_b32 s12, s7
	s_cbranch_execz .LBB0_461
; %bb.460:                              ;   in Loop: Header=BB0_457 Depth=2
	s_wait_loadcnt 0x0
	v_cmp_eq_u32_e32 vcc_lo, s4, v7
	v_cmp_eq_u32_e64 s0, s4, v9
	s_and_b32 s0, vcc_lo, s0
	s_delay_alu instid0(SALU_CYCLE_1)
	s_or_not1_b32 s0, s0, exec_lo
.LBB0_461:                              ;   in Loop: Header=BB0_457 Depth=2
	s_or_b32 exec_lo, exec_lo, s12
	s_delay_alu instid0(SALU_CYCLE_1) | instskip(NEXT) | instid1(SALU_CYCLE_1)
	s_and_b32 s0, exec_lo, s0
	s_or_b32 s6, s0, s6
	s_delay_alu instid0(SALU_CYCLE_1)
	s_and_not1_b32 exec_lo, exec_lo, s6
	s_cbranch_execnz .LBB0_457
; %bb.462:                              ;   in Loop: Header=BB0_457 Depth=2
	s_or_b32 exec_lo, exec_lo, s6
	s_wait_loadcnt 0x0
	v_dual_mov_b32 v7, v8 :: v_dual_mov_b32 v1, 0
	s_mov_b32 s6, 0
	s_delay_alu instid0(VALU_DEP_1) | instskip(SKIP_1) | instid1(SALU_CYCLE_1)
	v_cmp_eq_u64_e32 vcc_lo, s[4:5], v[6:7]
	s_or_b32 s1, vcc_lo, s1
	s_and_not1_b32 exec_lo, exec_lo, s1
	s_cbranch_execnz .LBB0_457
; %bb.463:                              ;   in Loop: Header=BB0_1 Depth=1
	s_or_b32 exec_lo, exec_lo, s1
	s_add_co_i32 s4, s2, 0x42
	s_mov_b32 s1, s3
	s_bfe_u32 s0, s4, 0x100003
	v_dual_mov_b32 v2, s4 :: v_dual_mov_b32 v3, s4
	s_mulk_i32 s0, 0x20c5
	v_dual_mov_b32 v5, s4 :: v_dual_mov_b32 v1, 0
	s_lshr_b32 s0, s0, 20
	s_mov_b32 s5, s3
	s_mulk_i32 s0, 0x3e8
	s_delay_alu instid0(SALU_CYCLE_1) | instskip(NEXT) | instid1(SALU_CYCLE_1)
	s_sub_co_i32 s0, s4, s0
	s_and_b32 s0, s0, 0xffff
	s_delay_alu instid0(SALU_CYCLE_1) | instskip(NEXT) | instid1(SALU_CYCLE_1)
	s_lshl_b32 s0, s0, 12
	v_add_nc_u64_e32 v[6:7], s[0:1], v[10:11]
	v_add_nc_u64_e32 v[14:15], s[0:1], v[12:13]
	s_mov_b32 s1, 0
	global_store_b128 v[6:7], v[2:5], off th:TH_STORE_NT
.LBB0_464:                              ;   Parent Loop BB0_1 Depth=1
                                        ; =>  This Inner Loop Header: Depth=2
	s_wait_loadcnt 0x0
	global_load_b128 v[6:9], v[14:15], off th:TH_LOAD_NT
	v_add_nc_u32_e32 v1, 1, v1
	s_mov_b32 s0, -1
	s_mov_b32 s7, -1
	s_mov_b32 s12, exec_lo
	s_wait_xcnt 0x0
	v_cmpx_eq_u32_e32 0xf4240, v1
	s_cbranch_execz .LBB0_466
; %bb.465:                              ;   in Loop: Header=BB0_464 Depth=2
	s_wait_loadcnt 0x0
	s_wait_storecnt 0x0
	global_load_b32 v1, v4, s[10:11] scope:SCOPE_SYS
	s_wait_loadcnt 0x0
	global_inv scope:SCOPE_SYS
	v_cmp_eq_u32_e32 vcc_lo, 0, v1
	v_mov_b32_e32 v1, 0
	s_or_not1_b32 s7, vcc_lo, exec_lo
.LBB0_466:                              ;   in Loop: Header=BB0_464 Depth=2
	s_wait_xcnt 0x0
	s_or_b32 exec_lo, exec_lo, s12
	s_and_saveexec_b32 s12, s7
	s_cbranch_execz .LBB0_468
; %bb.467:                              ;   in Loop: Header=BB0_464 Depth=2
	s_wait_loadcnt 0x0
	v_cmp_eq_u32_e32 vcc_lo, s4, v7
	v_cmp_eq_u32_e64 s0, s4, v9
	s_and_b32 s0, vcc_lo, s0
	s_delay_alu instid0(SALU_CYCLE_1)
	s_or_not1_b32 s0, s0, exec_lo
.LBB0_468:                              ;   in Loop: Header=BB0_464 Depth=2
	s_or_b32 exec_lo, exec_lo, s12
	s_delay_alu instid0(SALU_CYCLE_1) | instskip(NEXT) | instid1(SALU_CYCLE_1)
	s_and_b32 s0, exec_lo, s0
	s_or_b32 s6, s0, s6
	s_delay_alu instid0(SALU_CYCLE_1)
	s_and_not1_b32 exec_lo, exec_lo, s6
	s_cbranch_execnz .LBB0_464
; %bb.469:                              ;   in Loop: Header=BB0_464 Depth=2
	s_or_b32 exec_lo, exec_lo, s6
	s_wait_loadcnt 0x0
	v_dual_mov_b32 v7, v8 :: v_dual_mov_b32 v1, 0
	s_mov_b32 s6, 0
	s_delay_alu instid0(VALU_DEP_1) | instskip(SKIP_1) | instid1(SALU_CYCLE_1)
	v_cmp_eq_u64_e32 vcc_lo, s[4:5], v[6:7]
	s_or_b32 s1, vcc_lo, s1
	s_and_not1_b32 exec_lo, exec_lo, s1
	s_cbranch_execnz .LBB0_464
; %bb.470:                              ;   in Loop: Header=BB0_1 Depth=1
	s_or_b32 exec_lo, exec_lo, s1
	s_add_co_i32 s4, s2, 0x43
	s_mov_b32 s1, s3
	s_bfe_u32 s0, s4, 0x100003
	v_dual_mov_b32 v2, s4 :: v_dual_mov_b32 v3, s4
	s_mulk_i32 s0, 0x20c5
	v_dual_mov_b32 v5, s4 :: v_dual_mov_b32 v1, 0
	s_lshr_b32 s0, s0, 20
	s_mov_b32 s5, s3
	s_mulk_i32 s0, 0x3e8
	s_delay_alu instid0(SALU_CYCLE_1) | instskip(NEXT) | instid1(SALU_CYCLE_1)
	s_sub_co_i32 s0, s4, s0
	s_and_b32 s0, s0, 0xffff
	s_delay_alu instid0(SALU_CYCLE_1) | instskip(NEXT) | instid1(SALU_CYCLE_1)
	s_lshl_b32 s0, s0, 12
	v_add_nc_u64_e32 v[6:7], s[0:1], v[10:11]
	v_add_nc_u64_e32 v[14:15], s[0:1], v[12:13]
	s_mov_b32 s1, 0
	global_store_b128 v[6:7], v[2:5], off th:TH_STORE_NT
.LBB0_471:                              ;   Parent Loop BB0_1 Depth=1
                                        ; =>  This Inner Loop Header: Depth=2
	s_wait_loadcnt 0x0
	global_load_b128 v[6:9], v[14:15], off th:TH_LOAD_NT
	v_add_nc_u32_e32 v1, 1, v1
	s_mov_b32 s0, -1
	s_mov_b32 s7, -1
	s_mov_b32 s12, exec_lo
	s_wait_xcnt 0x0
	v_cmpx_eq_u32_e32 0xf4240, v1
	s_cbranch_execz .LBB0_473
; %bb.472:                              ;   in Loop: Header=BB0_471 Depth=2
	s_wait_loadcnt 0x0
	s_wait_storecnt 0x0
	global_load_b32 v1, v4, s[10:11] scope:SCOPE_SYS
	s_wait_loadcnt 0x0
	global_inv scope:SCOPE_SYS
	v_cmp_eq_u32_e32 vcc_lo, 0, v1
	v_mov_b32_e32 v1, 0
	s_or_not1_b32 s7, vcc_lo, exec_lo
.LBB0_473:                              ;   in Loop: Header=BB0_471 Depth=2
	s_wait_xcnt 0x0
	s_or_b32 exec_lo, exec_lo, s12
	s_and_saveexec_b32 s12, s7
	s_cbranch_execz .LBB0_475
; %bb.474:                              ;   in Loop: Header=BB0_471 Depth=2
	s_wait_loadcnt 0x0
	v_cmp_eq_u32_e32 vcc_lo, s4, v7
	v_cmp_eq_u32_e64 s0, s4, v9
	s_and_b32 s0, vcc_lo, s0
	s_delay_alu instid0(SALU_CYCLE_1)
	s_or_not1_b32 s0, s0, exec_lo
.LBB0_475:                              ;   in Loop: Header=BB0_471 Depth=2
	s_or_b32 exec_lo, exec_lo, s12
	s_delay_alu instid0(SALU_CYCLE_1) | instskip(NEXT) | instid1(SALU_CYCLE_1)
	s_and_b32 s0, exec_lo, s0
	s_or_b32 s6, s0, s6
	s_delay_alu instid0(SALU_CYCLE_1)
	s_and_not1_b32 exec_lo, exec_lo, s6
	s_cbranch_execnz .LBB0_471
; %bb.476:                              ;   in Loop: Header=BB0_471 Depth=2
	s_or_b32 exec_lo, exec_lo, s6
	s_wait_loadcnt 0x0
	v_dual_mov_b32 v7, v8 :: v_dual_mov_b32 v1, 0
	s_mov_b32 s6, 0
	s_delay_alu instid0(VALU_DEP_1) | instskip(SKIP_1) | instid1(SALU_CYCLE_1)
	v_cmp_eq_u64_e32 vcc_lo, s[4:5], v[6:7]
	s_or_b32 s1, vcc_lo, s1
	s_and_not1_b32 exec_lo, exec_lo, s1
	s_cbranch_execnz .LBB0_471
; %bb.477:                              ;   in Loop: Header=BB0_1 Depth=1
	s_or_b32 exec_lo, exec_lo, s1
	s_add_co_i32 s4, s2, 0x44
	s_mov_b32 s1, s3
	s_bfe_u32 s0, s4, 0x100003
	v_dual_mov_b32 v2, s4 :: v_dual_mov_b32 v3, s4
	s_mulk_i32 s0, 0x20c5
	v_dual_mov_b32 v5, s4 :: v_dual_mov_b32 v1, 0
	s_lshr_b32 s0, s0, 20
	s_mov_b32 s5, s3
	s_mulk_i32 s0, 0x3e8
	s_delay_alu instid0(SALU_CYCLE_1) | instskip(NEXT) | instid1(SALU_CYCLE_1)
	s_sub_co_i32 s0, s4, s0
	s_and_b32 s0, s0, 0xffff
	s_delay_alu instid0(SALU_CYCLE_1) | instskip(NEXT) | instid1(SALU_CYCLE_1)
	s_lshl_b32 s0, s0, 12
	v_add_nc_u64_e32 v[6:7], s[0:1], v[10:11]
	v_add_nc_u64_e32 v[14:15], s[0:1], v[12:13]
	s_mov_b32 s1, 0
	global_store_b128 v[6:7], v[2:5], off th:TH_STORE_NT
.LBB0_478:                              ;   Parent Loop BB0_1 Depth=1
                                        ; =>  This Inner Loop Header: Depth=2
	s_wait_loadcnt 0x0
	global_load_b128 v[6:9], v[14:15], off th:TH_LOAD_NT
	v_add_nc_u32_e32 v1, 1, v1
	s_mov_b32 s0, -1
	s_mov_b32 s7, -1
	s_mov_b32 s12, exec_lo
	s_wait_xcnt 0x0
	v_cmpx_eq_u32_e32 0xf4240, v1
	s_cbranch_execz .LBB0_480
; %bb.479:                              ;   in Loop: Header=BB0_478 Depth=2
	s_wait_loadcnt 0x0
	s_wait_storecnt 0x0
	global_load_b32 v1, v4, s[10:11] scope:SCOPE_SYS
	s_wait_loadcnt 0x0
	global_inv scope:SCOPE_SYS
	v_cmp_eq_u32_e32 vcc_lo, 0, v1
	v_mov_b32_e32 v1, 0
	s_or_not1_b32 s7, vcc_lo, exec_lo
.LBB0_480:                              ;   in Loop: Header=BB0_478 Depth=2
	s_wait_xcnt 0x0
	s_or_b32 exec_lo, exec_lo, s12
	s_and_saveexec_b32 s12, s7
	s_cbranch_execz .LBB0_482
; %bb.481:                              ;   in Loop: Header=BB0_478 Depth=2
	s_wait_loadcnt 0x0
	v_cmp_eq_u32_e32 vcc_lo, s4, v7
	v_cmp_eq_u32_e64 s0, s4, v9
	s_and_b32 s0, vcc_lo, s0
	s_delay_alu instid0(SALU_CYCLE_1)
	s_or_not1_b32 s0, s0, exec_lo
.LBB0_482:                              ;   in Loop: Header=BB0_478 Depth=2
	s_or_b32 exec_lo, exec_lo, s12
	s_delay_alu instid0(SALU_CYCLE_1) | instskip(NEXT) | instid1(SALU_CYCLE_1)
	s_and_b32 s0, exec_lo, s0
	s_or_b32 s6, s0, s6
	s_delay_alu instid0(SALU_CYCLE_1)
	s_and_not1_b32 exec_lo, exec_lo, s6
	s_cbranch_execnz .LBB0_478
; %bb.483:                              ;   in Loop: Header=BB0_478 Depth=2
	s_or_b32 exec_lo, exec_lo, s6
	s_wait_loadcnt 0x0
	v_dual_mov_b32 v7, v8 :: v_dual_mov_b32 v1, 0
	s_mov_b32 s6, 0
	s_delay_alu instid0(VALU_DEP_1) | instskip(SKIP_1) | instid1(SALU_CYCLE_1)
	v_cmp_eq_u64_e32 vcc_lo, s[4:5], v[6:7]
	s_or_b32 s1, vcc_lo, s1
	s_and_not1_b32 exec_lo, exec_lo, s1
	s_cbranch_execnz .LBB0_478
; %bb.484:                              ;   in Loop: Header=BB0_1 Depth=1
	s_or_b32 exec_lo, exec_lo, s1
	s_add_co_i32 s4, s2, 0x45
	s_mov_b32 s1, s3
	s_bfe_u32 s0, s4, 0x100003
	v_dual_mov_b32 v2, s4 :: v_dual_mov_b32 v3, s4
	s_mulk_i32 s0, 0x20c5
	v_dual_mov_b32 v5, s4 :: v_dual_mov_b32 v1, 0
	s_lshr_b32 s0, s0, 20
	s_mov_b32 s5, s3
	s_mulk_i32 s0, 0x3e8
	s_delay_alu instid0(SALU_CYCLE_1) | instskip(NEXT) | instid1(SALU_CYCLE_1)
	s_sub_co_i32 s0, s4, s0
	s_and_b32 s0, s0, 0xffff
	s_delay_alu instid0(SALU_CYCLE_1) | instskip(NEXT) | instid1(SALU_CYCLE_1)
	s_lshl_b32 s0, s0, 12
	v_add_nc_u64_e32 v[6:7], s[0:1], v[10:11]
	v_add_nc_u64_e32 v[14:15], s[0:1], v[12:13]
	s_mov_b32 s1, 0
	global_store_b128 v[6:7], v[2:5], off th:TH_STORE_NT
.LBB0_485:                              ;   Parent Loop BB0_1 Depth=1
                                        ; =>  This Inner Loop Header: Depth=2
	s_wait_loadcnt 0x0
	global_load_b128 v[6:9], v[14:15], off th:TH_LOAD_NT
	v_add_nc_u32_e32 v1, 1, v1
	s_mov_b32 s0, -1
	s_mov_b32 s7, -1
	s_mov_b32 s12, exec_lo
	s_wait_xcnt 0x0
	v_cmpx_eq_u32_e32 0xf4240, v1
	s_cbranch_execz .LBB0_487
; %bb.486:                              ;   in Loop: Header=BB0_485 Depth=2
	s_wait_loadcnt 0x0
	s_wait_storecnt 0x0
	global_load_b32 v1, v4, s[10:11] scope:SCOPE_SYS
	s_wait_loadcnt 0x0
	global_inv scope:SCOPE_SYS
	v_cmp_eq_u32_e32 vcc_lo, 0, v1
	v_mov_b32_e32 v1, 0
	s_or_not1_b32 s7, vcc_lo, exec_lo
.LBB0_487:                              ;   in Loop: Header=BB0_485 Depth=2
	s_wait_xcnt 0x0
	s_or_b32 exec_lo, exec_lo, s12
	s_and_saveexec_b32 s12, s7
	s_cbranch_execz .LBB0_489
; %bb.488:                              ;   in Loop: Header=BB0_485 Depth=2
	s_wait_loadcnt 0x0
	v_cmp_eq_u32_e32 vcc_lo, s4, v7
	v_cmp_eq_u32_e64 s0, s4, v9
	s_and_b32 s0, vcc_lo, s0
	s_delay_alu instid0(SALU_CYCLE_1)
	s_or_not1_b32 s0, s0, exec_lo
.LBB0_489:                              ;   in Loop: Header=BB0_485 Depth=2
	s_or_b32 exec_lo, exec_lo, s12
	s_delay_alu instid0(SALU_CYCLE_1) | instskip(NEXT) | instid1(SALU_CYCLE_1)
	s_and_b32 s0, exec_lo, s0
	s_or_b32 s6, s0, s6
	s_delay_alu instid0(SALU_CYCLE_1)
	s_and_not1_b32 exec_lo, exec_lo, s6
	s_cbranch_execnz .LBB0_485
; %bb.490:                              ;   in Loop: Header=BB0_485 Depth=2
	s_or_b32 exec_lo, exec_lo, s6
	s_wait_loadcnt 0x0
	v_dual_mov_b32 v7, v8 :: v_dual_mov_b32 v1, 0
	s_mov_b32 s6, 0
	s_delay_alu instid0(VALU_DEP_1) | instskip(SKIP_1) | instid1(SALU_CYCLE_1)
	v_cmp_eq_u64_e32 vcc_lo, s[4:5], v[6:7]
	s_or_b32 s1, vcc_lo, s1
	s_and_not1_b32 exec_lo, exec_lo, s1
	s_cbranch_execnz .LBB0_485
; %bb.491:                              ;   in Loop: Header=BB0_1 Depth=1
	s_or_b32 exec_lo, exec_lo, s1
	s_add_co_i32 s4, s2, 0x46
	s_mov_b32 s1, s3
	s_bfe_u32 s0, s4, 0x100003
	v_dual_mov_b32 v2, s4 :: v_dual_mov_b32 v3, s4
	s_mulk_i32 s0, 0x20c5
	v_dual_mov_b32 v5, s4 :: v_dual_mov_b32 v1, 0
	s_lshr_b32 s0, s0, 20
	s_mov_b32 s5, s3
	s_mulk_i32 s0, 0x3e8
	s_delay_alu instid0(SALU_CYCLE_1) | instskip(NEXT) | instid1(SALU_CYCLE_1)
	s_sub_co_i32 s0, s4, s0
	s_and_b32 s0, s0, 0xffff
	s_delay_alu instid0(SALU_CYCLE_1) | instskip(NEXT) | instid1(SALU_CYCLE_1)
	s_lshl_b32 s0, s0, 12
	v_add_nc_u64_e32 v[6:7], s[0:1], v[10:11]
	v_add_nc_u64_e32 v[14:15], s[0:1], v[12:13]
	s_mov_b32 s1, 0
	global_store_b128 v[6:7], v[2:5], off th:TH_STORE_NT
.LBB0_492:                              ;   Parent Loop BB0_1 Depth=1
                                        ; =>  This Inner Loop Header: Depth=2
	s_wait_loadcnt 0x0
	global_load_b128 v[6:9], v[14:15], off th:TH_LOAD_NT
	v_add_nc_u32_e32 v1, 1, v1
	s_mov_b32 s0, -1
	s_mov_b32 s7, -1
	s_mov_b32 s12, exec_lo
	s_wait_xcnt 0x0
	v_cmpx_eq_u32_e32 0xf4240, v1
	s_cbranch_execz .LBB0_494
; %bb.493:                              ;   in Loop: Header=BB0_492 Depth=2
	s_wait_loadcnt 0x0
	s_wait_storecnt 0x0
	global_load_b32 v1, v4, s[10:11] scope:SCOPE_SYS
	s_wait_loadcnt 0x0
	global_inv scope:SCOPE_SYS
	v_cmp_eq_u32_e32 vcc_lo, 0, v1
	v_mov_b32_e32 v1, 0
	s_or_not1_b32 s7, vcc_lo, exec_lo
.LBB0_494:                              ;   in Loop: Header=BB0_492 Depth=2
	s_wait_xcnt 0x0
	s_or_b32 exec_lo, exec_lo, s12
	s_and_saveexec_b32 s12, s7
	s_cbranch_execz .LBB0_496
; %bb.495:                              ;   in Loop: Header=BB0_492 Depth=2
	s_wait_loadcnt 0x0
	v_cmp_eq_u32_e32 vcc_lo, s4, v7
	v_cmp_eq_u32_e64 s0, s4, v9
	s_and_b32 s0, vcc_lo, s0
	s_delay_alu instid0(SALU_CYCLE_1)
	s_or_not1_b32 s0, s0, exec_lo
.LBB0_496:                              ;   in Loop: Header=BB0_492 Depth=2
	s_or_b32 exec_lo, exec_lo, s12
	s_delay_alu instid0(SALU_CYCLE_1) | instskip(NEXT) | instid1(SALU_CYCLE_1)
	s_and_b32 s0, exec_lo, s0
	s_or_b32 s6, s0, s6
	s_delay_alu instid0(SALU_CYCLE_1)
	s_and_not1_b32 exec_lo, exec_lo, s6
	s_cbranch_execnz .LBB0_492
; %bb.497:                              ;   in Loop: Header=BB0_492 Depth=2
	s_or_b32 exec_lo, exec_lo, s6
	s_wait_loadcnt 0x0
	v_dual_mov_b32 v7, v8 :: v_dual_mov_b32 v1, 0
	s_mov_b32 s6, 0
	s_delay_alu instid0(VALU_DEP_1) | instskip(SKIP_1) | instid1(SALU_CYCLE_1)
	v_cmp_eq_u64_e32 vcc_lo, s[4:5], v[6:7]
	s_or_b32 s1, vcc_lo, s1
	s_and_not1_b32 exec_lo, exec_lo, s1
	s_cbranch_execnz .LBB0_492
; %bb.498:                              ;   in Loop: Header=BB0_1 Depth=1
	s_or_b32 exec_lo, exec_lo, s1
	s_add_co_i32 s4, s2, 0x47
	s_mov_b32 s1, s3
	s_bfe_u32 s0, s4, 0x100003
	v_dual_mov_b32 v2, s4 :: v_dual_mov_b32 v3, s4
	s_mulk_i32 s0, 0x20c5
	v_dual_mov_b32 v5, s4 :: v_dual_mov_b32 v1, 0
	s_lshr_b32 s0, s0, 20
	s_mov_b32 s5, s3
	s_mulk_i32 s0, 0x3e8
	s_delay_alu instid0(SALU_CYCLE_1) | instskip(NEXT) | instid1(SALU_CYCLE_1)
	s_sub_co_i32 s0, s4, s0
	s_and_b32 s0, s0, 0xffff
	s_delay_alu instid0(SALU_CYCLE_1) | instskip(NEXT) | instid1(SALU_CYCLE_1)
	s_lshl_b32 s0, s0, 12
	v_add_nc_u64_e32 v[6:7], s[0:1], v[10:11]
	v_add_nc_u64_e32 v[14:15], s[0:1], v[12:13]
	s_mov_b32 s1, 0
	global_store_b128 v[6:7], v[2:5], off th:TH_STORE_NT
.LBB0_499:                              ;   Parent Loop BB0_1 Depth=1
                                        ; =>  This Inner Loop Header: Depth=2
	s_wait_loadcnt 0x0
	global_load_b128 v[6:9], v[14:15], off th:TH_LOAD_NT
	v_add_nc_u32_e32 v1, 1, v1
	s_mov_b32 s0, -1
	s_mov_b32 s7, -1
	s_mov_b32 s12, exec_lo
	s_wait_xcnt 0x0
	v_cmpx_eq_u32_e32 0xf4240, v1
	s_cbranch_execz .LBB0_501
; %bb.500:                              ;   in Loop: Header=BB0_499 Depth=2
	s_wait_loadcnt 0x0
	s_wait_storecnt 0x0
	global_load_b32 v1, v4, s[10:11] scope:SCOPE_SYS
	s_wait_loadcnt 0x0
	global_inv scope:SCOPE_SYS
	v_cmp_eq_u32_e32 vcc_lo, 0, v1
	v_mov_b32_e32 v1, 0
	s_or_not1_b32 s7, vcc_lo, exec_lo
.LBB0_501:                              ;   in Loop: Header=BB0_499 Depth=2
	s_wait_xcnt 0x0
	s_or_b32 exec_lo, exec_lo, s12
	s_and_saveexec_b32 s12, s7
	s_cbranch_execz .LBB0_503
; %bb.502:                              ;   in Loop: Header=BB0_499 Depth=2
	s_wait_loadcnt 0x0
	v_cmp_eq_u32_e32 vcc_lo, s4, v7
	v_cmp_eq_u32_e64 s0, s4, v9
	s_and_b32 s0, vcc_lo, s0
	s_delay_alu instid0(SALU_CYCLE_1)
	s_or_not1_b32 s0, s0, exec_lo
.LBB0_503:                              ;   in Loop: Header=BB0_499 Depth=2
	s_or_b32 exec_lo, exec_lo, s12
	s_delay_alu instid0(SALU_CYCLE_1) | instskip(NEXT) | instid1(SALU_CYCLE_1)
	s_and_b32 s0, exec_lo, s0
	s_or_b32 s6, s0, s6
	s_delay_alu instid0(SALU_CYCLE_1)
	s_and_not1_b32 exec_lo, exec_lo, s6
	s_cbranch_execnz .LBB0_499
; %bb.504:                              ;   in Loop: Header=BB0_499 Depth=2
	s_or_b32 exec_lo, exec_lo, s6
	s_wait_loadcnt 0x0
	v_dual_mov_b32 v7, v8 :: v_dual_mov_b32 v1, 0
	s_mov_b32 s6, 0
	s_delay_alu instid0(VALU_DEP_1) | instskip(SKIP_1) | instid1(SALU_CYCLE_1)
	v_cmp_eq_u64_e32 vcc_lo, s[4:5], v[6:7]
	s_or_b32 s1, vcc_lo, s1
	s_and_not1_b32 exec_lo, exec_lo, s1
	s_cbranch_execnz .LBB0_499
; %bb.505:                              ;   in Loop: Header=BB0_1 Depth=1
	s_or_b32 exec_lo, exec_lo, s1
	s_add_co_i32 s4, s2, 0x48
	s_mov_b32 s1, s3
	s_bfe_u32 s0, s4, 0x100003
	v_dual_mov_b32 v2, s4 :: v_dual_mov_b32 v3, s4
	s_mulk_i32 s0, 0x20c5
	v_dual_mov_b32 v5, s4 :: v_dual_mov_b32 v1, 0
	s_lshr_b32 s0, s0, 20
	s_mov_b32 s5, s3
	s_mulk_i32 s0, 0x3e8
	s_delay_alu instid0(SALU_CYCLE_1) | instskip(NEXT) | instid1(SALU_CYCLE_1)
	s_sub_co_i32 s0, s4, s0
	s_and_b32 s0, s0, 0xffff
	s_delay_alu instid0(SALU_CYCLE_1) | instskip(NEXT) | instid1(SALU_CYCLE_1)
	s_lshl_b32 s0, s0, 12
	v_add_nc_u64_e32 v[6:7], s[0:1], v[10:11]
	v_add_nc_u64_e32 v[14:15], s[0:1], v[12:13]
	s_mov_b32 s1, 0
	global_store_b128 v[6:7], v[2:5], off th:TH_STORE_NT
.LBB0_506:                              ;   Parent Loop BB0_1 Depth=1
                                        ; =>  This Inner Loop Header: Depth=2
	s_wait_loadcnt 0x0
	global_load_b128 v[6:9], v[14:15], off th:TH_LOAD_NT
	v_add_nc_u32_e32 v1, 1, v1
	s_mov_b32 s0, -1
	s_mov_b32 s7, -1
	s_mov_b32 s12, exec_lo
	s_wait_xcnt 0x0
	v_cmpx_eq_u32_e32 0xf4240, v1
	s_cbranch_execz .LBB0_508
; %bb.507:                              ;   in Loop: Header=BB0_506 Depth=2
	s_wait_loadcnt 0x0
	s_wait_storecnt 0x0
	global_load_b32 v1, v4, s[10:11] scope:SCOPE_SYS
	s_wait_loadcnt 0x0
	global_inv scope:SCOPE_SYS
	v_cmp_eq_u32_e32 vcc_lo, 0, v1
	v_mov_b32_e32 v1, 0
	s_or_not1_b32 s7, vcc_lo, exec_lo
.LBB0_508:                              ;   in Loop: Header=BB0_506 Depth=2
	s_wait_xcnt 0x0
	s_or_b32 exec_lo, exec_lo, s12
	s_and_saveexec_b32 s12, s7
	s_cbranch_execz .LBB0_510
; %bb.509:                              ;   in Loop: Header=BB0_506 Depth=2
	s_wait_loadcnt 0x0
	v_cmp_eq_u32_e32 vcc_lo, s4, v7
	v_cmp_eq_u32_e64 s0, s4, v9
	s_and_b32 s0, vcc_lo, s0
	s_delay_alu instid0(SALU_CYCLE_1)
	s_or_not1_b32 s0, s0, exec_lo
.LBB0_510:                              ;   in Loop: Header=BB0_506 Depth=2
	s_or_b32 exec_lo, exec_lo, s12
	s_delay_alu instid0(SALU_CYCLE_1) | instskip(NEXT) | instid1(SALU_CYCLE_1)
	s_and_b32 s0, exec_lo, s0
	s_or_b32 s6, s0, s6
	s_delay_alu instid0(SALU_CYCLE_1)
	s_and_not1_b32 exec_lo, exec_lo, s6
	s_cbranch_execnz .LBB0_506
; %bb.511:                              ;   in Loop: Header=BB0_506 Depth=2
	s_or_b32 exec_lo, exec_lo, s6
	s_wait_loadcnt 0x0
	v_dual_mov_b32 v7, v8 :: v_dual_mov_b32 v1, 0
	s_mov_b32 s6, 0
	s_delay_alu instid0(VALU_DEP_1) | instskip(SKIP_1) | instid1(SALU_CYCLE_1)
	v_cmp_eq_u64_e32 vcc_lo, s[4:5], v[6:7]
	s_or_b32 s1, vcc_lo, s1
	s_and_not1_b32 exec_lo, exec_lo, s1
	s_cbranch_execnz .LBB0_506
; %bb.512:                              ;   in Loop: Header=BB0_1 Depth=1
	s_or_b32 exec_lo, exec_lo, s1
	s_add_co_i32 s4, s2, 0x49
	s_mov_b32 s1, s3
	s_bfe_u32 s0, s4, 0x100003
	v_dual_mov_b32 v2, s4 :: v_dual_mov_b32 v3, s4
	s_mulk_i32 s0, 0x20c5
	v_dual_mov_b32 v5, s4 :: v_dual_mov_b32 v1, 0
	s_lshr_b32 s0, s0, 20
	s_mov_b32 s5, s3
	s_mulk_i32 s0, 0x3e8
	s_delay_alu instid0(SALU_CYCLE_1) | instskip(NEXT) | instid1(SALU_CYCLE_1)
	s_sub_co_i32 s0, s4, s0
	s_and_b32 s0, s0, 0xffff
	s_delay_alu instid0(SALU_CYCLE_1) | instskip(NEXT) | instid1(SALU_CYCLE_1)
	s_lshl_b32 s0, s0, 12
	v_add_nc_u64_e32 v[6:7], s[0:1], v[10:11]
	v_add_nc_u64_e32 v[14:15], s[0:1], v[12:13]
	s_mov_b32 s1, 0
	global_store_b128 v[6:7], v[2:5], off th:TH_STORE_NT
.LBB0_513:                              ;   Parent Loop BB0_1 Depth=1
                                        ; =>  This Inner Loop Header: Depth=2
	s_wait_loadcnt 0x0
	global_load_b128 v[6:9], v[14:15], off th:TH_LOAD_NT
	v_add_nc_u32_e32 v1, 1, v1
	s_mov_b32 s0, -1
	s_mov_b32 s7, -1
	s_mov_b32 s12, exec_lo
	s_wait_xcnt 0x0
	v_cmpx_eq_u32_e32 0xf4240, v1
	s_cbranch_execz .LBB0_515
; %bb.514:                              ;   in Loop: Header=BB0_513 Depth=2
	s_wait_loadcnt 0x0
	s_wait_storecnt 0x0
	global_load_b32 v1, v4, s[10:11] scope:SCOPE_SYS
	s_wait_loadcnt 0x0
	global_inv scope:SCOPE_SYS
	v_cmp_eq_u32_e32 vcc_lo, 0, v1
	v_mov_b32_e32 v1, 0
	s_or_not1_b32 s7, vcc_lo, exec_lo
.LBB0_515:                              ;   in Loop: Header=BB0_513 Depth=2
	s_wait_xcnt 0x0
	s_or_b32 exec_lo, exec_lo, s12
	s_and_saveexec_b32 s12, s7
	s_cbranch_execz .LBB0_517
; %bb.516:                              ;   in Loop: Header=BB0_513 Depth=2
	s_wait_loadcnt 0x0
	v_cmp_eq_u32_e32 vcc_lo, s4, v7
	v_cmp_eq_u32_e64 s0, s4, v9
	s_and_b32 s0, vcc_lo, s0
	s_delay_alu instid0(SALU_CYCLE_1)
	s_or_not1_b32 s0, s0, exec_lo
.LBB0_517:                              ;   in Loop: Header=BB0_513 Depth=2
	s_or_b32 exec_lo, exec_lo, s12
	s_delay_alu instid0(SALU_CYCLE_1) | instskip(NEXT) | instid1(SALU_CYCLE_1)
	s_and_b32 s0, exec_lo, s0
	s_or_b32 s6, s0, s6
	s_delay_alu instid0(SALU_CYCLE_1)
	s_and_not1_b32 exec_lo, exec_lo, s6
	s_cbranch_execnz .LBB0_513
; %bb.518:                              ;   in Loop: Header=BB0_513 Depth=2
	s_or_b32 exec_lo, exec_lo, s6
	s_wait_loadcnt 0x0
	v_dual_mov_b32 v7, v8 :: v_dual_mov_b32 v1, 0
	s_mov_b32 s6, 0
	s_delay_alu instid0(VALU_DEP_1) | instskip(SKIP_1) | instid1(SALU_CYCLE_1)
	v_cmp_eq_u64_e32 vcc_lo, s[4:5], v[6:7]
	s_or_b32 s1, vcc_lo, s1
	s_and_not1_b32 exec_lo, exec_lo, s1
	s_cbranch_execnz .LBB0_513
; %bb.519:                              ;   in Loop: Header=BB0_1 Depth=1
	s_or_b32 exec_lo, exec_lo, s1
	s_add_co_i32 s4, s2, 0x4a
	s_mov_b32 s1, s3
	s_bfe_u32 s0, s4, 0x100003
	v_dual_mov_b32 v2, s4 :: v_dual_mov_b32 v3, s4
	s_mulk_i32 s0, 0x20c5
	v_dual_mov_b32 v5, s4 :: v_dual_mov_b32 v1, 0
	s_lshr_b32 s0, s0, 20
	s_mov_b32 s5, s3
	s_mulk_i32 s0, 0x3e8
	s_delay_alu instid0(SALU_CYCLE_1) | instskip(NEXT) | instid1(SALU_CYCLE_1)
	s_sub_co_i32 s0, s4, s0
	s_and_b32 s0, s0, 0xffff
	s_delay_alu instid0(SALU_CYCLE_1) | instskip(NEXT) | instid1(SALU_CYCLE_1)
	s_lshl_b32 s0, s0, 12
	v_add_nc_u64_e32 v[6:7], s[0:1], v[10:11]
	v_add_nc_u64_e32 v[14:15], s[0:1], v[12:13]
	s_mov_b32 s1, 0
	global_store_b128 v[6:7], v[2:5], off th:TH_STORE_NT
.LBB0_520:                              ;   Parent Loop BB0_1 Depth=1
                                        ; =>  This Inner Loop Header: Depth=2
	s_wait_loadcnt 0x0
	global_load_b128 v[6:9], v[14:15], off th:TH_LOAD_NT
	v_add_nc_u32_e32 v1, 1, v1
	s_mov_b32 s0, -1
	s_mov_b32 s7, -1
	s_mov_b32 s12, exec_lo
	s_wait_xcnt 0x0
	v_cmpx_eq_u32_e32 0xf4240, v1
	s_cbranch_execz .LBB0_522
; %bb.521:                              ;   in Loop: Header=BB0_520 Depth=2
	s_wait_loadcnt 0x0
	s_wait_storecnt 0x0
	global_load_b32 v1, v4, s[10:11] scope:SCOPE_SYS
	s_wait_loadcnt 0x0
	global_inv scope:SCOPE_SYS
	v_cmp_eq_u32_e32 vcc_lo, 0, v1
	v_mov_b32_e32 v1, 0
	s_or_not1_b32 s7, vcc_lo, exec_lo
.LBB0_522:                              ;   in Loop: Header=BB0_520 Depth=2
	s_wait_xcnt 0x0
	s_or_b32 exec_lo, exec_lo, s12
	s_and_saveexec_b32 s12, s7
	s_cbranch_execz .LBB0_524
; %bb.523:                              ;   in Loop: Header=BB0_520 Depth=2
	s_wait_loadcnt 0x0
	v_cmp_eq_u32_e32 vcc_lo, s4, v7
	v_cmp_eq_u32_e64 s0, s4, v9
	s_and_b32 s0, vcc_lo, s0
	s_delay_alu instid0(SALU_CYCLE_1)
	s_or_not1_b32 s0, s0, exec_lo
.LBB0_524:                              ;   in Loop: Header=BB0_520 Depth=2
	s_or_b32 exec_lo, exec_lo, s12
	s_delay_alu instid0(SALU_CYCLE_1) | instskip(NEXT) | instid1(SALU_CYCLE_1)
	s_and_b32 s0, exec_lo, s0
	s_or_b32 s6, s0, s6
	s_delay_alu instid0(SALU_CYCLE_1)
	s_and_not1_b32 exec_lo, exec_lo, s6
	s_cbranch_execnz .LBB0_520
; %bb.525:                              ;   in Loop: Header=BB0_520 Depth=2
	s_or_b32 exec_lo, exec_lo, s6
	s_wait_loadcnt 0x0
	v_dual_mov_b32 v7, v8 :: v_dual_mov_b32 v1, 0
	s_mov_b32 s6, 0
	s_delay_alu instid0(VALU_DEP_1) | instskip(SKIP_1) | instid1(SALU_CYCLE_1)
	v_cmp_eq_u64_e32 vcc_lo, s[4:5], v[6:7]
	s_or_b32 s1, vcc_lo, s1
	s_and_not1_b32 exec_lo, exec_lo, s1
	s_cbranch_execnz .LBB0_520
; %bb.526:                              ;   in Loop: Header=BB0_1 Depth=1
	s_or_b32 exec_lo, exec_lo, s1
	s_add_co_i32 s4, s2, 0x4b
	s_mov_b32 s1, s3
	s_bfe_u32 s0, s4, 0x100003
	v_dual_mov_b32 v2, s4 :: v_dual_mov_b32 v3, s4
	s_mulk_i32 s0, 0x20c5
	v_dual_mov_b32 v5, s4 :: v_dual_mov_b32 v1, 0
	s_lshr_b32 s0, s0, 20
	s_mov_b32 s5, s3
	s_mulk_i32 s0, 0x3e8
	s_delay_alu instid0(SALU_CYCLE_1) | instskip(NEXT) | instid1(SALU_CYCLE_1)
	s_sub_co_i32 s0, s4, s0
	s_and_b32 s0, s0, 0xffff
	s_delay_alu instid0(SALU_CYCLE_1) | instskip(NEXT) | instid1(SALU_CYCLE_1)
	s_lshl_b32 s0, s0, 12
	v_add_nc_u64_e32 v[6:7], s[0:1], v[10:11]
	v_add_nc_u64_e32 v[14:15], s[0:1], v[12:13]
	s_mov_b32 s1, 0
	global_store_b128 v[6:7], v[2:5], off th:TH_STORE_NT
.LBB0_527:                              ;   Parent Loop BB0_1 Depth=1
                                        ; =>  This Inner Loop Header: Depth=2
	s_wait_loadcnt 0x0
	global_load_b128 v[6:9], v[14:15], off th:TH_LOAD_NT
	v_add_nc_u32_e32 v1, 1, v1
	s_mov_b32 s0, -1
	s_mov_b32 s7, -1
	s_mov_b32 s12, exec_lo
	s_wait_xcnt 0x0
	v_cmpx_eq_u32_e32 0xf4240, v1
	s_cbranch_execz .LBB0_529
; %bb.528:                              ;   in Loop: Header=BB0_527 Depth=2
	s_wait_loadcnt 0x0
	s_wait_storecnt 0x0
	global_load_b32 v1, v4, s[10:11] scope:SCOPE_SYS
	s_wait_loadcnt 0x0
	global_inv scope:SCOPE_SYS
	v_cmp_eq_u32_e32 vcc_lo, 0, v1
	v_mov_b32_e32 v1, 0
	s_or_not1_b32 s7, vcc_lo, exec_lo
.LBB0_529:                              ;   in Loop: Header=BB0_527 Depth=2
	s_wait_xcnt 0x0
	s_or_b32 exec_lo, exec_lo, s12
	s_and_saveexec_b32 s12, s7
	s_cbranch_execz .LBB0_531
; %bb.530:                              ;   in Loop: Header=BB0_527 Depth=2
	s_wait_loadcnt 0x0
	v_cmp_eq_u32_e32 vcc_lo, s4, v7
	v_cmp_eq_u32_e64 s0, s4, v9
	s_and_b32 s0, vcc_lo, s0
	s_delay_alu instid0(SALU_CYCLE_1)
	s_or_not1_b32 s0, s0, exec_lo
.LBB0_531:                              ;   in Loop: Header=BB0_527 Depth=2
	s_or_b32 exec_lo, exec_lo, s12
	s_delay_alu instid0(SALU_CYCLE_1) | instskip(NEXT) | instid1(SALU_CYCLE_1)
	s_and_b32 s0, exec_lo, s0
	s_or_b32 s6, s0, s6
	s_delay_alu instid0(SALU_CYCLE_1)
	s_and_not1_b32 exec_lo, exec_lo, s6
	s_cbranch_execnz .LBB0_527
; %bb.532:                              ;   in Loop: Header=BB0_527 Depth=2
	s_or_b32 exec_lo, exec_lo, s6
	s_wait_loadcnt 0x0
	v_dual_mov_b32 v7, v8 :: v_dual_mov_b32 v1, 0
	s_mov_b32 s6, 0
	s_delay_alu instid0(VALU_DEP_1) | instskip(SKIP_1) | instid1(SALU_CYCLE_1)
	v_cmp_eq_u64_e32 vcc_lo, s[4:5], v[6:7]
	s_or_b32 s1, vcc_lo, s1
	s_and_not1_b32 exec_lo, exec_lo, s1
	s_cbranch_execnz .LBB0_527
; %bb.533:                              ;   in Loop: Header=BB0_1 Depth=1
	s_or_b32 exec_lo, exec_lo, s1
	s_add_co_i32 s4, s2, 0x4c
	s_mov_b32 s1, s3
	s_bfe_u32 s0, s4, 0x100003
	v_dual_mov_b32 v2, s4 :: v_dual_mov_b32 v3, s4
	s_mulk_i32 s0, 0x20c5
	v_dual_mov_b32 v5, s4 :: v_dual_mov_b32 v1, 0
	s_lshr_b32 s0, s0, 20
	s_mov_b32 s5, s3
	s_mulk_i32 s0, 0x3e8
	s_delay_alu instid0(SALU_CYCLE_1) | instskip(NEXT) | instid1(SALU_CYCLE_1)
	s_sub_co_i32 s0, s4, s0
	s_and_b32 s0, s0, 0xffff
	s_delay_alu instid0(SALU_CYCLE_1) | instskip(NEXT) | instid1(SALU_CYCLE_1)
	s_lshl_b32 s0, s0, 12
	v_add_nc_u64_e32 v[6:7], s[0:1], v[10:11]
	v_add_nc_u64_e32 v[14:15], s[0:1], v[12:13]
	s_mov_b32 s1, 0
	global_store_b128 v[6:7], v[2:5], off th:TH_STORE_NT
.LBB0_534:                              ;   Parent Loop BB0_1 Depth=1
                                        ; =>  This Inner Loop Header: Depth=2
	s_wait_loadcnt 0x0
	global_load_b128 v[6:9], v[14:15], off th:TH_LOAD_NT
	v_add_nc_u32_e32 v1, 1, v1
	s_mov_b32 s0, -1
	s_mov_b32 s7, -1
	s_mov_b32 s12, exec_lo
	s_wait_xcnt 0x0
	v_cmpx_eq_u32_e32 0xf4240, v1
	s_cbranch_execz .LBB0_536
; %bb.535:                              ;   in Loop: Header=BB0_534 Depth=2
	s_wait_loadcnt 0x0
	s_wait_storecnt 0x0
	global_load_b32 v1, v4, s[10:11] scope:SCOPE_SYS
	s_wait_loadcnt 0x0
	global_inv scope:SCOPE_SYS
	v_cmp_eq_u32_e32 vcc_lo, 0, v1
	v_mov_b32_e32 v1, 0
	s_or_not1_b32 s7, vcc_lo, exec_lo
.LBB0_536:                              ;   in Loop: Header=BB0_534 Depth=2
	s_wait_xcnt 0x0
	s_or_b32 exec_lo, exec_lo, s12
	s_and_saveexec_b32 s12, s7
	s_cbranch_execz .LBB0_538
; %bb.537:                              ;   in Loop: Header=BB0_534 Depth=2
	s_wait_loadcnt 0x0
	v_cmp_eq_u32_e32 vcc_lo, s4, v7
	v_cmp_eq_u32_e64 s0, s4, v9
	s_and_b32 s0, vcc_lo, s0
	s_delay_alu instid0(SALU_CYCLE_1)
	s_or_not1_b32 s0, s0, exec_lo
.LBB0_538:                              ;   in Loop: Header=BB0_534 Depth=2
	s_or_b32 exec_lo, exec_lo, s12
	s_delay_alu instid0(SALU_CYCLE_1) | instskip(NEXT) | instid1(SALU_CYCLE_1)
	s_and_b32 s0, exec_lo, s0
	s_or_b32 s6, s0, s6
	s_delay_alu instid0(SALU_CYCLE_1)
	s_and_not1_b32 exec_lo, exec_lo, s6
	s_cbranch_execnz .LBB0_534
; %bb.539:                              ;   in Loop: Header=BB0_534 Depth=2
	s_or_b32 exec_lo, exec_lo, s6
	s_wait_loadcnt 0x0
	v_dual_mov_b32 v7, v8 :: v_dual_mov_b32 v1, 0
	s_mov_b32 s6, 0
	s_delay_alu instid0(VALU_DEP_1) | instskip(SKIP_1) | instid1(SALU_CYCLE_1)
	v_cmp_eq_u64_e32 vcc_lo, s[4:5], v[6:7]
	s_or_b32 s1, vcc_lo, s1
	s_and_not1_b32 exec_lo, exec_lo, s1
	s_cbranch_execnz .LBB0_534
; %bb.540:                              ;   in Loop: Header=BB0_1 Depth=1
	s_or_b32 exec_lo, exec_lo, s1
	s_add_co_i32 s4, s2, 0x4d
	s_mov_b32 s1, s3
	s_bfe_u32 s0, s4, 0x100003
	v_dual_mov_b32 v2, s4 :: v_dual_mov_b32 v3, s4
	s_mulk_i32 s0, 0x20c5
	v_dual_mov_b32 v5, s4 :: v_dual_mov_b32 v1, 0
	s_lshr_b32 s0, s0, 20
	s_mov_b32 s5, s3
	s_mulk_i32 s0, 0x3e8
	s_delay_alu instid0(SALU_CYCLE_1) | instskip(NEXT) | instid1(SALU_CYCLE_1)
	s_sub_co_i32 s0, s4, s0
	s_and_b32 s0, s0, 0xffff
	s_delay_alu instid0(SALU_CYCLE_1) | instskip(NEXT) | instid1(SALU_CYCLE_1)
	s_lshl_b32 s0, s0, 12
	v_add_nc_u64_e32 v[6:7], s[0:1], v[10:11]
	v_add_nc_u64_e32 v[14:15], s[0:1], v[12:13]
	s_mov_b32 s1, 0
	global_store_b128 v[6:7], v[2:5], off th:TH_STORE_NT
.LBB0_541:                              ;   Parent Loop BB0_1 Depth=1
                                        ; =>  This Inner Loop Header: Depth=2
	s_wait_loadcnt 0x0
	global_load_b128 v[6:9], v[14:15], off th:TH_LOAD_NT
	v_add_nc_u32_e32 v1, 1, v1
	s_mov_b32 s0, -1
	s_mov_b32 s7, -1
	s_mov_b32 s12, exec_lo
	s_wait_xcnt 0x0
	v_cmpx_eq_u32_e32 0xf4240, v1
	s_cbranch_execz .LBB0_543
; %bb.542:                              ;   in Loop: Header=BB0_541 Depth=2
	s_wait_loadcnt 0x0
	s_wait_storecnt 0x0
	global_load_b32 v1, v4, s[10:11] scope:SCOPE_SYS
	s_wait_loadcnt 0x0
	global_inv scope:SCOPE_SYS
	v_cmp_eq_u32_e32 vcc_lo, 0, v1
	v_mov_b32_e32 v1, 0
	s_or_not1_b32 s7, vcc_lo, exec_lo
.LBB0_543:                              ;   in Loop: Header=BB0_541 Depth=2
	s_wait_xcnt 0x0
	s_or_b32 exec_lo, exec_lo, s12
	s_and_saveexec_b32 s12, s7
	s_cbranch_execz .LBB0_545
; %bb.544:                              ;   in Loop: Header=BB0_541 Depth=2
	s_wait_loadcnt 0x0
	v_cmp_eq_u32_e32 vcc_lo, s4, v7
	v_cmp_eq_u32_e64 s0, s4, v9
	s_and_b32 s0, vcc_lo, s0
	s_delay_alu instid0(SALU_CYCLE_1)
	s_or_not1_b32 s0, s0, exec_lo
.LBB0_545:                              ;   in Loop: Header=BB0_541 Depth=2
	s_or_b32 exec_lo, exec_lo, s12
	s_delay_alu instid0(SALU_CYCLE_1) | instskip(NEXT) | instid1(SALU_CYCLE_1)
	s_and_b32 s0, exec_lo, s0
	s_or_b32 s6, s0, s6
	s_delay_alu instid0(SALU_CYCLE_1)
	s_and_not1_b32 exec_lo, exec_lo, s6
	s_cbranch_execnz .LBB0_541
; %bb.546:                              ;   in Loop: Header=BB0_541 Depth=2
	s_or_b32 exec_lo, exec_lo, s6
	s_wait_loadcnt 0x0
	v_dual_mov_b32 v7, v8 :: v_dual_mov_b32 v1, 0
	s_mov_b32 s6, 0
	s_delay_alu instid0(VALU_DEP_1) | instskip(SKIP_1) | instid1(SALU_CYCLE_1)
	v_cmp_eq_u64_e32 vcc_lo, s[4:5], v[6:7]
	s_or_b32 s1, vcc_lo, s1
	s_and_not1_b32 exec_lo, exec_lo, s1
	s_cbranch_execnz .LBB0_541
; %bb.547:                              ;   in Loop: Header=BB0_1 Depth=1
	s_or_b32 exec_lo, exec_lo, s1
	s_add_co_i32 s4, s2, 0x4e
	s_mov_b32 s1, s3
	s_bfe_u32 s0, s4, 0x100003
	v_dual_mov_b32 v2, s4 :: v_dual_mov_b32 v3, s4
	s_mulk_i32 s0, 0x20c5
	v_dual_mov_b32 v5, s4 :: v_dual_mov_b32 v1, 0
	s_lshr_b32 s0, s0, 20
	s_mov_b32 s5, s3
	s_mulk_i32 s0, 0x3e8
	s_delay_alu instid0(SALU_CYCLE_1) | instskip(NEXT) | instid1(SALU_CYCLE_1)
	s_sub_co_i32 s0, s4, s0
	s_and_b32 s0, s0, 0xffff
	s_delay_alu instid0(SALU_CYCLE_1) | instskip(NEXT) | instid1(SALU_CYCLE_1)
	s_lshl_b32 s0, s0, 12
	v_add_nc_u64_e32 v[6:7], s[0:1], v[10:11]
	v_add_nc_u64_e32 v[14:15], s[0:1], v[12:13]
	s_mov_b32 s1, 0
	global_store_b128 v[6:7], v[2:5], off th:TH_STORE_NT
.LBB0_548:                              ;   Parent Loop BB0_1 Depth=1
                                        ; =>  This Inner Loop Header: Depth=2
	s_wait_loadcnt 0x0
	global_load_b128 v[6:9], v[14:15], off th:TH_LOAD_NT
	v_add_nc_u32_e32 v1, 1, v1
	s_mov_b32 s0, -1
	s_mov_b32 s7, -1
	s_mov_b32 s12, exec_lo
	s_wait_xcnt 0x0
	v_cmpx_eq_u32_e32 0xf4240, v1
	s_cbranch_execz .LBB0_550
; %bb.549:                              ;   in Loop: Header=BB0_548 Depth=2
	s_wait_loadcnt 0x0
	s_wait_storecnt 0x0
	global_load_b32 v1, v4, s[10:11] scope:SCOPE_SYS
	s_wait_loadcnt 0x0
	global_inv scope:SCOPE_SYS
	v_cmp_eq_u32_e32 vcc_lo, 0, v1
	v_mov_b32_e32 v1, 0
	s_or_not1_b32 s7, vcc_lo, exec_lo
.LBB0_550:                              ;   in Loop: Header=BB0_548 Depth=2
	s_wait_xcnt 0x0
	s_or_b32 exec_lo, exec_lo, s12
	s_and_saveexec_b32 s12, s7
	s_cbranch_execz .LBB0_552
; %bb.551:                              ;   in Loop: Header=BB0_548 Depth=2
	s_wait_loadcnt 0x0
	v_cmp_eq_u32_e32 vcc_lo, s4, v7
	v_cmp_eq_u32_e64 s0, s4, v9
	s_and_b32 s0, vcc_lo, s0
	s_delay_alu instid0(SALU_CYCLE_1)
	s_or_not1_b32 s0, s0, exec_lo
.LBB0_552:                              ;   in Loop: Header=BB0_548 Depth=2
	s_or_b32 exec_lo, exec_lo, s12
	s_delay_alu instid0(SALU_CYCLE_1) | instskip(NEXT) | instid1(SALU_CYCLE_1)
	s_and_b32 s0, exec_lo, s0
	s_or_b32 s6, s0, s6
	s_delay_alu instid0(SALU_CYCLE_1)
	s_and_not1_b32 exec_lo, exec_lo, s6
	s_cbranch_execnz .LBB0_548
; %bb.553:                              ;   in Loop: Header=BB0_548 Depth=2
	s_or_b32 exec_lo, exec_lo, s6
	s_wait_loadcnt 0x0
	v_dual_mov_b32 v7, v8 :: v_dual_mov_b32 v1, 0
	s_mov_b32 s6, 0
	s_delay_alu instid0(VALU_DEP_1) | instskip(SKIP_1) | instid1(SALU_CYCLE_1)
	v_cmp_eq_u64_e32 vcc_lo, s[4:5], v[6:7]
	s_or_b32 s1, vcc_lo, s1
	s_and_not1_b32 exec_lo, exec_lo, s1
	s_cbranch_execnz .LBB0_548
; %bb.554:                              ;   in Loop: Header=BB0_1 Depth=1
	s_or_b32 exec_lo, exec_lo, s1
	s_add_co_i32 s4, s2, 0x4f
	s_mov_b32 s1, s3
	s_bfe_u32 s0, s4, 0x100003
	v_dual_mov_b32 v2, s4 :: v_dual_mov_b32 v3, s4
	s_mulk_i32 s0, 0x20c5
	v_dual_mov_b32 v5, s4 :: v_dual_mov_b32 v1, 0
	s_lshr_b32 s0, s0, 20
	s_mov_b32 s5, s3
	s_mulk_i32 s0, 0x3e8
	s_delay_alu instid0(SALU_CYCLE_1) | instskip(NEXT) | instid1(SALU_CYCLE_1)
	s_sub_co_i32 s0, s4, s0
	s_and_b32 s0, s0, 0xffff
	s_delay_alu instid0(SALU_CYCLE_1) | instskip(NEXT) | instid1(SALU_CYCLE_1)
	s_lshl_b32 s0, s0, 12
	v_add_nc_u64_e32 v[6:7], s[0:1], v[10:11]
	v_add_nc_u64_e32 v[14:15], s[0:1], v[12:13]
	s_mov_b32 s1, 0
	global_store_b128 v[6:7], v[2:5], off th:TH_STORE_NT
.LBB0_555:                              ;   Parent Loop BB0_1 Depth=1
                                        ; =>  This Inner Loop Header: Depth=2
	s_wait_loadcnt 0x0
	global_load_b128 v[6:9], v[14:15], off th:TH_LOAD_NT
	v_add_nc_u32_e32 v1, 1, v1
	s_mov_b32 s0, -1
	s_mov_b32 s7, -1
	s_mov_b32 s12, exec_lo
	s_wait_xcnt 0x0
	v_cmpx_eq_u32_e32 0xf4240, v1
	s_cbranch_execz .LBB0_557
; %bb.556:                              ;   in Loop: Header=BB0_555 Depth=2
	s_wait_loadcnt 0x0
	s_wait_storecnt 0x0
	global_load_b32 v1, v4, s[10:11] scope:SCOPE_SYS
	s_wait_loadcnt 0x0
	global_inv scope:SCOPE_SYS
	v_cmp_eq_u32_e32 vcc_lo, 0, v1
	v_mov_b32_e32 v1, 0
	s_or_not1_b32 s7, vcc_lo, exec_lo
.LBB0_557:                              ;   in Loop: Header=BB0_555 Depth=2
	s_wait_xcnt 0x0
	s_or_b32 exec_lo, exec_lo, s12
	s_and_saveexec_b32 s12, s7
	s_cbranch_execz .LBB0_559
; %bb.558:                              ;   in Loop: Header=BB0_555 Depth=2
	s_wait_loadcnt 0x0
	v_cmp_eq_u32_e32 vcc_lo, s4, v7
	v_cmp_eq_u32_e64 s0, s4, v9
	s_and_b32 s0, vcc_lo, s0
	s_delay_alu instid0(SALU_CYCLE_1)
	s_or_not1_b32 s0, s0, exec_lo
.LBB0_559:                              ;   in Loop: Header=BB0_555 Depth=2
	s_or_b32 exec_lo, exec_lo, s12
	s_delay_alu instid0(SALU_CYCLE_1) | instskip(NEXT) | instid1(SALU_CYCLE_1)
	s_and_b32 s0, exec_lo, s0
	s_or_b32 s6, s0, s6
	s_delay_alu instid0(SALU_CYCLE_1)
	s_and_not1_b32 exec_lo, exec_lo, s6
	s_cbranch_execnz .LBB0_555
; %bb.560:                              ;   in Loop: Header=BB0_555 Depth=2
	s_or_b32 exec_lo, exec_lo, s6
	s_wait_loadcnt 0x0
	v_dual_mov_b32 v7, v8 :: v_dual_mov_b32 v1, 0
	s_mov_b32 s6, 0
	s_delay_alu instid0(VALU_DEP_1) | instskip(SKIP_1) | instid1(SALU_CYCLE_1)
	v_cmp_eq_u64_e32 vcc_lo, s[4:5], v[6:7]
	s_or_b32 s1, vcc_lo, s1
	s_and_not1_b32 exec_lo, exec_lo, s1
	s_cbranch_execnz .LBB0_555
; %bb.561:                              ;   in Loop: Header=BB0_1 Depth=1
	s_or_b32 exec_lo, exec_lo, s1
	s_add_co_i32 s4, s2, 0x50
	s_mov_b32 s1, s3
	s_bfe_u32 s0, s4, 0x100003
	v_dual_mov_b32 v2, s4 :: v_dual_mov_b32 v3, s4
	s_mulk_i32 s0, 0x20c5
	v_dual_mov_b32 v5, s4 :: v_dual_mov_b32 v1, 0
	s_lshr_b32 s0, s0, 20
	s_mov_b32 s5, s3
	s_mulk_i32 s0, 0x3e8
	s_delay_alu instid0(SALU_CYCLE_1) | instskip(NEXT) | instid1(SALU_CYCLE_1)
	s_sub_co_i32 s0, s4, s0
	s_and_b32 s0, s0, 0xffff
	s_delay_alu instid0(SALU_CYCLE_1) | instskip(NEXT) | instid1(SALU_CYCLE_1)
	s_lshl_b32 s0, s0, 12
	v_add_nc_u64_e32 v[6:7], s[0:1], v[10:11]
	v_add_nc_u64_e32 v[14:15], s[0:1], v[12:13]
	s_mov_b32 s1, 0
	global_store_b128 v[6:7], v[2:5], off th:TH_STORE_NT
.LBB0_562:                              ;   Parent Loop BB0_1 Depth=1
                                        ; =>  This Inner Loop Header: Depth=2
	s_wait_loadcnt 0x0
	global_load_b128 v[6:9], v[14:15], off th:TH_LOAD_NT
	v_add_nc_u32_e32 v1, 1, v1
	s_mov_b32 s0, -1
	s_mov_b32 s7, -1
	s_mov_b32 s12, exec_lo
	s_wait_xcnt 0x0
	v_cmpx_eq_u32_e32 0xf4240, v1
	s_cbranch_execz .LBB0_564
; %bb.563:                              ;   in Loop: Header=BB0_562 Depth=2
	s_wait_loadcnt 0x0
	s_wait_storecnt 0x0
	global_load_b32 v1, v4, s[10:11] scope:SCOPE_SYS
	s_wait_loadcnt 0x0
	global_inv scope:SCOPE_SYS
	v_cmp_eq_u32_e32 vcc_lo, 0, v1
	v_mov_b32_e32 v1, 0
	s_or_not1_b32 s7, vcc_lo, exec_lo
.LBB0_564:                              ;   in Loop: Header=BB0_562 Depth=2
	s_wait_xcnt 0x0
	s_or_b32 exec_lo, exec_lo, s12
	s_and_saveexec_b32 s12, s7
	s_cbranch_execz .LBB0_566
; %bb.565:                              ;   in Loop: Header=BB0_562 Depth=2
	s_wait_loadcnt 0x0
	v_cmp_eq_u32_e32 vcc_lo, s4, v7
	v_cmp_eq_u32_e64 s0, s4, v9
	s_and_b32 s0, vcc_lo, s0
	s_delay_alu instid0(SALU_CYCLE_1)
	s_or_not1_b32 s0, s0, exec_lo
.LBB0_566:                              ;   in Loop: Header=BB0_562 Depth=2
	s_or_b32 exec_lo, exec_lo, s12
	s_delay_alu instid0(SALU_CYCLE_1) | instskip(NEXT) | instid1(SALU_CYCLE_1)
	s_and_b32 s0, exec_lo, s0
	s_or_b32 s6, s0, s6
	s_delay_alu instid0(SALU_CYCLE_1)
	s_and_not1_b32 exec_lo, exec_lo, s6
	s_cbranch_execnz .LBB0_562
; %bb.567:                              ;   in Loop: Header=BB0_562 Depth=2
	s_or_b32 exec_lo, exec_lo, s6
	s_wait_loadcnt 0x0
	v_dual_mov_b32 v7, v8 :: v_dual_mov_b32 v1, 0
	s_mov_b32 s6, 0
	s_delay_alu instid0(VALU_DEP_1) | instskip(SKIP_1) | instid1(SALU_CYCLE_1)
	v_cmp_eq_u64_e32 vcc_lo, s[4:5], v[6:7]
	s_or_b32 s1, vcc_lo, s1
	s_and_not1_b32 exec_lo, exec_lo, s1
	s_cbranch_execnz .LBB0_562
; %bb.568:                              ;   in Loop: Header=BB0_1 Depth=1
	s_or_b32 exec_lo, exec_lo, s1
	s_add_co_i32 s4, s2, 0x51
	s_mov_b32 s1, s3
	s_bfe_u32 s0, s4, 0x100003
	v_dual_mov_b32 v2, s4 :: v_dual_mov_b32 v3, s4
	s_mulk_i32 s0, 0x20c5
	v_dual_mov_b32 v5, s4 :: v_dual_mov_b32 v1, 0
	s_lshr_b32 s0, s0, 20
	s_mov_b32 s5, s3
	s_mulk_i32 s0, 0x3e8
	s_delay_alu instid0(SALU_CYCLE_1) | instskip(NEXT) | instid1(SALU_CYCLE_1)
	s_sub_co_i32 s0, s4, s0
	s_and_b32 s0, s0, 0xffff
	s_delay_alu instid0(SALU_CYCLE_1) | instskip(NEXT) | instid1(SALU_CYCLE_1)
	s_lshl_b32 s0, s0, 12
	v_add_nc_u64_e32 v[6:7], s[0:1], v[10:11]
	v_add_nc_u64_e32 v[14:15], s[0:1], v[12:13]
	s_mov_b32 s1, 0
	global_store_b128 v[6:7], v[2:5], off th:TH_STORE_NT
.LBB0_569:                              ;   Parent Loop BB0_1 Depth=1
                                        ; =>  This Inner Loop Header: Depth=2
	s_wait_loadcnt 0x0
	global_load_b128 v[6:9], v[14:15], off th:TH_LOAD_NT
	v_add_nc_u32_e32 v1, 1, v1
	s_mov_b32 s0, -1
	s_mov_b32 s7, -1
	s_mov_b32 s12, exec_lo
	s_wait_xcnt 0x0
	v_cmpx_eq_u32_e32 0xf4240, v1
	s_cbranch_execz .LBB0_571
; %bb.570:                              ;   in Loop: Header=BB0_569 Depth=2
	s_wait_loadcnt 0x0
	s_wait_storecnt 0x0
	global_load_b32 v1, v4, s[10:11] scope:SCOPE_SYS
	s_wait_loadcnt 0x0
	global_inv scope:SCOPE_SYS
	v_cmp_eq_u32_e32 vcc_lo, 0, v1
	v_mov_b32_e32 v1, 0
	s_or_not1_b32 s7, vcc_lo, exec_lo
.LBB0_571:                              ;   in Loop: Header=BB0_569 Depth=2
	s_wait_xcnt 0x0
	s_or_b32 exec_lo, exec_lo, s12
	s_and_saveexec_b32 s12, s7
	s_cbranch_execz .LBB0_573
; %bb.572:                              ;   in Loop: Header=BB0_569 Depth=2
	s_wait_loadcnt 0x0
	v_cmp_eq_u32_e32 vcc_lo, s4, v7
	v_cmp_eq_u32_e64 s0, s4, v9
	s_and_b32 s0, vcc_lo, s0
	s_delay_alu instid0(SALU_CYCLE_1)
	s_or_not1_b32 s0, s0, exec_lo
.LBB0_573:                              ;   in Loop: Header=BB0_569 Depth=2
	s_or_b32 exec_lo, exec_lo, s12
	s_delay_alu instid0(SALU_CYCLE_1) | instskip(NEXT) | instid1(SALU_CYCLE_1)
	s_and_b32 s0, exec_lo, s0
	s_or_b32 s6, s0, s6
	s_delay_alu instid0(SALU_CYCLE_1)
	s_and_not1_b32 exec_lo, exec_lo, s6
	s_cbranch_execnz .LBB0_569
; %bb.574:                              ;   in Loop: Header=BB0_569 Depth=2
	s_or_b32 exec_lo, exec_lo, s6
	s_wait_loadcnt 0x0
	v_dual_mov_b32 v7, v8 :: v_dual_mov_b32 v1, 0
	s_mov_b32 s6, 0
	s_delay_alu instid0(VALU_DEP_1) | instskip(SKIP_1) | instid1(SALU_CYCLE_1)
	v_cmp_eq_u64_e32 vcc_lo, s[4:5], v[6:7]
	s_or_b32 s1, vcc_lo, s1
	s_and_not1_b32 exec_lo, exec_lo, s1
	s_cbranch_execnz .LBB0_569
; %bb.575:                              ;   in Loop: Header=BB0_1 Depth=1
	s_or_b32 exec_lo, exec_lo, s1
	s_add_co_i32 s4, s2, 0x52
	s_mov_b32 s1, s3
	s_bfe_u32 s0, s4, 0x100003
	v_dual_mov_b32 v2, s4 :: v_dual_mov_b32 v3, s4
	s_mulk_i32 s0, 0x20c5
	v_dual_mov_b32 v5, s4 :: v_dual_mov_b32 v1, 0
	s_lshr_b32 s0, s0, 20
	s_mov_b32 s5, s3
	s_mulk_i32 s0, 0x3e8
	s_delay_alu instid0(SALU_CYCLE_1) | instskip(NEXT) | instid1(SALU_CYCLE_1)
	s_sub_co_i32 s0, s4, s0
	s_and_b32 s0, s0, 0xffff
	s_delay_alu instid0(SALU_CYCLE_1) | instskip(NEXT) | instid1(SALU_CYCLE_1)
	s_lshl_b32 s0, s0, 12
	v_add_nc_u64_e32 v[6:7], s[0:1], v[10:11]
	v_add_nc_u64_e32 v[14:15], s[0:1], v[12:13]
	s_mov_b32 s1, 0
	global_store_b128 v[6:7], v[2:5], off th:TH_STORE_NT
.LBB0_576:                              ;   Parent Loop BB0_1 Depth=1
                                        ; =>  This Inner Loop Header: Depth=2
	s_wait_loadcnt 0x0
	global_load_b128 v[6:9], v[14:15], off th:TH_LOAD_NT
	v_add_nc_u32_e32 v1, 1, v1
	s_mov_b32 s0, -1
	s_mov_b32 s7, -1
	s_mov_b32 s12, exec_lo
	s_wait_xcnt 0x0
	v_cmpx_eq_u32_e32 0xf4240, v1
	s_cbranch_execz .LBB0_578
; %bb.577:                              ;   in Loop: Header=BB0_576 Depth=2
	s_wait_loadcnt 0x0
	s_wait_storecnt 0x0
	global_load_b32 v1, v4, s[10:11] scope:SCOPE_SYS
	s_wait_loadcnt 0x0
	global_inv scope:SCOPE_SYS
	v_cmp_eq_u32_e32 vcc_lo, 0, v1
	v_mov_b32_e32 v1, 0
	s_or_not1_b32 s7, vcc_lo, exec_lo
.LBB0_578:                              ;   in Loop: Header=BB0_576 Depth=2
	s_wait_xcnt 0x0
	s_or_b32 exec_lo, exec_lo, s12
	s_and_saveexec_b32 s12, s7
	s_cbranch_execz .LBB0_580
; %bb.579:                              ;   in Loop: Header=BB0_576 Depth=2
	s_wait_loadcnt 0x0
	v_cmp_eq_u32_e32 vcc_lo, s4, v7
	v_cmp_eq_u32_e64 s0, s4, v9
	s_and_b32 s0, vcc_lo, s0
	s_delay_alu instid0(SALU_CYCLE_1)
	s_or_not1_b32 s0, s0, exec_lo
.LBB0_580:                              ;   in Loop: Header=BB0_576 Depth=2
	s_or_b32 exec_lo, exec_lo, s12
	s_delay_alu instid0(SALU_CYCLE_1) | instskip(NEXT) | instid1(SALU_CYCLE_1)
	s_and_b32 s0, exec_lo, s0
	s_or_b32 s6, s0, s6
	s_delay_alu instid0(SALU_CYCLE_1)
	s_and_not1_b32 exec_lo, exec_lo, s6
	s_cbranch_execnz .LBB0_576
; %bb.581:                              ;   in Loop: Header=BB0_576 Depth=2
	s_or_b32 exec_lo, exec_lo, s6
	s_wait_loadcnt 0x0
	v_dual_mov_b32 v7, v8 :: v_dual_mov_b32 v1, 0
	s_mov_b32 s6, 0
	s_delay_alu instid0(VALU_DEP_1) | instskip(SKIP_1) | instid1(SALU_CYCLE_1)
	v_cmp_eq_u64_e32 vcc_lo, s[4:5], v[6:7]
	s_or_b32 s1, vcc_lo, s1
	s_and_not1_b32 exec_lo, exec_lo, s1
	s_cbranch_execnz .LBB0_576
; %bb.582:                              ;   in Loop: Header=BB0_1 Depth=1
	s_or_b32 exec_lo, exec_lo, s1
	s_add_co_i32 s4, s2, 0x53
	s_mov_b32 s1, s3
	s_bfe_u32 s0, s4, 0x100003
	v_dual_mov_b32 v2, s4 :: v_dual_mov_b32 v3, s4
	s_mulk_i32 s0, 0x20c5
	v_dual_mov_b32 v5, s4 :: v_dual_mov_b32 v1, 0
	s_lshr_b32 s0, s0, 20
	s_mov_b32 s5, s3
	s_mulk_i32 s0, 0x3e8
	s_delay_alu instid0(SALU_CYCLE_1) | instskip(NEXT) | instid1(SALU_CYCLE_1)
	s_sub_co_i32 s0, s4, s0
	s_and_b32 s0, s0, 0xffff
	s_delay_alu instid0(SALU_CYCLE_1) | instskip(NEXT) | instid1(SALU_CYCLE_1)
	s_lshl_b32 s0, s0, 12
	v_add_nc_u64_e32 v[6:7], s[0:1], v[10:11]
	v_add_nc_u64_e32 v[14:15], s[0:1], v[12:13]
	s_mov_b32 s1, 0
	global_store_b128 v[6:7], v[2:5], off th:TH_STORE_NT
.LBB0_583:                              ;   Parent Loop BB0_1 Depth=1
                                        ; =>  This Inner Loop Header: Depth=2
	s_wait_loadcnt 0x0
	global_load_b128 v[6:9], v[14:15], off th:TH_LOAD_NT
	v_add_nc_u32_e32 v1, 1, v1
	s_mov_b32 s0, -1
	s_mov_b32 s7, -1
	s_mov_b32 s12, exec_lo
	s_wait_xcnt 0x0
	v_cmpx_eq_u32_e32 0xf4240, v1
	s_cbranch_execz .LBB0_585
; %bb.584:                              ;   in Loop: Header=BB0_583 Depth=2
	s_wait_loadcnt 0x0
	s_wait_storecnt 0x0
	global_load_b32 v1, v4, s[10:11] scope:SCOPE_SYS
	s_wait_loadcnt 0x0
	global_inv scope:SCOPE_SYS
	v_cmp_eq_u32_e32 vcc_lo, 0, v1
	v_mov_b32_e32 v1, 0
	s_or_not1_b32 s7, vcc_lo, exec_lo
.LBB0_585:                              ;   in Loop: Header=BB0_583 Depth=2
	s_wait_xcnt 0x0
	s_or_b32 exec_lo, exec_lo, s12
	s_and_saveexec_b32 s12, s7
	s_cbranch_execz .LBB0_587
; %bb.586:                              ;   in Loop: Header=BB0_583 Depth=2
	s_wait_loadcnt 0x0
	v_cmp_eq_u32_e32 vcc_lo, s4, v7
	v_cmp_eq_u32_e64 s0, s4, v9
	s_and_b32 s0, vcc_lo, s0
	s_delay_alu instid0(SALU_CYCLE_1)
	s_or_not1_b32 s0, s0, exec_lo
.LBB0_587:                              ;   in Loop: Header=BB0_583 Depth=2
	s_or_b32 exec_lo, exec_lo, s12
	s_delay_alu instid0(SALU_CYCLE_1) | instskip(NEXT) | instid1(SALU_CYCLE_1)
	s_and_b32 s0, exec_lo, s0
	s_or_b32 s6, s0, s6
	s_delay_alu instid0(SALU_CYCLE_1)
	s_and_not1_b32 exec_lo, exec_lo, s6
	s_cbranch_execnz .LBB0_583
; %bb.588:                              ;   in Loop: Header=BB0_583 Depth=2
	s_or_b32 exec_lo, exec_lo, s6
	s_wait_loadcnt 0x0
	v_dual_mov_b32 v7, v8 :: v_dual_mov_b32 v1, 0
	s_mov_b32 s6, 0
	s_delay_alu instid0(VALU_DEP_1) | instskip(SKIP_1) | instid1(SALU_CYCLE_1)
	v_cmp_eq_u64_e32 vcc_lo, s[4:5], v[6:7]
	s_or_b32 s1, vcc_lo, s1
	s_and_not1_b32 exec_lo, exec_lo, s1
	s_cbranch_execnz .LBB0_583
; %bb.589:                              ;   in Loop: Header=BB0_1 Depth=1
	s_or_b32 exec_lo, exec_lo, s1
	s_add_co_i32 s4, s2, 0x54
	s_mov_b32 s1, s3
	s_bfe_u32 s0, s4, 0x100003
	v_dual_mov_b32 v2, s4 :: v_dual_mov_b32 v3, s4
	s_mulk_i32 s0, 0x20c5
	v_dual_mov_b32 v5, s4 :: v_dual_mov_b32 v1, 0
	s_lshr_b32 s0, s0, 20
	s_mov_b32 s5, s3
	s_mulk_i32 s0, 0x3e8
	s_delay_alu instid0(SALU_CYCLE_1) | instskip(NEXT) | instid1(SALU_CYCLE_1)
	s_sub_co_i32 s0, s4, s0
	s_and_b32 s0, s0, 0xffff
	s_delay_alu instid0(SALU_CYCLE_1) | instskip(NEXT) | instid1(SALU_CYCLE_1)
	s_lshl_b32 s0, s0, 12
	v_add_nc_u64_e32 v[6:7], s[0:1], v[10:11]
	v_add_nc_u64_e32 v[14:15], s[0:1], v[12:13]
	s_mov_b32 s1, 0
	global_store_b128 v[6:7], v[2:5], off th:TH_STORE_NT
.LBB0_590:                              ;   Parent Loop BB0_1 Depth=1
                                        ; =>  This Inner Loop Header: Depth=2
	s_wait_loadcnt 0x0
	global_load_b128 v[6:9], v[14:15], off th:TH_LOAD_NT
	v_add_nc_u32_e32 v1, 1, v1
	s_mov_b32 s0, -1
	s_mov_b32 s7, -1
	s_mov_b32 s12, exec_lo
	s_wait_xcnt 0x0
	v_cmpx_eq_u32_e32 0xf4240, v1
	s_cbranch_execz .LBB0_592
; %bb.591:                              ;   in Loop: Header=BB0_590 Depth=2
	s_wait_loadcnt 0x0
	s_wait_storecnt 0x0
	global_load_b32 v1, v4, s[10:11] scope:SCOPE_SYS
	s_wait_loadcnt 0x0
	global_inv scope:SCOPE_SYS
	v_cmp_eq_u32_e32 vcc_lo, 0, v1
	v_mov_b32_e32 v1, 0
	s_or_not1_b32 s7, vcc_lo, exec_lo
.LBB0_592:                              ;   in Loop: Header=BB0_590 Depth=2
	s_wait_xcnt 0x0
	s_or_b32 exec_lo, exec_lo, s12
	s_and_saveexec_b32 s12, s7
	s_cbranch_execz .LBB0_594
; %bb.593:                              ;   in Loop: Header=BB0_590 Depth=2
	s_wait_loadcnt 0x0
	v_cmp_eq_u32_e32 vcc_lo, s4, v7
	v_cmp_eq_u32_e64 s0, s4, v9
	s_and_b32 s0, vcc_lo, s0
	s_delay_alu instid0(SALU_CYCLE_1)
	s_or_not1_b32 s0, s0, exec_lo
.LBB0_594:                              ;   in Loop: Header=BB0_590 Depth=2
	s_or_b32 exec_lo, exec_lo, s12
	s_delay_alu instid0(SALU_CYCLE_1) | instskip(NEXT) | instid1(SALU_CYCLE_1)
	s_and_b32 s0, exec_lo, s0
	s_or_b32 s6, s0, s6
	s_delay_alu instid0(SALU_CYCLE_1)
	s_and_not1_b32 exec_lo, exec_lo, s6
	s_cbranch_execnz .LBB0_590
; %bb.595:                              ;   in Loop: Header=BB0_590 Depth=2
	s_or_b32 exec_lo, exec_lo, s6
	s_wait_loadcnt 0x0
	v_dual_mov_b32 v7, v8 :: v_dual_mov_b32 v1, 0
	s_mov_b32 s6, 0
	s_delay_alu instid0(VALU_DEP_1) | instskip(SKIP_1) | instid1(SALU_CYCLE_1)
	v_cmp_eq_u64_e32 vcc_lo, s[4:5], v[6:7]
	s_or_b32 s1, vcc_lo, s1
	s_and_not1_b32 exec_lo, exec_lo, s1
	s_cbranch_execnz .LBB0_590
; %bb.596:                              ;   in Loop: Header=BB0_1 Depth=1
	s_or_b32 exec_lo, exec_lo, s1
	s_add_co_i32 s4, s2, 0x55
	s_mov_b32 s1, s3
	s_bfe_u32 s0, s4, 0x100003
	v_dual_mov_b32 v2, s4 :: v_dual_mov_b32 v3, s4
	s_mulk_i32 s0, 0x20c5
	v_dual_mov_b32 v5, s4 :: v_dual_mov_b32 v1, 0
	s_lshr_b32 s0, s0, 20
	s_mov_b32 s5, s3
	s_mulk_i32 s0, 0x3e8
	s_delay_alu instid0(SALU_CYCLE_1) | instskip(NEXT) | instid1(SALU_CYCLE_1)
	s_sub_co_i32 s0, s4, s0
	s_and_b32 s0, s0, 0xffff
	s_delay_alu instid0(SALU_CYCLE_1) | instskip(NEXT) | instid1(SALU_CYCLE_1)
	s_lshl_b32 s0, s0, 12
	v_add_nc_u64_e32 v[6:7], s[0:1], v[10:11]
	v_add_nc_u64_e32 v[14:15], s[0:1], v[12:13]
	s_mov_b32 s1, 0
	global_store_b128 v[6:7], v[2:5], off th:TH_STORE_NT
.LBB0_597:                              ;   Parent Loop BB0_1 Depth=1
                                        ; =>  This Inner Loop Header: Depth=2
	s_wait_loadcnt 0x0
	global_load_b128 v[6:9], v[14:15], off th:TH_LOAD_NT
	v_add_nc_u32_e32 v1, 1, v1
	s_mov_b32 s0, -1
	s_mov_b32 s7, -1
	s_mov_b32 s12, exec_lo
	s_wait_xcnt 0x0
	v_cmpx_eq_u32_e32 0xf4240, v1
	s_cbranch_execz .LBB0_599
; %bb.598:                              ;   in Loop: Header=BB0_597 Depth=2
	s_wait_loadcnt 0x0
	s_wait_storecnt 0x0
	global_load_b32 v1, v4, s[10:11] scope:SCOPE_SYS
	s_wait_loadcnt 0x0
	global_inv scope:SCOPE_SYS
	v_cmp_eq_u32_e32 vcc_lo, 0, v1
	v_mov_b32_e32 v1, 0
	s_or_not1_b32 s7, vcc_lo, exec_lo
.LBB0_599:                              ;   in Loop: Header=BB0_597 Depth=2
	s_wait_xcnt 0x0
	s_or_b32 exec_lo, exec_lo, s12
	s_and_saveexec_b32 s12, s7
	s_cbranch_execz .LBB0_601
; %bb.600:                              ;   in Loop: Header=BB0_597 Depth=2
	s_wait_loadcnt 0x0
	v_cmp_eq_u32_e32 vcc_lo, s4, v7
	v_cmp_eq_u32_e64 s0, s4, v9
	s_and_b32 s0, vcc_lo, s0
	s_delay_alu instid0(SALU_CYCLE_1)
	s_or_not1_b32 s0, s0, exec_lo
.LBB0_601:                              ;   in Loop: Header=BB0_597 Depth=2
	s_or_b32 exec_lo, exec_lo, s12
	s_delay_alu instid0(SALU_CYCLE_1) | instskip(NEXT) | instid1(SALU_CYCLE_1)
	s_and_b32 s0, exec_lo, s0
	s_or_b32 s6, s0, s6
	s_delay_alu instid0(SALU_CYCLE_1)
	s_and_not1_b32 exec_lo, exec_lo, s6
	s_cbranch_execnz .LBB0_597
; %bb.602:                              ;   in Loop: Header=BB0_597 Depth=2
	s_or_b32 exec_lo, exec_lo, s6
	s_wait_loadcnt 0x0
	v_dual_mov_b32 v7, v8 :: v_dual_mov_b32 v1, 0
	s_mov_b32 s6, 0
	s_delay_alu instid0(VALU_DEP_1) | instskip(SKIP_1) | instid1(SALU_CYCLE_1)
	v_cmp_eq_u64_e32 vcc_lo, s[4:5], v[6:7]
	s_or_b32 s1, vcc_lo, s1
	s_and_not1_b32 exec_lo, exec_lo, s1
	s_cbranch_execnz .LBB0_597
; %bb.603:                              ;   in Loop: Header=BB0_1 Depth=1
	s_or_b32 exec_lo, exec_lo, s1
	s_add_co_i32 s4, s2, 0x56
	s_mov_b32 s1, s3
	s_bfe_u32 s0, s4, 0x100003
	v_dual_mov_b32 v2, s4 :: v_dual_mov_b32 v3, s4
	s_mulk_i32 s0, 0x20c5
	v_dual_mov_b32 v5, s4 :: v_dual_mov_b32 v1, 0
	s_lshr_b32 s0, s0, 20
	s_mov_b32 s5, s3
	s_mulk_i32 s0, 0x3e8
	s_delay_alu instid0(SALU_CYCLE_1) | instskip(NEXT) | instid1(SALU_CYCLE_1)
	s_sub_co_i32 s0, s4, s0
	s_and_b32 s0, s0, 0xffff
	s_delay_alu instid0(SALU_CYCLE_1) | instskip(NEXT) | instid1(SALU_CYCLE_1)
	s_lshl_b32 s0, s0, 12
	v_add_nc_u64_e32 v[6:7], s[0:1], v[10:11]
	v_add_nc_u64_e32 v[14:15], s[0:1], v[12:13]
	s_mov_b32 s1, 0
	global_store_b128 v[6:7], v[2:5], off th:TH_STORE_NT
.LBB0_604:                              ;   Parent Loop BB0_1 Depth=1
                                        ; =>  This Inner Loop Header: Depth=2
	s_wait_loadcnt 0x0
	global_load_b128 v[6:9], v[14:15], off th:TH_LOAD_NT
	v_add_nc_u32_e32 v1, 1, v1
	s_mov_b32 s0, -1
	s_mov_b32 s7, -1
	s_mov_b32 s12, exec_lo
	s_wait_xcnt 0x0
	v_cmpx_eq_u32_e32 0xf4240, v1
	s_cbranch_execz .LBB0_606
; %bb.605:                              ;   in Loop: Header=BB0_604 Depth=2
	s_wait_loadcnt 0x0
	s_wait_storecnt 0x0
	global_load_b32 v1, v4, s[10:11] scope:SCOPE_SYS
	s_wait_loadcnt 0x0
	global_inv scope:SCOPE_SYS
	v_cmp_eq_u32_e32 vcc_lo, 0, v1
	v_mov_b32_e32 v1, 0
	s_or_not1_b32 s7, vcc_lo, exec_lo
.LBB0_606:                              ;   in Loop: Header=BB0_604 Depth=2
	s_wait_xcnt 0x0
	s_or_b32 exec_lo, exec_lo, s12
	s_and_saveexec_b32 s12, s7
	s_cbranch_execz .LBB0_608
; %bb.607:                              ;   in Loop: Header=BB0_604 Depth=2
	s_wait_loadcnt 0x0
	v_cmp_eq_u32_e32 vcc_lo, s4, v7
	v_cmp_eq_u32_e64 s0, s4, v9
	s_and_b32 s0, vcc_lo, s0
	s_delay_alu instid0(SALU_CYCLE_1)
	s_or_not1_b32 s0, s0, exec_lo
.LBB0_608:                              ;   in Loop: Header=BB0_604 Depth=2
	s_or_b32 exec_lo, exec_lo, s12
	s_delay_alu instid0(SALU_CYCLE_1) | instskip(NEXT) | instid1(SALU_CYCLE_1)
	s_and_b32 s0, exec_lo, s0
	s_or_b32 s6, s0, s6
	s_delay_alu instid0(SALU_CYCLE_1)
	s_and_not1_b32 exec_lo, exec_lo, s6
	s_cbranch_execnz .LBB0_604
; %bb.609:                              ;   in Loop: Header=BB0_604 Depth=2
	s_or_b32 exec_lo, exec_lo, s6
	s_wait_loadcnt 0x0
	v_dual_mov_b32 v7, v8 :: v_dual_mov_b32 v1, 0
	s_mov_b32 s6, 0
	s_delay_alu instid0(VALU_DEP_1) | instskip(SKIP_1) | instid1(SALU_CYCLE_1)
	v_cmp_eq_u64_e32 vcc_lo, s[4:5], v[6:7]
	s_or_b32 s1, vcc_lo, s1
	s_and_not1_b32 exec_lo, exec_lo, s1
	s_cbranch_execnz .LBB0_604
; %bb.610:                              ;   in Loop: Header=BB0_1 Depth=1
	s_or_b32 exec_lo, exec_lo, s1
	s_add_co_i32 s4, s2, 0x57
	s_mov_b32 s1, s3
	s_bfe_u32 s0, s4, 0x100003
	v_dual_mov_b32 v2, s4 :: v_dual_mov_b32 v3, s4
	s_mulk_i32 s0, 0x20c5
	v_dual_mov_b32 v5, s4 :: v_dual_mov_b32 v1, 0
	s_lshr_b32 s0, s0, 20
	s_mov_b32 s5, s3
	s_mulk_i32 s0, 0x3e8
	s_delay_alu instid0(SALU_CYCLE_1) | instskip(NEXT) | instid1(SALU_CYCLE_1)
	s_sub_co_i32 s0, s4, s0
	s_and_b32 s0, s0, 0xffff
	s_delay_alu instid0(SALU_CYCLE_1) | instskip(NEXT) | instid1(SALU_CYCLE_1)
	s_lshl_b32 s0, s0, 12
	v_add_nc_u64_e32 v[6:7], s[0:1], v[10:11]
	v_add_nc_u64_e32 v[14:15], s[0:1], v[12:13]
	s_mov_b32 s1, 0
	global_store_b128 v[6:7], v[2:5], off th:TH_STORE_NT
.LBB0_611:                              ;   Parent Loop BB0_1 Depth=1
                                        ; =>  This Inner Loop Header: Depth=2
	s_wait_loadcnt 0x0
	global_load_b128 v[6:9], v[14:15], off th:TH_LOAD_NT
	v_add_nc_u32_e32 v1, 1, v1
	s_mov_b32 s0, -1
	s_mov_b32 s7, -1
	s_mov_b32 s12, exec_lo
	s_wait_xcnt 0x0
	v_cmpx_eq_u32_e32 0xf4240, v1
	s_cbranch_execz .LBB0_613
; %bb.612:                              ;   in Loop: Header=BB0_611 Depth=2
	s_wait_loadcnt 0x0
	s_wait_storecnt 0x0
	global_load_b32 v1, v4, s[10:11] scope:SCOPE_SYS
	s_wait_loadcnt 0x0
	global_inv scope:SCOPE_SYS
	v_cmp_eq_u32_e32 vcc_lo, 0, v1
	v_mov_b32_e32 v1, 0
	s_or_not1_b32 s7, vcc_lo, exec_lo
.LBB0_613:                              ;   in Loop: Header=BB0_611 Depth=2
	s_wait_xcnt 0x0
	s_or_b32 exec_lo, exec_lo, s12
	s_and_saveexec_b32 s12, s7
	s_cbranch_execz .LBB0_615
; %bb.614:                              ;   in Loop: Header=BB0_611 Depth=2
	s_wait_loadcnt 0x0
	v_cmp_eq_u32_e32 vcc_lo, s4, v7
	v_cmp_eq_u32_e64 s0, s4, v9
	s_and_b32 s0, vcc_lo, s0
	s_delay_alu instid0(SALU_CYCLE_1)
	s_or_not1_b32 s0, s0, exec_lo
.LBB0_615:                              ;   in Loop: Header=BB0_611 Depth=2
	s_or_b32 exec_lo, exec_lo, s12
	s_delay_alu instid0(SALU_CYCLE_1) | instskip(NEXT) | instid1(SALU_CYCLE_1)
	s_and_b32 s0, exec_lo, s0
	s_or_b32 s6, s0, s6
	s_delay_alu instid0(SALU_CYCLE_1)
	s_and_not1_b32 exec_lo, exec_lo, s6
	s_cbranch_execnz .LBB0_611
; %bb.616:                              ;   in Loop: Header=BB0_611 Depth=2
	s_or_b32 exec_lo, exec_lo, s6
	s_wait_loadcnt 0x0
	v_dual_mov_b32 v7, v8 :: v_dual_mov_b32 v1, 0
	s_mov_b32 s6, 0
	s_delay_alu instid0(VALU_DEP_1) | instskip(SKIP_1) | instid1(SALU_CYCLE_1)
	v_cmp_eq_u64_e32 vcc_lo, s[4:5], v[6:7]
	s_or_b32 s1, vcc_lo, s1
	s_and_not1_b32 exec_lo, exec_lo, s1
	s_cbranch_execnz .LBB0_611
; %bb.617:                              ;   in Loop: Header=BB0_1 Depth=1
	s_or_b32 exec_lo, exec_lo, s1
	s_add_co_i32 s4, s2, 0x58
	s_mov_b32 s1, s3
	s_bfe_u32 s0, s4, 0x100003
	v_dual_mov_b32 v2, s4 :: v_dual_mov_b32 v3, s4
	s_mulk_i32 s0, 0x20c5
	v_dual_mov_b32 v5, s4 :: v_dual_mov_b32 v1, 0
	s_lshr_b32 s0, s0, 20
	s_mov_b32 s5, s3
	s_mulk_i32 s0, 0x3e8
	s_delay_alu instid0(SALU_CYCLE_1) | instskip(NEXT) | instid1(SALU_CYCLE_1)
	s_sub_co_i32 s0, s4, s0
	s_and_b32 s0, s0, 0xffff
	s_delay_alu instid0(SALU_CYCLE_1) | instskip(NEXT) | instid1(SALU_CYCLE_1)
	s_lshl_b32 s0, s0, 12
	v_add_nc_u64_e32 v[6:7], s[0:1], v[10:11]
	v_add_nc_u64_e32 v[14:15], s[0:1], v[12:13]
	s_mov_b32 s1, 0
	global_store_b128 v[6:7], v[2:5], off th:TH_STORE_NT
.LBB0_618:                              ;   Parent Loop BB0_1 Depth=1
                                        ; =>  This Inner Loop Header: Depth=2
	s_wait_loadcnt 0x0
	global_load_b128 v[6:9], v[14:15], off th:TH_LOAD_NT
	v_add_nc_u32_e32 v1, 1, v1
	s_mov_b32 s0, -1
	s_mov_b32 s7, -1
	s_mov_b32 s12, exec_lo
	s_wait_xcnt 0x0
	v_cmpx_eq_u32_e32 0xf4240, v1
	s_cbranch_execz .LBB0_620
; %bb.619:                              ;   in Loop: Header=BB0_618 Depth=2
	s_wait_loadcnt 0x0
	s_wait_storecnt 0x0
	global_load_b32 v1, v4, s[10:11] scope:SCOPE_SYS
	s_wait_loadcnt 0x0
	global_inv scope:SCOPE_SYS
	v_cmp_eq_u32_e32 vcc_lo, 0, v1
	v_mov_b32_e32 v1, 0
	s_or_not1_b32 s7, vcc_lo, exec_lo
.LBB0_620:                              ;   in Loop: Header=BB0_618 Depth=2
	s_wait_xcnt 0x0
	s_or_b32 exec_lo, exec_lo, s12
	s_and_saveexec_b32 s12, s7
	s_cbranch_execz .LBB0_622
; %bb.621:                              ;   in Loop: Header=BB0_618 Depth=2
	s_wait_loadcnt 0x0
	v_cmp_eq_u32_e32 vcc_lo, s4, v7
	v_cmp_eq_u32_e64 s0, s4, v9
	s_and_b32 s0, vcc_lo, s0
	s_delay_alu instid0(SALU_CYCLE_1)
	s_or_not1_b32 s0, s0, exec_lo
.LBB0_622:                              ;   in Loop: Header=BB0_618 Depth=2
	s_or_b32 exec_lo, exec_lo, s12
	s_delay_alu instid0(SALU_CYCLE_1) | instskip(NEXT) | instid1(SALU_CYCLE_1)
	s_and_b32 s0, exec_lo, s0
	s_or_b32 s6, s0, s6
	s_delay_alu instid0(SALU_CYCLE_1)
	s_and_not1_b32 exec_lo, exec_lo, s6
	s_cbranch_execnz .LBB0_618
; %bb.623:                              ;   in Loop: Header=BB0_618 Depth=2
	s_or_b32 exec_lo, exec_lo, s6
	s_wait_loadcnt 0x0
	v_dual_mov_b32 v7, v8 :: v_dual_mov_b32 v1, 0
	s_mov_b32 s6, 0
	s_delay_alu instid0(VALU_DEP_1) | instskip(SKIP_1) | instid1(SALU_CYCLE_1)
	v_cmp_eq_u64_e32 vcc_lo, s[4:5], v[6:7]
	s_or_b32 s1, vcc_lo, s1
	s_and_not1_b32 exec_lo, exec_lo, s1
	s_cbranch_execnz .LBB0_618
; %bb.624:                              ;   in Loop: Header=BB0_1 Depth=1
	s_or_b32 exec_lo, exec_lo, s1
	s_add_co_i32 s4, s2, 0x59
	s_mov_b32 s1, s3
	s_bfe_u32 s0, s4, 0x100003
	v_dual_mov_b32 v2, s4 :: v_dual_mov_b32 v3, s4
	s_mulk_i32 s0, 0x20c5
	v_dual_mov_b32 v5, s4 :: v_dual_mov_b32 v1, 0
	s_lshr_b32 s0, s0, 20
	s_mov_b32 s5, s3
	s_mulk_i32 s0, 0x3e8
	s_delay_alu instid0(SALU_CYCLE_1) | instskip(NEXT) | instid1(SALU_CYCLE_1)
	s_sub_co_i32 s0, s4, s0
	s_and_b32 s0, s0, 0xffff
	s_delay_alu instid0(SALU_CYCLE_1) | instskip(NEXT) | instid1(SALU_CYCLE_1)
	s_lshl_b32 s0, s0, 12
	v_add_nc_u64_e32 v[6:7], s[0:1], v[10:11]
	v_add_nc_u64_e32 v[14:15], s[0:1], v[12:13]
	s_mov_b32 s1, 0
	global_store_b128 v[6:7], v[2:5], off th:TH_STORE_NT
.LBB0_625:                              ;   Parent Loop BB0_1 Depth=1
                                        ; =>  This Inner Loop Header: Depth=2
	s_wait_loadcnt 0x0
	global_load_b128 v[6:9], v[14:15], off th:TH_LOAD_NT
	v_add_nc_u32_e32 v1, 1, v1
	s_mov_b32 s0, -1
	s_mov_b32 s7, -1
	s_mov_b32 s12, exec_lo
	s_wait_xcnt 0x0
	v_cmpx_eq_u32_e32 0xf4240, v1
	s_cbranch_execz .LBB0_627
; %bb.626:                              ;   in Loop: Header=BB0_625 Depth=2
	s_wait_loadcnt 0x0
	s_wait_storecnt 0x0
	global_load_b32 v1, v4, s[10:11] scope:SCOPE_SYS
	s_wait_loadcnt 0x0
	global_inv scope:SCOPE_SYS
	v_cmp_eq_u32_e32 vcc_lo, 0, v1
	v_mov_b32_e32 v1, 0
	s_or_not1_b32 s7, vcc_lo, exec_lo
.LBB0_627:                              ;   in Loop: Header=BB0_625 Depth=2
	s_wait_xcnt 0x0
	s_or_b32 exec_lo, exec_lo, s12
	s_and_saveexec_b32 s12, s7
	s_cbranch_execz .LBB0_629
; %bb.628:                              ;   in Loop: Header=BB0_625 Depth=2
	s_wait_loadcnt 0x0
	v_cmp_eq_u32_e32 vcc_lo, s4, v7
	v_cmp_eq_u32_e64 s0, s4, v9
	s_and_b32 s0, vcc_lo, s0
	s_delay_alu instid0(SALU_CYCLE_1)
	s_or_not1_b32 s0, s0, exec_lo
.LBB0_629:                              ;   in Loop: Header=BB0_625 Depth=2
	s_or_b32 exec_lo, exec_lo, s12
	s_delay_alu instid0(SALU_CYCLE_1) | instskip(NEXT) | instid1(SALU_CYCLE_1)
	s_and_b32 s0, exec_lo, s0
	s_or_b32 s6, s0, s6
	s_delay_alu instid0(SALU_CYCLE_1)
	s_and_not1_b32 exec_lo, exec_lo, s6
	s_cbranch_execnz .LBB0_625
; %bb.630:                              ;   in Loop: Header=BB0_625 Depth=2
	s_or_b32 exec_lo, exec_lo, s6
	s_wait_loadcnt 0x0
	v_dual_mov_b32 v7, v8 :: v_dual_mov_b32 v1, 0
	s_mov_b32 s6, 0
	s_delay_alu instid0(VALU_DEP_1) | instskip(SKIP_1) | instid1(SALU_CYCLE_1)
	v_cmp_eq_u64_e32 vcc_lo, s[4:5], v[6:7]
	s_or_b32 s1, vcc_lo, s1
	s_and_not1_b32 exec_lo, exec_lo, s1
	s_cbranch_execnz .LBB0_625
; %bb.631:                              ;   in Loop: Header=BB0_1 Depth=1
	s_or_b32 exec_lo, exec_lo, s1
	s_add_co_i32 s4, s2, 0x5a
	s_mov_b32 s1, s3
	s_bfe_u32 s0, s4, 0x100003
	v_dual_mov_b32 v2, s4 :: v_dual_mov_b32 v3, s4
	s_mulk_i32 s0, 0x20c5
	v_dual_mov_b32 v5, s4 :: v_dual_mov_b32 v1, 0
	s_lshr_b32 s0, s0, 20
	s_mov_b32 s5, s3
	s_mulk_i32 s0, 0x3e8
	s_delay_alu instid0(SALU_CYCLE_1) | instskip(NEXT) | instid1(SALU_CYCLE_1)
	s_sub_co_i32 s0, s4, s0
	s_and_b32 s0, s0, 0xffff
	s_delay_alu instid0(SALU_CYCLE_1) | instskip(NEXT) | instid1(SALU_CYCLE_1)
	s_lshl_b32 s0, s0, 12
	v_add_nc_u64_e32 v[6:7], s[0:1], v[10:11]
	v_add_nc_u64_e32 v[14:15], s[0:1], v[12:13]
	s_mov_b32 s1, 0
	global_store_b128 v[6:7], v[2:5], off th:TH_STORE_NT
.LBB0_632:                              ;   Parent Loop BB0_1 Depth=1
                                        ; =>  This Inner Loop Header: Depth=2
	s_wait_loadcnt 0x0
	global_load_b128 v[6:9], v[14:15], off th:TH_LOAD_NT
	v_add_nc_u32_e32 v1, 1, v1
	s_mov_b32 s0, -1
	s_mov_b32 s7, -1
	s_mov_b32 s12, exec_lo
	s_wait_xcnt 0x0
	v_cmpx_eq_u32_e32 0xf4240, v1
	s_cbranch_execz .LBB0_634
; %bb.633:                              ;   in Loop: Header=BB0_632 Depth=2
	s_wait_loadcnt 0x0
	s_wait_storecnt 0x0
	global_load_b32 v1, v4, s[10:11] scope:SCOPE_SYS
	s_wait_loadcnt 0x0
	global_inv scope:SCOPE_SYS
	v_cmp_eq_u32_e32 vcc_lo, 0, v1
	v_mov_b32_e32 v1, 0
	s_or_not1_b32 s7, vcc_lo, exec_lo
.LBB0_634:                              ;   in Loop: Header=BB0_632 Depth=2
	s_wait_xcnt 0x0
	s_or_b32 exec_lo, exec_lo, s12
	s_and_saveexec_b32 s12, s7
	s_cbranch_execz .LBB0_636
; %bb.635:                              ;   in Loop: Header=BB0_632 Depth=2
	s_wait_loadcnt 0x0
	v_cmp_eq_u32_e32 vcc_lo, s4, v7
	v_cmp_eq_u32_e64 s0, s4, v9
	s_and_b32 s0, vcc_lo, s0
	s_delay_alu instid0(SALU_CYCLE_1)
	s_or_not1_b32 s0, s0, exec_lo
.LBB0_636:                              ;   in Loop: Header=BB0_632 Depth=2
	s_or_b32 exec_lo, exec_lo, s12
	s_delay_alu instid0(SALU_CYCLE_1) | instskip(NEXT) | instid1(SALU_CYCLE_1)
	s_and_b32 s0, exec_lo, s0
	s_or_b32 s6, s0, s6
	s_delay_alu instid0(SALU_CYCLE_1)
	s_and_not1_b32 exec_lo, exec_lo, s6
	s_cbranch_execnz .LBB0_632
; %bb.637:                              ;   in Loop: Header=BB0_632 Depth=2
	s_or_b32 exec_lo, exec_lo, s6
	s_wait_loadcnt 0x0
	v_dual_mov_b32 v7, v8 :: v_dual_mov_b32 v1, 0
	s_mov_b32 s6, 0
	s_delay_alu instid0(VALU_DEP_1) | instskip(SKIP_1) | instid1(SALU_CYCLE_1)
	v_cmp_eq_u64_e32 vcc_lo, s[4:5], v[6:7]
	s_or_b32 s1, vcc_lo, s1
	s_and_not1_b32 exec_lo, exec_lo, s1
	s_cbranch_execnz .LBB0_632
; %bb.638:                              ;   in Loop: Header=BB0_1 Depth=1
	s_or_b32 exec_lo, exec_lo, s1
	s_add_co_i32 s4, s2, 0x5b
	s_mov_b32 s1, s3
	s_bfe_u32 s0, s4, 0x100003
	v_dual_mov_b32 v2, s4 :: v_dual_mov_b32 v3, s4
	s_mulk_i32 s0, 0x20c5
	v_dual_mov_b32 v5, s4 :: v_dual_mov_b32 v1, 0
	s_lshr_b32 s0, s0, 20
	s_mov_b32 s5, s3
	s_mulk_i32 s0, 0x3e8
	s_delay_alu instid0(SALU_CYCLE_1) | instskip(NEXT) | instid1(SALU_CYCLE_1)
	s_sub_co_i32 s0, s4, s0
	s_and_b32 s0, s0, 0xffff
	s_delay_alu instid0(SALU_CYCLE_1) | instskip(NEXT) | instid1(SALU_CYCLE_1)
	s_lshl_b32 s0, s0, 12
	v_add_nc_u64_e32 v[6:7], s[0:1], v[10:11]
	v_add_nc_u64_e32 v[14:15], s[0:1], v[12:13]
	s_mov_b32 s1, 0
	global_store_b128 v[6:7], v[2:5], off th:TH_STORE_NT
.LBB0_639:                              ;   Parent Loop BB0_1 Depth=1
                                        ; =>  This Inner Loop Header: Depth=2
	s_wait_loadcnt 0x0
	global_load_b128 v[6:9], v[14:15], off th:TH_LOAD_NT
	v_add_nc_u32_e32 v1, 1, v1
	s_mov_b32 s0, -1
	s_mov_b32 s7, -1
	s_mov_b32 s12, exec_lo
	s_wait_xcnt 0x0
	v_cmpx_eq_u32_e32 0xf4240, v1
	s_cbranch_execz .LBB0_641
; %bb.640:                              ;   in Loop: Header=BB0_639 Depth=2
	s_wait_loadcnt 0x0
	s_wait_storecnt 0x0
	global_load_b32 v1, v4, s[10:11] scope:SCOPE_SYS
	s_wait_loadcnt 0x0
	global_inv scope:SCOPE_SYS
	v_cmp_eq_u32_e32 vcc_lo, 0, v1
	v_mov_b32_e32 v1, 0
	s_or_not1_b32 s7, vcc_lo, exec_lo
.LBB0_641:                              ;   in Loop: Header=BB0_639 Depth=2
	s_wait_xcnt 0x0
	s_or_b32 exec_lo, exec_lo, s12
	s_and_saveexec_b32 s12, s7
	s_cbranch_execz .LBB0_643
; %bb.642:                              ;   in Loop: Header=BB0_639 Depth=2
	s_wait_loadcnt 0x0
	v_cmp_eq_u32_e32 vcc_lo, s4, v7
	v_cmp_eq_u32_e64 s0, s4, v9
	s_and_b32 s0, vcc_lo, s0
	s_delay_alu instid0(SALU_CYCLE_1)
	s_or_not1_b32 s0, s0, exec_lo
.LBB0_643:                              ;   in Loop: Header=BB0_639 Depth=2
	s_or_b32 exec_lo, exec_lo, s12
	s_delay_alu instid0(SALU_CYCLE_1) | instskip(NEXT) | instid1(SALU_CYCLE_1)
	s_and_b32 s0, exec_lo, s0
	s_or_b32 s6, s0, s6
	s_delay_alu instid0(SALU_CYCLE_1)
	s_and_not1_b32 exec_lo, exec_lo, s6
	s_cbranch_execnz .LBB0_639
; %bb.644:                              ;   in Loop: Header=BB0_639 Depth=2
	s_or_b32 exec_lo, exec_lo, s6
	s_wait_loadcnt 0x0
	v_dual_mov_b32 v7, v8 :: v_dual_mov_b32 v1, 0
	s_mov_b32 s6, 0
	s_delay_alu instid0(VALU_DEP_1) | instskip(SKIP_1) | instid1(SALU_CYCLE_1)
	v_cmp_eq_u64_e32 vcc_lo, s[4:5], v[6:7]
	s_or_b32 s1, vcc_lo, s1
	s_and_not1_b32 exec_lo, exec_lo, s1
	s_cbranch_execnz .LBB0_639
; %bb.645:                              ;   in Loop: Header=BB0_1 Depth=1
	s_or_b32 exec_lo, exec_lo, s1
	s_add_co_i32 s4, s2, 0x5c
	s_mov_b32 s1, s3
	s_bfe_u32 s0, s4, 0x100003
	v_dual_mov_b32 v2, s4 :: v_dual_mov_b32 v3, s4
	s_mulk_i32 s0, 0x20c5
	v_dual_mov_b32 v5, s4 :: v_dual_mov_b32 v1, 0
	s_lshr_b32 s0, s0, 20
	s_mov_b32 s5, s3
	s_mulk_i32 s0, 0x3e8
	s_delay_alu instid0(SALU_CYCLE_1) | instskip(NEXT) | instid1(SALU_CYCLE_1)
	s_sub_co_i32 s0, s4, s0
	s_and_b32 s0, s0, 0xffff
	s_delay_alu instid0(SALU_CYCLE_1) | instskip(NEXT) | instid1(SALU_CYCLE_1)
	s_lshl_b32 s0, s0, 12
	v_add_nc_u64_e32 v[6:7], s[0:1], v[10:11]
	v_add_nc_u64_e32 v[14:15], s[0:1], v[12:13]
	s_mov_b32 s1, 0
	global_store_b128 v[6:7], v[2:5], off th:TH_STORE_NT
.LBB0_646:                              ;   Parent Loop BB0_1 Depth=1
                                        ; =>  This Inner Loop Header: Depth=2
	s_wait_loadcnt 0x0
	global_load_b128 v[6:9], v[14:15], off th:TH_LOAD_NT
	v_add_nc_u32_e32 v1, 1, v1
	s_mov_b32 s0, -1
	s_mov_b32 s7, -1
	s_mov_b32 s12, exec_lo
	s_wait_xcnt 0x0
	v_cmpx_eq_u32_e32 0xf4240, v1
	s_cbranch_execz .LBB0_648
; %bb.647:                              ;   in Loop: Header=BB0_646 Depth=2
	s_wait_loadcnt 0x0
	s_wait_storecnt 0x0
	global_load_b32 v1, v4, s[10:11] scope:SCOPE_SYS
	s_wait_loadcnt 0x0
	global_inv scope:SCOPE_SYS
	v_cmp_eq_u32_e32 vcc_lo, 0, v1
	v_mov_b32_e32 v1, 0
	s_or_not1_b32 s7, vcc_lo, exec_lo
.LBB0_648:                              ;   in Loop: Header=BB0_646 Depth=2
	s_wait_xcnt 0x0
	s_or_b32 exec_lo, exec_lo, s12
	s_and_saveexec_b32 s12, s7
	s_cbranch_execz .LBB0_650
; %bb.649:                              ;   in Loop: Header=BB0_646 Depth=2
	s_wait_loadcnt 0x0
	v_cmp_eq_u32_e32 vcc_lo, s4, v7
	v_cmp_eq_u32_e64 s0, s4, v9
	s_and_b32 s0, vcc_lo, s0
	s_delay_alu instid0(SALU_CYCLE_1)
	s_or_not1_b32 s0, s0, exec_lo
.LBB0_650:                              ;   in Loop: Header=BB0_646 Depth=2
	s_or_b32 exec_lo, exec_lo, s12
	s_delay_alu instid0(SALU_CYCLE_1) | instskip(NEXT) | instid1(SALU_CYCLE_1)
	s_and_b32 s0, exec_lo, s0
	s_or_b32 s6, s0, s6
	s_delay_alu instid0(SALU_CYCLE_1)
	s_and_not1_b32 exec_lo, exec_lo, s6
	s_cbranch_execnz .LBB0_646
; %bb.651:                              ;   in Loop: Header=BB0_646 Depth=2
	s_or_b32 exec_lo, exec_lo, s6
	s_wait_loadcnt 0x0
	v_dual_mov_b32 v7, v8 :: v_dual_mov_b32 v1, 0
	s_mov_b32 s6, 0
	s_delay_alu instid0(VALU_DEP_1) | instskip(SKIP_1) | instid1(SALU_CYCLE_1)
	v_cmp_eq_u64_e32 vcc_lo, s[4:5], v[6:7]
	s_or_b32 s1, vcc_lo, s1
	s_and_not1_b32 exec_lo, exec_lo, s1
	s_cbranch_execnz .LBB0_646
; %bb.652:                              ;   in Loop: Header=BB0_1 Depth=1
	s_or_b32 exec_lo, exec_lo, s1
	s_add_co_i32 s4, s2, 0x5d
	s_mov_b32 s1, s3
	s_bfe_u32 s0, s4, 0x100003
	v_dual_mov_b32 v2, s4 :: v_dual_mov_b32 v3, s4
	s_mulk_i32 s0, 0x20c5
	v_dual_mov_b32 v5, s4 :: v_dual_mov_b32 v1, 0
	s_lshr_b32 s0, s0, 20
	s_mov_b32 s5, s3
	s_mulk_i32 s0, 0x3e8
	s_delay_alu instid0(SALU_CYCLE_1) | instskip(NEXT) | instid1(SALU_CYCLE_1)
	s_sub_co_i32 s0, s4, s0
	s_and_b32 s0, s0, 0xffff
	s_delay_alu instid0(SALU_CYCLE_1) | instskip(NEXT) | instid1(SALU_CYCLE_1)
	s_lshl_b32 s0, s0, 12
	v_add_nc_u64_e32 v[6:7], s[0:1], v[10:11]
	v_add_nc_u64_e32 v[14:15], s[0:1], v[12:13]
	s_mov_b32 s1, 0
	global_store_b128 v[6:7], v[2:5], off th:TH_STORE_NT
.LBB0_653:                              ;   Parent Loop BB0_1 Depth=1
                                        ; =>  This Inner Loop Header: Depth=2
	s_wait_loadcnt 0x0
	global_load_b128 v[6:9], v[14:15], off th:TH_LOAD_NT
	v_add_nc_u32_e32 v1, 1, v1
	s_mov_b32 s0, -1
	s_mov_b32 s7, -1
	s_mov_b32 s12, exec_lo
	s_wait_xcnt 0x0
	v_cmpx_eq_u32_e32 0xf4240, v1
	s_cbranch_execz .LBB0_655
; %bb.654:                              ;   in Loop: Header=BB0_653 Depth=2
	s_wait_loadcnt 0x0
	s_wait_storecnt 0x0
	global_load_b32 v1, v4, s[10:11] scope:SCOPE_SYS
	s_wait_loadcnt 0x0
	global_inv scope:SCOPE_SYS
	v_cmp_eq_u32_e32 vcc_lo, 0, v1
	v_mov_b32_e32 v1, 0
	s_or_not1_b32 s7, vcc_lo, exec_lo
.LBB0_655:                              ;   in Loop: Header=BB0_653 Depth=2
	s_wait_xcnt 0x0
	s_or_b32 exec_lo, exec_lo, s12
	s_and_saveexec_b32 s12, s7
	s_cbranch_execz .LBB0_657
; %bb.656:                              ;   in Loop: Header=BB0_653 Depth=2
	s_wait_loadcnt 0x0
	v_cmp_eq_u32_e32 vcc_lo, s4, v7
	v_cmp_eq_u32_e64 s0, s4, v9
	s_and_b32 s0, vcc_lo, s0
	s_delay_alu instid0(SALU_CYCLE_1)
	s_or_not1_b32 s0, s0, exec_lo
.LBB0_657:                              ;   in Loop: Header=BB0_653 Depth=2
	s_or_b32 exec_lo, exec_lo, s12
	s_delay_alu instid0(SALU_CYCLE_1) | instskip(NEXT) | instid1(SALU_CYCLE_1)
	s_and_b32 s0, exec_lo, s0
	s_or_b32 s6, s0, s6
	s_delay_alu instid0(SALU_CYCLE_1)
	s_and_not1_b32 exec_lo, exec_lo, s6
	s_cbranch_execnz .LBB0_653
; %bb.658:                              ;   in Loop: Header=BB0_653 Depth=2
	s_or_b32 exec_lo, exec_lo, s6
	s_wait_loadcnt 0x0
	v_dual_mov_b32 v7, v8 :: v_dual_mov_b32 v1, 0
	s_mov_b32 s6, 0
	s_delay_alu instid0(VALU_DEP_1) | instskip(SKIP_1) | instid1(SALU_CYCLE_1)
	v_cmp_eq_u64_e32 vcc_lo, s[4:5], v[6:7]
	s_or_b32 s1, vcc_lo, s1
	s_and_not1_b32 exec_lo, exec_lo, s1
	s_cbranch_execnz .LBB0_653
; %bb.659:                              ;   in Loop: Header=BB0_1 Depth=1
	s_or_b32 exec_lo, exec_lo, s1
	s_add_co_i32 s4, s2, 0x5e
	s_mov_b32 s1, s3
	s_bfe_u32 s0, s4, 0x100003
	v_dual_mov_b32 v2, s4 :: v_dual_mov_b32 v3, s4
	s_mulk_i32 s0, 0x20c5
	v_dual_mov_b32 v5, s4 :: v_dual_mov_b32 v1, 0
	s_lshr_b32 s0, s0, 20
	s_mov_b32 s5, s3
	s_mulk_i32 s0, 0x3e8
	s_delay_alu instid0(SALU_CYCLE_1) | instskip(NEXT) | instid1(SALU_CYCLE_1)
	s_sub_co_i32 s0, s4, s0
	s_and_b32 s0, s0, 0xffff
	s_delay_alu instid0(SALU_CYCLE_1) | instskip(NEXT) | instid1(SALU_CYCLE_1)
	s_lshl_b32 s0, s0, 12
	v_add_nc_u64_e32 v[6:7], s[0:1], v[10:11]
	v_add_nc_u64_e32 v[14:15], s[0:1], v[12:13]
	s_mov_b32 s1, 0
	global_store_b128 v[6:7], v[2:5], off th:TH_STORE_NT
.LBB0_660:                              ;   Parent Loop BB0_1 Depth=1
                                        ; =>  This Inner Loop Header: Depth=2
	s_wait_loadcnt 0x0
	global_load_b128 v[6:9], v[14:15], off th:TH_LOAD_NT
	v_add_nc_u32_e32 v1, 1, v1
	s_mov_b32 s0, -1
	s_mov_b32 s7, -1
	s_mov_b32 s12, exec_lo
	s_wait_xcnt 0x0
	v_cmpx_eq_u32_e32 0xf4240, v1
	s_cbranch_execz .LBB0_662
; %bb.661:                              ;   in Loop: Header=BB0_660 Depth=2
	s_wait_loadcnt 0x0
	s_wait_storecnt 0x0
	global_load_b32 v1, v4, s[10:11] scope:SCOPE_SYS
	s_wait_loadcnt 0x0
	global_inv scope:SCOPE_SYS
	v_cmp_eq_u32_e32 vcc_lo, 0, v1
	v_mov_b32_e32 v1, 0
	s_or_not1_b32 s7, vcc_lo, exec_lo
.LBB0_662:                              ;   in Loop: Header=BB0_660 Depth=2
	s_wait_xcnt 0x0
	s_or_b32 exec_lo, exec_lo, s12
	s_and_saveexec_b32 s12, s7
	s_cbranch_execz .LBB0_664
; %bb.663:                              ;   in Loop: Header=BB0_660 Depth=2
	s_wait_loadcnt 0x0
	v_cmp_eq_u32_e32 vcc_lo, s4, v7
	v_cmp_eq_u32_e64 s0, s4, v9
	s_and_b32 s0, vcc_lo, s0
	s_delay_alu instid0(SALU_CYCLE_1)
	s_or_not1_b32 s0, s0, exec_lo
.LBB0_664:                              ;   in Loop: Header=BB0_660 Depth=2
	s_or_b32 exec_lo, exec_lo, s12
	s_delay_alu instid0(SALU_CYCLE_1) | instskip(NEXT) | instid1(SALU_CYCLE_1)
	s_and_b32 s0, exec_lo, s0
	s_or_b32 s6, s0, s6
	s_delay_alu instid0(SALU_CYCLE_1)
	s_and_not1_b32 exec_lo, exec_lo, s6
	s_cbranch_execnz .LBB0_660
; %bb.665:                              ;   in Loop: Header=BB0_660 Depth=2
	s_or_b32 exec_lo, exec_lo, s6
	s_wait_loadcnt 0x0
	v_dual_mov_b32 v7, v8 :: v_dual_mov_b32 v1, 0
	s_mov_b32 s6, 0
	s_delay_alu instid0(VALU_DEP_1) | instskip(SKIP_1) | instid1(SALU_CYCLE_1)
	v_cmp_eq_u64_e32 vcc_lo, s[4:5], v[6:7]
	s_or_b32 s1, vcc_lo, s1
	s_and_not1_b32 exec_lo, exec_lo, s1
	s_cbranch_execnz .LBB0_660
; %bb.666:                              ;   in Loop: Header=BB0_1 Depth=1
	s_or_b32 exec_lo, exec_lo, s1
	s_add_co_i32 s4, s2, 0x5f
	s_mov_b32 s1, s3
	s_bfe_u32 s0, s4, 0x100003
	v_dual_mov_b32 v2, s4 :: v_dual_mov_b32 v3, s4
	s_mulk_i32 s0, 0x20c5
	v_dual_mov_b32 v5, s4 :: v_dual_mov_b32 v1, 0
	s_lshr_b32 s0, s0, 20
	s_mov_b32 s5, s3
	s_mulk_i32 s0, 0x3e8
	s_delay_alu instid0(SALU_CYCLE_1) | instskip(NEXT) | instid1(SALU_CYCLE_1)
	s_sub_co_i32 s0, s4, s0
	s_and_b32 s0, s0, 0xffff
	s_delay_alu instid0(SALU_CYCLE_1) | instskip(NEXT) | instid1(SALU_CYCLE_1)
	s_lshl_b32 s0, s0, 12
	v_add_nc_u64_e32 v[6:7], s[0:1], v[10:11]
	v_add_nc_u64_e32 v[14:15], s[0:1], v[12:13]
	s_mov_b32 s1, 0
	global_store_b128 v[6:7], v[2:5], off th:TH_STORE_NT
.LBB0_667:                              ;   Parent Loop BB0_1 Depth=1
                                        ; =>  This Inner Loop Header: Depth=2
	s_wait_loadcnt 0x0
	global_load_b128 v[6:9], v[14:15], off th:TH_LOAD_NT
	v_add_nc_u32_e32 v1, 1, v1
	s_mov_b32 s0, -1
	s_mov_b32 s7, -1
	s_mov_b32 s12, exec_lo
	s_wait_xcnt 0x0
	v_cmpx_eq_u32_e32 0xf4240, v1
	s_cbranch_execz .LBB0_669
; %bb.668:                              ;   in Loop: Header=BB0_667 Depth=2
	s_wait_loadcnt 0x0
	s_wait_storecnt 0x0
	global_load_b32 v1, v4, s[10:11] scope:SCOPE_SYS
	s_wait_loadcnt 0x0
	global_inv scope:SCOPE_SYS
	v_cmp_eq_u32_e32 vcc_lo, 0, v1
	v_mov_b32_e32 v1, 0
	s_or_not1_b32 s7, vcc_lo, exec_lo
.LBB0_669:                              ;   in Loop: Header=BB0_667 Depth=2
	s_wait_xcnt 0x0
	s_or_b32 exec_lo, exec_lo, s12
	s_and_saveexec_b32 s12, s7
	s_cbranch_execz .LBB0_671
; %bb.670:                              ;   in Loop: Header=BB0_667 Depth=2
	s_wait_loadcnt 0x0
	v_cmp_eq_u32_e32 vcc_lo, s4, v7
	v_cmp_eq_u32_e64 s0, s4, v9
	s_and_b32 s0, vcc_lo, s0
	s_delay_alu instid0(SALU_CYCLE_1)
	s_or_not1_b32 s0, s0, exec_lo
.LBB0_671:                              ;   in Loop: Header=BB0_667 Depth=2
	s_or_b32 exec_lo, exec_lo, s12
	s_delay_alu instid0(SALU_CYCLE_1) | instskip(NEXT) | instid1(SALU_CYCLE_1)
	s_and_b32 s0, exec_lo, s0
	s_or_b32 s6, s0, s6
	s_delay_alu instid0(SALU_CYCLE_1)
	s_and_not1_b32 exec_lo, exec_lo, s6
	s_cbranch_execnz .LBB0_667
; %bb.672:                              ;   in Loop: Header=BB0_667 Depth=2
	s_or_b32 exec_lo, exec_lo, s6
	s_wait_loadcnt 0x0
	v_dual_mov_b32 v7, v8 :: v_dual_mov_b32 v1, 0
	s_mov_b32 s6, 0
	s_delay_alu instid0(VALU_DEP_1) | instskip(SKIP_1) | instid1(SALU_CYCLE_1)
	v_cmp_eq_u64_e32 vcc_lo, s[4:5], v[6:7]
	s_or_b32 s1, vcc_lo, s1
	s_and_not1_b32 exec_lo, exec_lo, s1
	s_cbranch_execnz .LBB0_667
; %bb.673:                              ;   in Loop: Header=BB0_1 Depth=1
	s_or_b32 exec_lo, exec_lo, s1
	s_add_co_i32 s4, s2, 0x60
	s_mov_b32 s1, s3
	s_bfe_u32 s0, s4, 0x100003
	v_dual_mov_b32 v2, s4 :: v_dual_mov_b32 v3, s4
	s_mulk_i32 s0, 0x20c5
	v_dual_mov_b32 v5, s4 :: v_dual_mov_b32 v1, 0
	s_lshr_b32 s0, s0, 20
	s_mov_b32 s5, s3
	s_mulk_i32 s0, 0x3e8
	s_delay_alu instid0(SALU_CYCLE_1) | instskip(NEXT) | instid1(SALU_CYCLE_1)
	s_sub_co_i32 s0, s4, s0
	s_and_b32 s0, s0, 0xffff
	s_delay_alu instid0(SALU_CYCLE_1) | instskip(NEXT) | instid1(SALU_CYCLE_1)
	s_lshl_b32 s0, s0, 12
	v_add_nc_u64_e32 v[6:7], s[0:1], v[10:11]
	v_add_nc_u64_e32 v[14:15], s[0:1], v[12:13]
	s_mov_b32 s1, 0
	global_store_b128 v[6:7], v[2:5], off th:TH_STORE_NT
.LBB0_674:                              ;   Parent Loop BB0_1 Depth=1
                                        ; =>  This Inner Loop Header: Depth=2
	s_wait_loadcnt 0x0
	global_load_b128 v[6:9], v[14:15], off th:TH_LOAD_NT
	v_add_nc_u32_e32 v1, 1, v1
	s_mov_b32 s0, -1
	s_mov_b32 s7, -1
	s_mov_b32 s12, exec_lo
	s_wait_xcnt 0x0
	v_cmpx_eq_u32_e32 0xf4240, v1
	s_cbranch_execz .LBB0_676
; %bb.675:                              ;   in Loop: Header=BB0_674 Depth=2
	s_wait_loadcnt 0x0
	s_wait_storecnt 0x0
	global_load_b32 v1, v4, s[10:11] scope:SCOPE_SYS
	s_wait_loadcnt 0x0
	global_inv scope:SCOPE_SYS
	v_cmp_eq_u32_e32 vcc_lo, 0, v1
	v_mov_b32_e32 v1, 0
	s_or_not1_b32 s7, vcc_lo, exec_lo
.LBB0_676:                              ;   in Loop: Header=BB0_674 Depth=2
	s_wait_xcnt 0x0
	s_or_b32 exec_lo, exec_lo, s12
	s_and_saveexec_b32 s12, s7
	s_cbranch_execz .LBB0_678
; %bb.677:                              ;   in Loop: Header=BB0_674 Depth=2
	s_wait_loadcnt 0x0
	v_cmp_eq_u32_e32 vcc_lo, s4, v7
	v_cmp_eq_u32_e64 s0, s4, v9
	s_and_b32 s0, vcc_lo, s0
	s_delay_alu instid0(SALU_CYCLE_1)
	s_or_not1_b32 s0, s0, exec_lo
.LBB0_678:                              ;   in Loop: Header=BB0_674 Depth=2
	s_or_b32 exec_lo, exec_lo, s12
	s_delay_alu instid0(SALU_CYCLE_1) | instskip(NEXT) | instid1(SALU_CYCLE_1)
	s_and_b32 s0, exec_lo, s0
	s_or_b32 s6, s0, s6
	s_delay_alu instid0(SALU_CYCLE_1)
	s_and_not1_b32 exec_lo, exec_lo, s6
	s_cbranch_execnz .LBB0_674
; %bb.679:                              ;   in Loop: Header=BB0_674 Depth=2
	s_or_b32 exec_lo, exec_lo, s6
	s_wait_loadcnt 0x0
	v_dual_mov_b32 v7, v8 :: v_dual_mov_b32 v1, 0
	s_mov_b32 s6, 0
	s_delay_alu instid0(VALU_DEP_1) | instskip(SKIP_1) | instid1(SALU_CYCLE_1)
	v_cmp_eq_u64_e32 vcc_lo, s[4:5], v[6:7]
	s_or_b32 s1, vcc_lo, s1
	s_and_not1_b32 exec_lo, exec_lo, s1
	s_cbranch_execnz .LBB0_674
; %bb.680:                              ;   in Loop: Header=BB0_1 Depth=1
	s_or_b32 exec_lo, exec_lo, s1
	s_add_co_i32 s4, s2, 0x61
	s_mov_b32 s1, s3
	s_bfe_u32 s0, s4, 0x100003
	v_dual_mov_b32 v2, s4 :: v_dual_mov_b32 v3, s4
	s_mulk_i32 s0, 0x20c5
	v_dual_mov_b32 v5, s4 :: v_dual_mov_b32 v1, 0
	s_lshr_b32 s0, s0, 20
	s_mov_b32 s5, s3
	s_mulk_i32 s0, 0x3e8
	s_delay_alu instid0(SALU_CYCLE_1) | instskip(NEXT) | instid1(SALU_CYCLE_1)
	s_sub_co_i32 s0, s4, s0
	s_and_b32 s0, s0, 0xffff
	s_delay_alu instid0(SALU_CYCLE_1) | instskip(NEXT) | instid1(SALU_CYCLE_1)
	s_lshl_b32 s0, s0, 12
	v_add_nc_u64_e32 v[6:7], s[0:1], v[10:11]
	v_add_nc_u64_e32 v[14:15], s[0:1], v[12:13]
	s_mov_b32 s1, 0
	global_store_b128 v[6:7], v[2:5], off th:TH_STORE_NT
.LBB0_681:                              ;   Parent Loop BB0_1 Depth=1
                                        ; =>  This Inner Loop Header: Depth=2
	s_wait_loadcnt 0x0
	global_load_b128 v[6:9], v[14:15], off th:TH_LOAD_NT
	v_add_nc_u32_e32 v1, 1, v1
	s_mov_b32 s0, -1
	s_mov_b32 s7, -1
	s_mov_b32 s12, exec_lo
	s_wait_xcnt 0x0
	v_cmpx_eq_u32_e32 0xf4240, v1
	s_cbranch_execz .LBB0_683
; %bb.682:                              ;   in Loop: Header=BB0_681 Depth=2
	s_wait_loadcnt 0x0
	s_wait_storecnt 0x0
	global_load_b32 v1, v4, s[10:11] scope:SCOPE_SYS
	s_wait_loadcnt 0x0
	global_inv scope:SCOPE_SYS
	v_cmp_eq_u32_e32 vcc_lo, 0, v1
	v_mov_b32_e32 v1, 0
	s_or_not1_b32 s7, vcc_lo, exec_lo
.LBB0_683:                              ;   in Loop: Header=BB0_681 Depth=2
	s_wait_xcnt 0x0
	s_or_b32 exec_lo, exec_lo, s12
	s_and_saveexec_b32 s12, s7
	s_cbranch_execz .LBB0_685
; %bb.684:                              ;   in Loop: Header=BB0_681 Depth=2
	s_wait_loadcnt 0x0
	v_cmp_eq_u32_e32 vcc_lo, s4, v7
	v_cmp_eq_u32_e64 s0, s4, v9
	s_and_b32 s0, vcc_lo, s0
	s_delay_alu instid0(SALU_CYCLE_1)
	s_or_not1_b32 s0, s0, exec_lo
.LBB0_685:                              ;   in Loop: Header=BB0_681 Depth=2
	s_or_b32 exec_lo, exec_lo, s12
	s_delay_alu instid0(SALU_CYCLE_1) | instskip(NEXT) | instid1(SALU_CYCLE_1)
	s_and_b32 s0, exec_lo, s0
	s_or_b32 s6, s0, s6
	s_delay_alu instid0(SALU_CYCLE_1)
	s_and_not1_b32 exec_lo, exec_lo, s6
	s_cbranch_execnz .LBB0_681
; %bb.686:                              ;   in Loop: Header=BB0_681 Depth=2
	s_or_b32 exec_lo, exec_lo, s6
	s_wait_loadcnt 0x0
	v_dual_mov_b32 v7, v8 :: v_dual_mov_b32 v1, 0
	s_mov_b32 s6, 0
	s_delay_alu instid0(VALU_DEP_1) | instskip(SKIP_1) | instid1(SALU_CYCLE_1)
	v_cmp_eq_u64_e32 vcc_lo, s[4:5], v[6:7]
	s_or_b32 s1, vcc_lo, s1
	s_and_not1_b32 exec_lo, exec_lo, s1
	s_cbranch_execnz .LBB0_681
; %bb.687:                              ;   in Loop: Header=BB0_1 Depth=1
	s_or_b32 exec_lo, exec_lo, s1
	s_add_co_i32 s4, s2, 0x62
	s_mov_b32 s1, s3
	s_bfe_u32 s0, s4, 0x100003
	v_dual_mov_b32 v2, s4 :: v_dual_mov_b32 v3, s4
	s_mulk_i32 s0, 0x20c5
	v_dual_mov_b32 v5, s4 :: v_dual_mov_b32 v1, 0
	s_lshr_b32 s0, s0, 20
	s_mov_b32 s5, s3
	s_mulk_i32 s0, 0x3e8
	s_delay_alu instid0(SALU_CYCLE_1) | instskip(NEXT) | instid1(SALU_CYCLE_1)
	s_sub_co_i32 s0, s4, s0
	s_and_b32 s0, s0, 0xffff
	s_delay_alu instid0(SALU_CYCLE_1) | instskip(NEXT) | instid1(SALU_CYCLE_1)
	s_lshl_b32 s0, s0, 12
	v_add_nc_u64_e32 v[6:7], s[0:1], v[10:11]
	v_add_nc_u64_e32 v[14:15], s[0:1], v[12:13]
	s_mov_b32 s1, 0
	global_store_b128 v[6:7], v[2:5], off th:TH_STORE_NT
.LBB0_688:                              ;   Parent Loop BB0_1 Depth=1
                                        ; =>  This Inner Loop Header: Depth=2
	s_wait_loadcnt 0x0
	global_load_b128 v[6:9], v[14:15], off th:TH_LOAD_NT
	v_add_nc_u32_e32 v1, 1, v1
	s_mov_b32 s0, -1
	s_mov_b32 s7, -1
	s_mov_b32 s12, exec_lo
	s_wait_xcnt 0x0
	v_cmpx_eq_u32_e32 0xf4240, v1
	s_cbranch_execz .LBB0_690
; %bb.689:                              ;   in Loop: Header=BB0_688 Depth=2
	s_wait_loadcnt 0x0
	s_wait_storecnt 0x0
	global_load_b32 v1, v4, s[10:11] scope:SCOPE_SYS
	s_wait_loadcnt 0x0
	global_inv scope:SCOPE_SYS
	v_cmp_eq_u32_e32 vcc_lo, 0, v1
	v_mov_b32_e32 v1, 0
	s_or_not1_b32 s7, vcc_lo, exec_lo
.LBB0_690:                              ;   in Loop: Header=BB0_688 Depth=2
	s_wait_xcnt 0x0
	s_or_b32 exec_lo, exec_lo, s12
	s_and_saveexec_b32 s12, s7
	s_cbranch_execz .LBB0_692
; %bb.691:                              ;   in Loop: Header=BB0_688 Depth=2
	s_wait_loadcnt 0x0
	v_cmp_eq_u32_e32 vcc_lo, s4, v7
	v_cmp_eq_u32_e64 s0, s4, v9
	s_and_b32 s0, vcc_lo, s0
	s_delay_alu instid0(SALU_CYCLE_1)
	s_or_not1_b32 s0, s0, exec_lo
.LBB0_692:                              ;   in Loop: Header=BB0_688 Depth=2
	s_or_b32 exec_lo, exec_lo, s12
	s_delay_alu instid0(SALU_CYCLE_1) | instskip(NEXT) | instid1(SALU_CYCLE_1)
	s_and_b32 s0, exec_lo, s0
	s_or_b32 s6, s0, s6
	s_delay_alu instid0(SALU_CYCLE_1)
	s_and_not1_b32 exec_lo, exec_lo, s6
	s_cbranch_execnz .LBB0_688
; %bb.693:                              ;   in Loop: Header=BB0_688 Depth=2
	s_or_b32 exec_lo, exec_lo, s6
	s_wait_loadcnt 0x0
	v_dual_mov_b32 v7, v8 :: v_dual_mov_b32 v1, 0
	s_mov_b32 s6, 0
	s_delay_alu instid0(VALU_DEP_1) | instskip(SKIP_1) | instid1(SALU_CYCLE_1)
	v_cmp_eq_u64_e32 vcc_lo, s[4:5], v[6:7]
	s_or_b32 s1, vcc_lo, s1
	s_and_not1_b32 exec_lo, exec_lo, s1
	s_cbranch_execnz .LBB0_688
; %bb.694:                              ;   in Loop: Header=BB0_1 Depth=1
	s_or_b32 exec_lo, exec_lo, s1
	s_add_co_i32 s4, s2, 0x63
	s_mov_b32 s1, s3
	s_bfe_u32 s0, s4, 0x100003
	v_dual_mov_b32 v2, s4 :: v_dual_mov_b32 v3, s4
	s_mulk_i32 s0, 0x20c5
	v_dual_mov_b32 v5, s4 :: v_dual_mov_b32 v1, 0
	s_lshr_b32 s0, s0, 20
	s_mov_b32 s5, s3
	s_mulk_i32 s0, 0x3e8
	s_delay_alu instid0(SALU_CYCLE_1) | instskip(NEXT) | instid1(SALU_CYCLE_1)
	s_sub_co_i32 s0, s4, s0
	s_and_b32 s0, s0, 0xffff
	s_delay_alu instid0(SALU_CYCLE_1) | instskip(NEXT) | instid1(SALU_CYCLE_1)
	s_lshl_b32 s0, s0, 12
	v_add_nc_u64_e32 v[6:7], s[0:1], v[10:11]
	v_add_nc_u64_e32 v[14:15], s[0:1], v[12:13]
	s_mov_b32 s1, 0
	global_store_b128 v[6:7], v[2:5], off th:TH_STORE_NT
.LBB0_695:                              ;   Parent Loop BB0_1 Depth=1
                                        ; =>  This Inner Loop Header: Depth=2
	s_wait_loadcnt 0x0
	global_load_b128 v[6:9], v[14:15], off th:TH_LOAD_NT
	v_add_nc_u32_e32 v1, 1, v1
	s_mov_b32 s0, -1
	s_mov_b32 s7, -1
	s_mov_b32 s12, exec_lo
	s_wait_xcnt 0x0
	v_cmpx_eq_u32_e32 0xf4240, v1
	s_cbranch_execz .LBB0_697
; %bb.696:                              ;   in Loop: Header=BB0_695 Depth=2
	s_wait_loadcnt 0x0
	s_wait_storecnt 0x0
	global_load_b32 v1, v4, s[10:11] scope:SCOPE_SYS
	s_wait_loadcnt 0x0
	global_inv scope:SCOPE_SYS
	v_cmp_eq_u32_e32 vcc_lo, 0, v1
	v_mov_b32_e32 v1, 0
	s_or_not1_b32 s7, vcc_lo, exec_lo
.LBB0_697:                              ;   in Loop: Header=BB0_695 Depth=2
	s_wait_xcnt 0x0
	s_or_b32 exec_lo, exec_lo, s12
	s_and_saveexec_b32 s12, s7
	s_cbranch_execz .LBB0_699
; %bb.698:                              ;   in Loop: Header=BB0_695 Depth=2
	s_wait_loadcnt 0x0
	v_cmp_eq_u32_e32 vcc_lo, s4, v7
	v_cmp_eq_u32_e64 s0, s4, v9
	s_and_b32 s0, vcc_lo, s0
	s_delay_alu instid0(SALU_CYCLE_1)
	s_or_not1_b32 s0, s0, exec_lo
.LBB0_699:                              ;   in Loop: Header=BB0_695 Depth=2
	s_or_b32 exec_lo, exec_lo, s12
	s_delay_alu instid0(SALU_CYCLE_1) | instskip(NEXT) | instid1(SALU_CYCLE_1)
	s_and_b32 s0, exec_lo, s0
	s_or_b32 s6, s0, s6
	s_delay_alu instid0(SALU_CYCLE_1)
	s_and_not1_b32 exec_lo, exec_lo, s6
	s_cbranch_execnz .LBB0_695
; %bb.700:                              ;   in Loop: Header=BB0_695 Depth=2
	s_or_b32 exec_lo, exec_lo, s6
	s_wait_loadcnt 0x0
	v_dual_mov_b32 v7, v8 :: v_dual_mov_b32 v1, 0
	s_mov_b32 s6, 0
	s_delay_alu instid0(VALU_DEP_1) | instskip(SKIP_1) | instid1(SALU_CYCLE_1)
	v_cmp_eq_u64_e32 vcc_lo, s[4:5], v[6:7]
	s_or_b32 s1, vcc_lo, s1
	s_and_not1_b32 exec_lo, exec_lo, s1
	s_cbranch_execnz .LBB0_695
; %bb.701:                              ;   in Loop: Header=BB0_1 Depth=1
	s_or_b32 exec_lo, exec_lo, s1
	s_add_co_i32 s4, s2, 0x64
	s_mov_b32 s1, s3
	s_bfe_u32 s0, s4, 0x100003
	v_dual_mov_b32 v2, s4 :: v_dual_mov_b32 v3, s4
	s_mulk_i32 s0, 0x20c5
	v_dual_mov_b32 v5, s4 :: v_dual_mov_b32 v1, 0
	s_lshr_b32 s0, s0, 20
	s_mov_b32 s5, s3
	s_mulk_i32 s0, 0x3e8
	s_delay_alu instid0(SALU_CYCLE_1) | instskip(NEXT) | instid1(SALU_CYCLE_1)
	s_sub_co_i32 s0, s4, s0
	s_and_b32 s0, s0, 0xffff
	s_delay_alu instid0(SALU_CYCLE_1) | instskip(NEXT) | instid1(SALU_CYCLE_1)
	s_lshl_b32 s0, s0, 12
	v_add_nc_u64_e32 v[6:7], s[0:1], v[10:11]
	v_add_nc_u64_e32 v[14:15], s[0:1], v[12:13]
	s_mov_b32 s1, 0
	global_store_b128 v[6:7], v[2:5], off th:TH_STORE_NT
.LBB0_702:                              ;   Parent Loop BB0_1 Depth=1
                                        ; =>  This Inner Loop Header: Depth=2
	s_wait_loadcnt 0x0
	global_load_b128 v[6:9], v[14:15], off th:TH_LOAD_NT
	v_add_nc_u32_e32 v1, 1, v1
	s_mov_b32 s0, -1
	s_mov_b32 s7, -1
	s_mov_b32 s12, exec_lo
	s_wait_xcnt 0x0
	v_cmpx_eq_u32_e32 0xf4240, v1
	s_cbranch_execz .LBB0_704
; %bb.703:                              ;   in Loop: Header=BB0_702 Depth=2
	s_wait_loadcnt 0x0
	s_wait_storecnt 0x0
	global_load_b32 v1, v4, s[10:11] scope:SCOPE_SYS
	s_wait_loadcnt 0x0
	global_inv scope:SCOPE_SYS
	v_cmp_eq_u32_e32 vcc_lo, 0, v1
	v_mov_b32_e32 v1, 0
	s_or_not1_b32 s7, vcc_lo, exec_lo
.LBB0_704:                              ;   in Loop: Header=BB0_702 Depth=2
	s_wait_xcnt 0x0
	s_or_b32 exec_lo, exec_lo, s12
	s_and_saveexec_b32 s12, s7
	s_cbranch_execz .LBB0_706
; %bb.705:                              ;   in Loop: Header=BB0_702 Depth=2
	s_wait_loadcnt 0x0
	v_cmp_eq_u32_e32 vcc_lo, s4, v7
	v_cmp_eq_u32_e64 s0, s4, v9
	s_and_b32 s0, vcc_lo, s0
	s_delay_alu instid0(SALU_CYCLE_1)
	s_or_not1_b32 s0, s0, exec_lo
.LBB0_706:                              ;   in Loop: Header=BB0_702 Depth=2
	s_or_b32 exec_lo, exec_lo, s12
	s_delay_alu instid0(SALU_CYCLE_1) | instskip(NEXT) | instid1(SALU_CYCLE_1)
	s_and_b32 s0, exec_lo, s0
	s_or_b32 s6, s0, s6
	s_delay_alu instid0(SALU_CYCLE_1)
	s_and_not1_b32 exec_lo, exec_lo, s6
	s_cbranch_execnz .LBB0_702
; %bb.707:                              ;   in Loop: Header=BB0_702 Depth=2
	s_or_b32 exec_lo, exec_lo, s6
	s_wait_loadcnt 0x0
	v_dual_mov_b32 v7, v8 :: v_dual_mov_b32 v1, 0
	s_mov_b32 s6, 0
	s_delay_alu instid0(VALU_DEP_1) | instskip(SKIP_1) | instid1(SALU_CYCLE_1)
	v_cmp_eq_u64_e32 vcc_lo, s[4:5], v[6:7]
	s_or_b32 s1, vcc_lo, s1
	s_and_not1_b32 exec_lo, exec_lo, s1
	s_cbranch_execnz .LBB0_702
; %bb.708:                              ;   in Loop: Header=BB0_1 Depth=1
	s_or_b32 exec_lo, exec_lo, s1
	s_add_co_i32 s4, s2, 0x65
	s_mov_b32 s1, s3
	s_bfe_u32 s0, s4, 0x100003
	v_dual_mov_b32 v2, s4 :: v_dual_mov_b32 v3, s4
	s_mulk_i32 s0, 0x20c5
	v_dual_mov_b32 v5, s4 :: v_dual_mov_b32 v1, 0
	s_lshr_b32 s0, s0, 20
	s_mov_b32 s5, s3
	s_mulk_i32 s0, 0x3e8
	s_delay_alu instid0(SALU_CYCLE_1) | instskip(NEXT) | instid1(SALU_CYCLE_1)
	s_sub_co_i32 s0, s4, s0
	s_and_b32 s0, s0, 0xffff
	s_delay_alu instid0(SALU_CYCLE_1) | instskip(NEXT) | instid1(SALU_CYCLE_1)
	s_lshl_b32 s0, s0, 12
	v_add_nc_u64_e32 v[6:7], s[0:1], v[10:11]
	v_add_nc_u64_e32 v[14:15], s[0:1], v[12:13]
	s_mov_b32 s1, 0
	global_store_b128 v[6:7], v[2:5], off th:TH_STORE_NT
.LBB0_709:                              ;   Parent Loop BB0_1 Depth=1
                                        ; =>  This Inner Loop Header: Depth=2
	s_wait_loadcnt 0x0
	global_load_b128 v[6:9], v[14:15], off th:TH_LOAD_NT
	v_add_nc_u32_e32 v1, 1, v1
	s_mov_b32 s0, -1
	s_mov_b32 s7, -1
	s_mov_b32 s12, exec_lo
	s_wait_xcnt 0x0
	v_cmpx_eq_u32_e32 0xf4240, v1
	s_cbranch_execz .LBB0_711
; %bb.710:                              ;   in Loop: Header=BB0_709 Depth=2
	s_wait_loadcnt 0x0
	s_wait_storecnt 0x0
	global_load_b32 v1, v4, s[10:11] scope:SCOPE_SYS
	s_wait_loadcnt 0x0
	global_inv scope:SCOPE_SYS
	v_cmp_eq_u32_e32 vcc_lo, 0, v1
	v_mov_b32_e32 v1, 0
	s_or_not1_b32 s7, vcc_lo, exec_lo
.LBB0_711:                              ;   in Loop: Header=BB0_709 Depth=2
	s_wait_xcnt 0x0
	s_or_b32 exec_lo, exec_lo, s12
	s_and_saveexec_b32 s12, s7
	s_cbranch_execz .LBB0_713
; %bb.712:                              ;   in Loop: Header=BB0_709 Depth=2
	s_wait_loadcnt 0x0
	v_cmp_eq_u32_e32 vcc_lo, s4, v7
	v_cmp_eq_u32_e64 s0, s4, v9
	s_and_b32 s0, vcc_lo, s0
	s_delay_alu instid0(SALU_CYCLE_1)
	s_or_not1_b32 s0, s0, exec_lo
.LBB0_713:                              ;   in Loop: Header=BB0_709 Depth=2
	s_or_b32 exec_lo, exec_lo, s12
	s_delay_alu instid0(SALU_CYCLE_1) | instskip(NEXT) | instid1(SALU_CYCLE_1)
	s_and_b32 s0, exec_lo, s0
	s_or_b32 s6, s0, s6
	s_delay_alu instid0(SALU_CYCLE_1)
	s_and_not1_b32 exec_lo, exec_lo, s6
	s_cbranch_execnz .LBB0_709
; %bb.714:                              ;   in Loop: Header=BB0_709 Depth=2
	s_or_b32 exec_lo, exec_lo, s6
	s_wait_loadcnt 0x0
	v_dual_mov_b32 v7, v8 :: v_dual_mov_b32 v1, 0
	s_mov_b32 s6, 0
	s_delay_alu instid0(VALU_DEP_1) | instskip(SKIP_1) | instid1(SALU_CYCLE_1)
	v_cmp_eq_u64_e32 vcc_lo, s[4:5], v[6:7]
	s_or_b32 s1, vcc_lo, s1
	s_and_not1_b32 exec_lo, exec_lo, s1
	s_cbranch_execnz .LBB0_709
; %bb.715:                              ;   in Loop: Header=BB0_1 Depth=1
	s_or_b32 exec_lo, exec_lo, s1
	s_add_co_i32 s4, s2, 0x66
	s_mov_b32 s1, s3
	s_bfe_u32 s0, s4, 0x100003
	v_dual_mov_b32 v2, s4 :: v_dual_mov_b32 v3, s4
	s_mulk_i32 s0, 0x20c5
	v_dual_mov_b32 v5, s4 :: v_dual_mov_b32 v1, 0
	s_lshr_b32 s0, s0, 20
	s_mov_b32 s5, s3
	s_mulk_i32 s0, 0x3e8
	s_delay_alu instid0(SALU_CYCLE_1) | instskip(NEXT) | instid1(SALU_CYCLE_1)
	s_sub_co_i32 s0, s4, s0
	s_and_b32 s0, s0, 0xffff
	s_delay_alu instid0(SALU_CYCLE_1) | instskip(NEXT) | instid1(SALU_CYCLE_1)
	s_lshl_b32 s0, s0, 12
	v_add_nc_u64_e32 v[6:7], s[0:1], v[10:11]
	v_add_nc_u64_e32 v[14:15], s[0:1], v[12:13]
	s_mov_b32 s1, 0
	global_store_b128 v[6:7], v[2:5], off th:TH_STORE_NT
.LBB0_716:                              ;   Parent Loop BB0_1 Depth=1
                                        ; =>  This Inner Loop Header: Depth=2
	s_wait_loadcnt 0x0
	global_load_b128 v[6:9], v[14:15], off th:TH_LOAD_NT
	v_add_nc_u32_e32 v1, 1, v1
	s_mov_b32 s0, -1
	s_mov_b32 s7, -1
	s_mov_b32 s12, exec_lo
	s_wait_xcnt 0x0
	v_cmpx_eq_u32_e32 0xf4240, v1
	s_cbranch_execz .LBB0_718
; %bb.717:                              ;   in Loop: Header=BB0_716 Depth=2
	s_wait_loadcnt 0x0
	s_wait_storecnt 0x0
	global_load_b32 v1, v4, s[10:11] scope:SCOPE_SYS
	s_wait_loadcnt 0x0
	global_inv scope:SCOPE_SYS
	v_cmp_eq_u32_e32 vcc_lo, 0, v1
	v_mov_b32_e32 v1, 0
	s_or_not1_b32 s7, vcc_lo, exec_lo
.LBB0_718:                              ;   in Loop: Header=BB0_716 Depth=2
	s_wait_xcnt 0x0
	s_or_b32 exec_lo, exec_lo, s12
	s_and_saveexec_b32 s12, s7
	s_cbranch_execz .LBB0_720
; %bb.719:                              ;   in Loop: Header=BB0_716 Depth=2
	s_wait_loadcnt 0x0
	v_cmp_eq_u32_e32 vcc_lo, s4, v7
	v_cmp_eq_u32_e64 s0, s4, v9
	s_and_b32 s0, vcc_lo, s0
	s_delay_alu instid0(SALU_CYCLE_1)
	s_or_not1_b32 s0, s0, exec_lo
.LBB0_720:                              ;   in Loop: Header=BB0_716 Depth=2
	s_or_b32 exec_lo, exec_lo, s12
	s_delay_alu instid0(SALU_CYCLE_1) | instskip(NEXT) | instid1(SALU_CYCLE_1)
	s_and_b32 s0, exec_lo, s0
	s_or_b32 s6, s0, s6
	s_delay_alu instid0(SALU_CYCLE_1)
	s_and_not1_b32 exec_lo, exec_lo, s6
	s_cbranch_execnz .LBB0_716
; %bb.721:                              ;   in Loop: Header=BB0_716 Depth=2
	s_or_b32 exec_lo, exec_lo, s6
	s_wait_loadcnt 0x0
	v_dual_mov_b32 v7, v8 :: v_dual_mov_b32 v1, 0
	s_mov_b32 s6, 0
	s_delay_alu instid0(VALU_DEP_1) | instskip(SKIP_1) | instid1(SALU_CYCLE_1)
	v_cmp_eq_u64_e32 vcc_lo, s[4:5], v[6:7]
	s_or_b32 s1, vcc_lo, s1
	s_and_not1_b32 exec_lo, exec_lo, s1
	s_cbranch_execnz .LBB0_716
; %bb.722:                              ;   in Loop: Header=BB0_1 Depth=1
	s_or_b32 exec_lo, exec_lo, s1
	s_add_co_i32 s4, s2, 0x67
	s_mov_b32 s1, s3
	s_bfe_u32 s0, s4, 0x100003
	v_dual_mov_b32 v2, s4 :: v_dual_mov_b32 v3, s4
	s_mulk_i32 s0, 0x20c5
	v_dual_mov_b32 v5, s4 :: v_dual_mov_b32 v1, 0
	s_lshr_b32 s0, s0, 20
	s_mov_b32 s5, s3
	s_mulk_i32 s0, 0x3e8
	s_delay_alu instid0(SALU_CYCLE_1) | instskip(NEXT) | instid1(SALU_CYCLE_1)
	s_sub_co_i32 s0, s4, s0
	s_and_b32 s0, s0, 0xffff
	s_delay_alu instid0(SALU_CYCLE_1) | instskip(NEXT) | instid1(SALU_CYCLE_1)
	s_lshl_b32 s0, s0, 12
	v_add_nc_u64_e32 v[6:7], s[0:1], v[10:11]
	v_add_nc_u64_e32 v[14:15], s[0:1], v[12:13]
	s_mov_b32 s1, 0
	global_store_b128 v[6:7], v[2:5], off th:TH_STORE_NT
.LBB0_723:                              ;   Parent Loop BB0_1 Depth=1
                                        ; =>  This Inner Loop Header: Depth=2
	s_wait_loadcnt 0x0
	global_load_b128 v[6:9], v[14:15], off th:TH_LOAD_NT
	v_add_nc_u32_e32 v1, 1, v1
	s_mov_b32 s0, -1
	s_mov_b32 s7, -1
	s_mov_b32 s12, exec_lo
	s_wait_xcnt 0x0
	v_cmpx_eq_u32_e32 0xf4240, v1
	s_cbranch_execz .LBB0_725
; %bb.724:                              ;   in Loop: Header=BB0_723 Depth=2
	s_wait_loadcnt 0x0
	s_wait_storecnt 0x0
	global_load_b32 v1, v4, s[10:11] scope:SCOPE_SYS
	s_wait_loadcnt 0x0
	global_inv scope:SCOPE_SYS
	v_cmp_eq_u32_e32 vcc_lo, 0, v1
	v_mov_b32_e32 v1, 0
	s_or_not1_b32 s7, vcc_lo, exec_lo
.LBB0_725:                              ;   in Loop: Header=BB0_723 Depth=2
	s_wait_xcnt 0x0
	s_or_b32 exec_lo, exec_lo, s12
	s_and_saveexec_b32 s12, s7
	s_cbranch_execz .LBB0_727
; %bb.726:                              ;   in Loop: Header=BB0_723 Depth=2
	s_wait_loadcnt 0x0
	v_cmp_eq_u32_e32 vcc_lo, s4, v7
	v_cmp_eq_u32_e64 s0, s4, v9
	s_and_b32 s0, vcc_lo, s0
	s_delay_alu instid0(SALU_CYCLE_1)
	s_or_not1_b32 s0, s0, exec_lo
.LBB0_727:                              ;   in Loop: Header=BB0_723 Depth=2
	s_or_b32 exec_lo, exec_lo, s12
	s_delay_alu instid0(SALU_CYCLE_1) | instskip(NEXT) | instid1(SALU_CYCLE_1)
	s_and_b32 s0, exec_lo, s0
	s_or_b32 s6, s0, s6
	s_delay_alu instid0(SALU_CYCLE_1)
	s_and_not1_b32 exec_lo, exec_lo, s6
	s_cbranch_execnz .LBB0_723
; %bb.728:                              ;   in Loop: Header=BB0_723 Depth=2
	s_or_b32 exec_lo, exec_lo, s6
	s_wait_loadcnt 0x0
	v_dual_mov_b32 v7, v8 :: v_dual_mov_b32 v1, 0
	s_mov_b32 s6, 0
	s_delay_alu instid0(VALU_DEP_1) | instskip(SKIP_1) | instid1(SALU_CYCLE_1)
	v_cmp_eq_u64_e32 vcc_lo, s[4:5], v[6:7]
	s_or_b32 s1, vcc_lo, s1
	s_and_not1_b32 exec_lo, exec_lo, s1
	s_cbranch_execnz .LBB0_723
; %bb.729:                              ;   in Loop: Header=BB0_1 Depth=1
	s_or_b32 exec_lo, exec_lo, s1
	s_add_co_i32 s4, s2, 0x68
	s_mov_b32 s1, s3
	s_bfe_u32 s0, s4, 0x100003
	v_dual_mov_b32 v2, s4 :: v_dual_mov_b32 v3, s4
	s_mulk_i32 s0, 0x20c5
	v_dual_mov_b32 v5, s4 :: v_dual_mov_b32 v1, 0
	s_lshr_b32 s0, s0, 20
	s_mov_b32 s5, s3
	s_mulk_i32 s0, 0x3e8
	s_delay_alu instid0(SALU_CYCLE_1) | instskip(NEXT) | instid1(SALU_CYCLE_1)
	s_sub_co_i32 s0, s4, s0
	s_and_b32 s0, s0, 0xffff
	s_delay_alu instid0(SALU_CYCLE_1) | instskip(NEXT) | instid1(SALU_CYCLE_1)
	s_lshl_b32 s0, s0, 12
	v_add_nc_u64_e32 v[6:7], s[0:1], v[10:11]
	v_add_nc_u64_e32 v[14:15], s[0:1], v[12:13]
	s_mov_b32 s1, 0
	global_store_b128 v[6:7], v[2:5], off th:TH_STORE_NT
.LBB0_730:                              ;   Parent Loop BB0_1 Depth=1
                                        ; =>  This Inner Loop Header: Depth=2
	s_wait_loadcnt 0x0
	global_load_b128 v[6:9], v[14:15], off th:TH_LOAD_NT
	v_add_nc_u32_e32 v1, 1, v1
	s_mov_b32 s0, -1
	s_mov_b32 s7, -1
	s_mov_b32 s12, exec_lo
	s_wait_xcnt 0x0
	v_cmpx_eq_u32_e32 0xf4240, v1
	s_cbranch_execz .LBB0_732
; %bb.731:                              ;   in Loop: Header=BB0_730 Depth=2
	s_wait_loadcnt 0x0
	s_wait_storecnt 0x0
	global_load_b32 v1, v4, s[10:11] scope:SCOPE_SYS
	s_wait_loadcnt 0x0
	global_inv scope:SCOPE_SYS
	v_cmp_eq_u32_e32 vcc_lo, 0, v1
	v_mov_b32_e32 v1, 0
	s_or_not1_b32 s7, vcc_lo, exec_lo
.LBB0_732:                              ;   in Loop: Header=BB0_730 Depth=2
	s_wait_xcnt 0x0
	s_or_b32 exec_lo, exec_lo, s12
	s_and_saveexec_b32 s12, s7
	s_cbranch_execz .LBB0_734
; %bb.733:                              ;   in Loop: Header=BB0_730 Depth=2
	s_wait_loadcnt 0x0
	v_cmp_eq_u32_e32 vcc_lo, s4, v7
	v_cmp_eq_u32_e64 s0, s4, v9
	s_and_b32 s0, vcc_lo, s0
	s_delay_alu instid0(SALU_CYCLE_1)
	s_or_not1_b32 s0, s0, exec_lo
.LBB0_734:                              ;   in Loop: Header=BB0_730 Depth=2
	s_or_b32 exec_lo, exec_lo, s12
	s_delay_alu instid0(SALU_CYCLE_1) | instskip(NEXT) | instid1(SALU_CYCLE_1)
	s_and_b32 s0, exec_lo, s0
	s_or_b32 s6, s0, s6
	s_delay_alu instid0(SALU_CYCLE_1)
	s_and_not1_b32 exec_lo, exec_lo, s6
	s_cbranch_execnz .LBB0_730
; %bb.735:                              ;   in Loop: Header=BB0_730 Depth=2
	s_or_b32 exec_lo, exec_lo, s6
	s_wait_loadcnt 0x0
	v_dual_mov_b32 v7, v8 :: v_dual_mov_b32 v1, 0
	s_mov_b32 s6, 0
	s_delay_alu instid0(VALU_DEP_1) | instskip(SKIP_1) | instid1(SALU_CYCLE_1)
	v_cmp_eq_u64_e32 vcc_lo, s[4:5], v[6:7]
	s_or_b32 s1, vcc_lo, s1
	s_and_not1_b32 exec_lo, exec_lo, s1
	s_cbranch_execnz .LBB0_730
; %bb.736:                              ;   in Loop: Header=BB0_1 Depth=1
	s_or_b32 exec_lo, exec_lo, s1
	s_add_co_i32 s4, s2, 0x69
	s_mov_b32 s1, s3
	s_bfe_u32 s0, s4, 0x100003
	v_dual_mov_b32 v2, s4 :: v_dual_mov_b32 v3, s4
	s_mulk_i32 s0, 0x20c5
	v_dual_mov_b32 v5, s4 :: v_dual_mov_b32 v1, 0
	s_lshr_b32 s0, s0, 20
	s_mov_b32 s5, s3
	s_mulk_i32 s0, 0x3e8
	s_delay_alu instid0(SALU_CYCLE_1) | instskip(NEXT) | instid1(SALU_CYCLE_1)
	s_sub_co_i32 s0, s4, s0
	s_and_b32 s0, s0, 0xffff
	s_delay_alu instid0(SALU_CYCLE_1) | instskip(NEXT) | instid1(SALU_CYCLE_1)
	s_lshl_b32 s0, s0, 12
	v_add_nc_u64_e32 v[6:7], s[0:1], v[10:11]
	v_add_nc_u64_e32 v[14:15], s[0:1], v[12:13]
	s_mov_b32 s1, 0
	global_store_b128 v[6:7], v[2:5], off th:TH_STORE_NT
.LBB0_737:                              ;   Parent Loop BB0_1 Depth=1
                                        ; =>  This Inner Loop Header: Depth=2
	s_wait_loadcnt 0x0
	global_load_b128 v[6:9], v[14:15], off th:TH_LOAD_NT
	v_add_nc_u32_e32 v1, 1, v1
	s_mov_b32 s0, -1
	s_mov_b32 s7, -1
	s_mov_b32 s12, exec_lo
	s_wait_xcnt 0x0
	v_cmpx_eq_u32_e32 0xf4240, v1
	s_cbranch_execz .LBB0_739
; %bb.738:                              ;   in Loop: Header=BB0_737 Depth=2
	s_wait_loadcnt 0x0
	s_wait_storecnt 0x0
	global_load_b32 v1, v4, s[10:11] scope:SCOPE_SYS
	s_wait_loadcnt 0x0
	global_inv scope:SCOPE_SYS
	v_cmp_eq_u32_e32 vcc_lo, 0, v1
	v_mov_b32_e32 v1, 0
	s_or_not1_b32 s7, vcc_lo, exec_lo
.LBB0_739:                              ;   in Loop: Header=BB0_737 Depth=2
	s_wait_xcnt 0x0
	s_or_b32 exec_lo, exec_lo, s12
	s_and_saveexec_b32 s12, s7
	s_cbranch_execz .LBB0_741
; %bb.740:                              ;   in Loop: Header=BB0_737 Depth=2
	s_wait_loadcnt 0x0
	v_cmp_eq_u32_e32 vcc_lo, s4, v7
	v_cmp_eq_u32_e64 s0, s4, v9
	s_and_b32 s0, vcc_lo, s0
	s_delay_alu instid0(SALU_CYCLE_1)
	s_or_not1_b32 s0, s0, exec_lo
.LBB0_741:                              ;   in Loop: Header=BB0_737 Depth=2
	s_or_b32 exec_lo, exec_lo, s12
	s_delay_alu instid0(SALU_CYCLE_1) | instskip(NEXT) | instid1(SALU_CYCLE_1)
	s_and_b32 s0, exec_lo, s0
	s_or_b32 s6, s0, s6
	s_delay_alu instid0(SALU_CYCLE_1)
	s_and_not1_b32 exec_lo, exec_lo, s6
	s_cbranch_execnz .LBB0_737
; %bb.742:                              ;   in Loop: Header=BB0_737 Depth=2
	s_or_b32 exec_lo, exec_lo, s6
	s_wait_loadcnt 0x0
	v_dual_mov_b32 v7, v8 :: v_dual_mov_b32 v1, 0
	s_mov_b32 s6, 0
	s_delay_alu instid0(VALU_DEP_1) | instskip(SKIP_1) | instid1(SALU_CYCLE_1)
	v_cmp_eq_u64_e32 vcc_lo, s[4:5], v[6:7]
	s_or_b32 s1, vcc_lo, s1
	s_and_not1_b32 exec_lo, exec_lo, s1
	s_cbranch_execnz .LBB0_737
; %bb.743:                              ;   in Loop: Header=BB0_1 Depth=1
	s_or_b32 exec_lo, exec_lo, s1
	s_add_co_i32 s4, s2, 0x6a
	s_mov_b32 s1, s3
	s_bfe_u32 s0, s4, 0x100003
	v_dual_mov_b32 v2, s4 :: v_dual_mov_b32 v3, s4
	s_mulk_i32 s0, 0x20c5
	v_dual_mov_b32 v5, s4 :: v_dual_mov_b32 v1, 0
	s_lshr_b32 s0, s0, 20
	s_mov_b32 s5, s3
	s_mulk_i32 s0, 0x3e8
	s_delay_alu instid0(SALU_CYCLE_1) | instskip(NEXT) | instid1(SALU_CYCLE_1)
	s_sub_co_i32 s0, s4, s0
	s_and_b32 s0, s0, 0xffff
	s_delay_alu instid0(SALU_CYCLE_1) | instskip(NEXT) | instid1(SALU_CYCLE_1)
	s_lshl_b32 s0, s0, 12
	v_add_nc_u64_e32 v[6:7], s[0:1], v[10:11]
	v_add_nc_u64_e32 v[14:15], s[0:1], v[12:13]
	s_mov_b32 s1, 0
	global_store_b128 v[6:7], v[2:5], off th:TH_STORE_NT
.LBB0_744:                              ;   Parent Loop BB0_1 Depth=1
                                        ; =>  This Inner Loop Header: Depth=2
	s_wait_loadcnt 0x0
	global_load_b128 v[6:9], v[14:15], off th:TH_LOAD_NT
	v_add_nc_u32_e32 v1, 1, v1
	s_mov_b32 s0, -1
	s_mov_b32 s7, -1
	s_mov_b32 s12, exec_lo
	s_wait_xcnt 0x0
	v_cmpx_eq_u32_e32 0xf4240, v1
	s_cbranch_execz .LBB0_746
; %bb.745:                              ;   in Loop: Header=BB0_744 Depth=2
	s_wait_loadcnt 0x0
	s_wait_storecnt 0x0
	global_load_b32 v1, v4, s[10:11] scope:SCOPE_SYS
	s_wait_loadcnt 0x0
	global_inv scope:SCOPE_SYS
	v_cmp_eq_u32_e32 vcc_lo, 0, v1
	v_mov_b32_e32 v1, 0
	s_or_not1_b32 s7, vcc_lo, exec_lo
.LBB0_746:                              ;   in Loop: Header=BB0_744 Depth=2
	s_wait_xcnt 0x0
	s_or_b32 exec_lo, exec_lo, s12
	s_and_saveexec_b32 s12, s7
	s_cbranch_execz .LBB0_748
; %bb.747:                              ;   in Loop: Header=BB0_744 Depth=2
	s_wait_loadcnt 0x0
	v_cmp_eq_u32_e32 vcc_lo, s4, v7
	v_cmp_eq_u32_e64 s0, s4, v9
	s_and_b32 s0, vcc_lo, s0
	s_delay_alu instid0(SALU_CYCLE_1)
	s_or_not1_b32 s0, s0, exec_lo
.LBB0_748:                              ;   in Loop: Header=BB0_744 Depth=2
	s_or_b32 exec_lo, exec_lo, s12
	s_delay_alu instid0(SALU_CYCLE_1) | instskip(NEXT) | instid1(SALU_CYCLE_1)
	s_and_b32 s0, exec_lo, s0
	s_or_b32 s6, s0, s6
	s_delay_alu instid0(SALU_CYCLE_1)
	s_and_not1_b32 exec_lo, exec_lo, s6
	s_cbranch_execnz .LBB0_744
; %bb.749:                              ;   in Loop: Header=BB0_744 Depth=2
	s_or_b32 exec_lo, exec_lo, s6
	s_wait_loadcnt 0x0
	v_dual_mov_b32 v7, v8 :: v_dual_mov_b32 v1, 0
	s_mov_b32 s6, 0
	s_delay_alu instid0(VALU_DEP_1) | instskip(SKIP_1) | instid1(SALU_CYCLE_1)
	v_cmp_eq_u64_e32 vcc_lo, s[4:5], v[6:7]
	s_or_b32 s1, vcc_lo, s1
	s_and_not1_b32 exec_lo, exec_lo, s1
	s_cbranch_execnz .LBB0_744
; %bb.750:                              ;   in Loop: Header=BB0_1 Depth=1
	s_or_b32 exec_lo, exec_lo, s1
	s_add_co_i32 s4, s2, 0x6b
	s_mov_b32 s1, s3
	s_bfe_u32 s0, s4, 0x100003
	v_dual_mov_b32 v2, s4 :: v_dual_mov_b32 v3, s4
	s_mulk_i32 s0, 0x20c5
	v_dual_mov_b32 v5, s4 :: v_dual_mov_b32 v1, 0
	s_lshr_b32 s0, s0, 20
	s_mov_b32 s5, s3
	s_mulk_i32 s0, 0x3e8
	s_delay_alu instid0(SALU_CYCLE_1) | instskip(NEXT) | instid1(SALU_CYCLE_1)
	s_sub_co_i32 s0, s4, s0
	s_and_b32 s0, s0, 0xffff
	s_delay_alu instid0(SALU_CYCLE_1) | instskip(NEXT) | instid1(SALU_CYCLE_1)
	s_lshl_b32 s0, s0, 12
	v_add_nc_u64_e32 v[6:7], s[0:1], v[10:11]
	v_add_nc_u64_e32 v[14:15], s[0:1], v[12:13]
	s_mov_b32 s1, 0
	global_store_b128 v[6:7], v[2:5], off th:TH_STORE_NT
.LBB0_751:                              ;   Parent Loop BB0_1 Depth=1
                                        ; =>  This Inner Loop Header: Depth=2
	s_wait_loadcnt 0x0
	global_load_b128 v[6:9], v[14:15], off th:TH_LOAD_NT
	v_add_nc_u32_e32 v1, 1, v1
	s_mov_b32 s0, -1
	s_mov_b32 s7, -1
	s_mov_b32 s12, exec_lo
	s_wait_xcnt 0x0
	v_cmpx_eq_u32_e32 0xf4240, v1
	s_cbranch_execz .LBB0_753
; %bb.752:                              ;   in Loop: Header=BB0_751 Depth=2
	s_wait_loadcnt 0x0
	s_wait_storecnt 0x0
	global_load_b32 v1, v4, s[10:11] scope:SCOPE_SYS
	s_wait_loadcnt 0x0
	global_inv scope:SCOPE_SYS
	v_cmp_eq_u32_e32 vcc_lo, 0, v1
	v_mov_b32_e32 v1, 0
	s_or_not1_b32 s7, vcc_lo, exec_lo
.LBB0_753:                              ;   in Loop: Header=BB0_751 Depth=2
	s_wait_xcnt 0x0
	s_or_b32 exec_lo, exec_lo, s12
	s_and_saveexec_b32 s12, s7
	s_cbranch_execz .LBB0_755
; %bb.754:                              ;   in Loop: Header=BB0_751 Depth=2
	s_wait_loadcnt 0x0
	v_cmp_eq_u32_e32 vcc_lo, s4, v7
	v_cmp_eq_u32_e64 s0, s4, v9
	s_and_b32 s0, vcc_lo, s0
	s_delay_alu instid0(SALU_CYCLE_1)
	s_or_not1_b32 s0, s0, exec_lo
.LBB0_755:                              ;   in Loop: Header=BB0_751 Depth=2
	s_or_b32 exec_lo, exec_lo, s12
	s_delay_alu instid0(SALU_CYCLE_1) | instskip(NEXT) | instid1(SALU_CYCLE_1)
	s_and_b32 s0, exec_lo, s0
	s_or_b32 s6, s0, s6
	s_delay_alu instid0(SALU_CYCLE_1)
	s_and_not1_b32 exec_lo, exec_lo, s6
	s_cbranch_execnz .LBB0_751
; %bb.756:                              ;   in Loop: Header=BB0_751 Depth=2
	s_or_b32 exec_lo, exec_lo, s6
	s_wait_loadcnt 0x0
	v_dual_mov_b32 v7, v8 :: v_dual_mov_b32 v1, 0
	s_mov_b32 s6, 0
	s_delay_alu instid0(VALU_DEP_1) | instskip(SKIP_1) | instid1(SALU_CYCLE_1)
	v_cmp_eq_u64_e32 vcc_lo, s[4:5], v[6:7]
	s_or_b32 s1, vcc_lo, s1
	s_and_not1_b32 exec_lo, exec_lo, s1
	s_cbranch_execnz .LBB0_751
; %bb.757:                              ;   in Loop: Header=BB0_1 Depth=1
	s_or_b32 exec_lo, exec_lo, s1
	s_add_co_i32 s4, s2, 0x6c
	s_mov_b32 s1, s3
	s_bfe_u32 s0, s4, 0x100003
	v_dual_mov_b32 v2, s4 :: v_dual_mov_b32 v3, s4
	s_mulk_i32 s0, 0x20c5
	v_dual_mov_b32 v5, s4 :: v_dual_mov_b32 v1, 0
	s_lshr_b32 s0, s0, 20
	s_mov_b32 s5, s3
	s_mulk_i32 s0, 0x3e8
	s_delay_alu instid0(SALU_CYCLE_1) | instskip(NEXT) | instid1(SALU_CYCLE_1)
	s_sub_co_i32 s0, s4, s0
	s_and_b32 s0, s0, 0xffff
	s_delay_alu instid0(SALU_CYCLE_1) | instskip(NEXT) | instid1(SALU_CYCLE_1)
	s_lshl_b32 s0, s0, 12
	v_add_nc_u64_e32 v[6:7], s[0:1], v[10:11]
	v_add_nc_u64_e32 v[14:15], s[0:1], v[12:13]
	s_mov_b32 s1, 0
	global_store_b128 v[6:7], v[2:5], off th:TH_STORE_NT
.LBB0_758:                              ;   Parent Loop BB0_1 Depth=1
                                        ; =>  This Inner Loop Header: Depth=2
	s_wait_loadcnt 0x0
	global_load_b128 v[6:9], v[14:15], off th:TH_LOAD_NT
	v_add_nc_u32_e32 v1, 1, v1
	s_mov_b32 s0, -1
	s_mov_b32 s7, -1
	s_mov_b32 s12, exec_lo
	s_wait_xcnt 0x0
	v_cmpx_eq_u32_e32 0xf4240, v1
	s_cbranch_execz .LBB0_760
; %bb.759:                              ;   in Loop: Header=BB0_758 Depth=2
	s_wait_loadcnt 0x0
	s_wait_storecnt 0x0
	global_load_b32 v1, v4, s[10:11] scope:SCOPE_SYS
	s_wait_loadcnt 0x0
	global_inv scope:SCOPE_SYS
	v_cmp_eq_u32_e32 vcc_lo, 0, v1
	v_mov_b32_e32 v1, 0
	s_or_not1_b32 s7, vcc_lo, exec_lo
.LBB0_760:                              ;   in Loop: Header=BB0_758 Depth=2
	s_wait_xcnt 0x0
	s_or_b32 exec_lo, exec_lo, s12
	s_and_saveexec_b32 s12, s7
	s_cbranch_execz .LBB0_762
; %bb.761:                              ;   in Loop: Header=BB0_758 Depth=2
	s_wait_loadcnt 0x0
	v_cmp_eq_u32_e32 vcc_lo, s4, v7
	v_cmp_eq_u32_e64 s0, s4, v9
	s_and_b32 s0, vcc_lo, s0
	s_delay_alu instid0(SALU_CYCLE_1)
	s_or_not1_b32 s0, s0, exec_lo
.LBB0_762:                              ;   in Loop: Header=BB0_758 Depth=2
	s_or_b32 exec_lo, exec_lo, s12
	s_delay_alu instid0(SALU_CYCLE_1) | instskip(NEXT) | instid1(SALU_CYCLE_1)
	s_and_b32 s0, exec_lo, s0
	s_or_b32 s6, s0, s6
	s_delay_alu instid0(SALU_CYCLE_1)
	s_and_not1_b32 exec_lo, exec_lo, s6
	s_cbranch_execnz .LBB0_758
; %bb.763:                              ;   in Loop: Header=BB0_758 Depth=2
	s_or_b32 exec_lo, exec_lo, s6
	s_wait_loadcnt 0x0
	v_dual_mov_b32 v7, v8 :: v_dual_mov_b32 v1, 0
	s_mov_b32 s6, 0
	s_delay_alu instid0(VALU_DEP_1) | instskip(SKIP_1) | instid1(SALU_CYCLE_1)
	v_cmp_eq_u64_e32 vcc_lo, s[4:5], v[6:7]
	s_or_b32 s1, vcc_lo, s1
	s_and_not1_b32 exec_lo, exec_lo, s1
	s_cbranch_execnz .LBB0_758
; %bb.764:                              ;   in Loop: Header=BB0_1 Depth=1
	s_or_b32 exec_lo, exec_lo, s1
	s_add_co_i32 s4, s2, 0x6d
	s_mov_b32 s1, s3
	s_bfe_u32 s0, s4, 0x100003
	v_dual_mov_b32 v2, s4 :: v_dual_mov_b32 v3, s4
	s_mulk_i32 s0, 0x20c5
	v_dual_mov_b32 v5, s4 :: v_dual_mov_b32 v1, 0
	s_lshr_b32 s0, s0, 20
	s_mov_b32 s5, s3
	s_mulk_i32 s0, 0x3e8
	s_delay_alu instid0(SALU_CYCLE_1) | instskip(NEXT) | instid1(SALU_CYCLE_1)
	s_sub_co_i32 s0, s4, s0
	s_and_b32 s0, s0, 0xffff
	s_delay_alu instid0(SALU_CYCLE_1) | instskip(NEXT) | instid1(SALU_CYCLE_1)
	s_lshl_b32 s0, s0, 12
	v_add_nc_u64_e32 v[6:7], s[0:1], v[10:11]
	v_add_nc_u64_e32 v[14:15], s[0:1], v[12:13]
	s_mov_b32 s1, 0
	global_store_b128 v[6:7], v[2:5], off th:TH_STORE_NT
.LBB0_765:                              ;   Parent Loop BB0_1 Depth=1
                                        ; =>  This Inner Loop Header: Depth=2
	s_wait_loadcnt 0x0
	global_load_b128 v[6:9], v[14:15], off th:TH_LOAD_NT
	v_add_nc_u32_e32 v1, 1, v1
	s_mov_b32 s0, -1
	s_mov_b32 s7, -1
	s_mov_b32 s12, exec_lo
	s_wait_xcnt 0x0
	v_cmpx_eq_u32_e32 0xf4240, v1
	s_cbranch_execz .LBB0_767
; %bb.766:                              ;   in Loop: Header=BB0_765 Depth=2
	s_wait_loadcnt 0x0
	s_wait_storecnt 0x0
	global_load_b32 v1, v4, s[10:11] scope:SCOPE_SYS
	s_wait_loadcnt 0x0
	global_inv scope:SCOPE_SYS
	v_cmp_eq_u32_e32 vcc_lo, 0, v1
	v_mov_b32_e32 v1, 0
	s_or_not1_b32 s7, vcc_lo, exec_lo
.LBB0_767:                              ;   in Loop: Header=BB0_765 Depth=2
	s_wait_xcnt 0x0
	s_or_b32 exec_lo, exec_lo, s12
	s_and_saveexec_b32 s12, s7
	s_cbranch_execz .LBB0_769
; %bb.768:                              ;   in Loop: Header=BB0_765 Depth=2
	s_wait_loadcnt 0x0
	v_cmp_eq_u32_e32 vcc_lo, s4, v7
	v_cmp_eq_u32_e64 s0, s4, v9
	s_and_b32 s0, vcc_lo, s0
	s_delay_alu instid0(SALU_CYCLE_1)
	s_or_not1_b32 s0, s0, exec_lo
.LBB0_769:                              ;   in Loop: Header=BB0_765 Depth=2
	s_or_b32 exec_lo, exec_lo, s12
	s_delay_alu instid0(SALU_CYCLE_1) | instskip(NEXT) | instid1(SALU_CYCLE_1)
	s_and_b32 s0, exec_lo, s0
	s_or_b32 s6, s0, s6
	s_delay_alu instid0(SALU_CYCLE_1)
	s_and_not1_b32 exec_lo, exec_lo, s6
	s_cbranch_execnz .LBB0_765
; %bb.770:                              ;   in Loop: Header=BB0_765 Depth=2
	s_or_b32 exec_lo, exec_lo, s6
	s_wait_loadcnt 0x0
	v_dual_mov_b32 v7, v8 :: v_dual_mov_b32 v1, 0
	s_mov_b32 s6, 0
	s_delay_alu instid0(VALU_DEP_1) | instskip(SKIP_1) | instid1(SALU_CYCLE_1)
	v_cmp_eq_u64_e32 vcc_lo, s[4:5], v[6:7]
	s_or_b32 s1, vcc_lo, s1
	s_and_not1_b32 exec_lo, exec_lo, s1
	s_cbranch_execnz .LBB0_765
; %bb.771:                              ;   in Loop: Header=BB0_1 Depth=1
	s_or_b32 exec_lo, exec_lo, s1
	s_add_co_i32 s4, s2, 0x6e
	s_mov_b32 s1, s3
	s_bfe_u32 s0, s4, 0x100003
	v_dual_mov_b32 v2, s4 :: v_dual_mov_b32 v3, s4
	s_mulk_i32 s0, 0x20c5
	v_dual_mov_b32 v5, s4 :: v_dual_mov_b32 v1, 0
	s_lshr_b32 s0, s0, 20
	s_mov_b32 s5, s3
	s_mulk_i32 s0, 0x3e8
	s_delay_alu instid0(SALU_CYCLE_1) | instskip(NEXT) | instid1(SALU_CYCLE_1)
	s_sub_co_i32 s0, s4, s0
	s_and_b32 s0, s0, 0xffff
	s_delay_alu instid0(SALU_CYCLE_1) | instskip(NEXT) | instid1(SALU_CYCLE_1)
	s_lshl_b32 s0, s0, 12
	v_add_nc_u64_e32 v[6:7], s[0:1], v[10:11]
	v_add_nc_u64_e32 v[14:15], s[0:1], v[12:13]
	s_mov_b32 s1, 0
	global_store_b128 v[6:7], v[2:5], off th:TH_STORE_NT
.LBB0_772:                              ;   Parent Loop BB0_1 Depth=1
                                        ; =>  This Inner Loop Header: Depth=2
	s_wait_loadcnt 0x0
	global_load_b128 v[6:9], v[14:15], off th:TH_LOAD_NT
	v_add_nc_u32_e32 v1, 1, v1
	s_mov_b32 s0, -1
	s_mov_b32 s7, -1
	s_mov_b32 s12, exec_lo
	s_wait_xcnt 0x0
	v_cmpx_eq_u32_e32 0xf4240, v1
	s_cbranch_execz .LBB0_774
; %bb.773:                              ;   in Loop: Header=BB0_772 Depth=2
	s_wait_loadcnt 0x0
	s_wait_storecnt 0x0
	global_load_b32 v1, v4, s[10:11] scope:SCOPE_SYS
	s_wait_loadcnt 0x0
	global_inv scope:SCOPE_SYS
	v_cmp_eq_u32_e32 vcc_lo, 0, v1
	v_mov_b32_e32 v1, 0
	s_or_not1_b32 s7, vcc_lo, exec_lo
.LBB0_774:                              ;   in Loop: Header=BB0_772 Depth=2
	s_wait_xcnt 0x0
	s_or_b32 exec_lo, exec_lo, s12
	s_and_saveexec_b32 s12, s7
	s_cbranch_execz .LBB0_776
; %bb.775:                              ;   in Loop: Header=BB0_772 Depth=2
	s_wait_loadcnt 0x0
	v_cmp_eq_u32_e32 vcc_lo, s4, v7
	v_cmp_eq_u32_e64 s0, s4, v9
	s_and_b32 s0, vcc_lo, s0
	s_delay_alu instid0(SALU_CYCLE_1)
	s_or_not1_b32 s0, s0, exec_lo
.LBB0_776:                              ;   in Loop: Header=BB0_772 Depth=2
	s_or_b32 exec_lo, exec_lo, s12
	s_delay_alu instid0(SALU_CYCLE_1) | instskip(NEXT) | instid1(SALU_CYCLE_1)
	s_and_b32 s0, exec_lo, s0
	s_or_b32 s6, s0, s6
	s_delay_alu instid0(SALU_CYCLE_1)
	s_and_not1_b32 exec_lo, exec_lo, s6
	s_cbranch_execnz .LBB0_772
; %bb.777:                              ;   in Loop: Header=BB0_772 Depth=2
	s_or_b32 exec_lo, exec_lo, s6
	s_wait_loadcnt 0x0
	v_dual_mov_b32 v7, v8 :: v_dual_mov_b32 v1, 0
	s_mov_b32 s6, 0
	s_delay_alu instid0(VALU_DEP_1) | instskip(SKIP_1) | instid1(SALU_CYCLE_1)
	v_cmp_eq_u64_e32 vcc_lo, s[4:5], v[6:7]
	s_or_b32 s1, vcc_lo, s1
	s_and_not1_b32 exec_lo, exec_lo, s1
	s_cbranch_execnz .LBB0_772
; %bb.778:                              ;   in Loop: Header=BB0_1 Depth=1
	s_or_b32 exec_lo, exec_lo, s1
	s_add_co_i32 s4, s2, 0x6f
	s_mov_b32 s1, s3
	s_bfe_u32 s0, s4, 0x100003
	v_dual_mov_b32 v2, s4 :: v_dual_mov_b32 v3, s4
	s_mulk_i32 s0, 0x20c5
	v_dual_mov_b32 v5, s4 :: v_dual_mov_b32 v1, 0
	s_lshr_b32 s0, s0, 20
	s_mov_b32 s5, s3
	s_mulk_i32 s0, 0x3e8
	s_delay_alu instid0(SALU_CYCLE_1) | instskip(NEXT) | instid1(SALU_CYCLE_1)
	s_sub_co_i32 s0, s4, s0
	s_and_b32 s0, s0, 0xffff
	s_delay_alu instid0(SALU_CYCLE_1) | instskip(NEXT) | instid1(SALU_CYCLE_1)
	s_lshl_b32 s0, s0, 12
	v_add_nc_u64_e32 v[6:7], s[0:1], v[10:11]
	v_add_nc_u64_e32 v[14:15], s[0:1], v[12:13]
	s_mov_b32 s1, 0
	global_store_b128 v[6:7], v[2:5], off th:TH_STORE_NT
.LBB0_779:                              ;   Parent Loop BB0_1 Depth=1
                                        ; =>  This Inner Loop Header: Depth=2
	s_wait_loadcnt 0x0
	global_load_b128 v[6:9], v[14:15], off th:TH_LOAD_NT
	v_add_nc_u32_e32 v1, 1, v1
	s_mov_b32 s0, -1
	s_mov_b32 s7, -1
	s_mov_b32 s12, exec_lo
	s_wait_xcnt 0x0
	v_cmpx_eq_u32_e32 0xf4240, v1
	s_cbranch_execz .LBB0_781
; %bb.780:                              ;   in Loop: Header=BB0_779 Depth=2
	s_wait_loadcnt 0x0
	s_wait_storecnt 0x0
	global_load_b32 v1, v4, s[10:11] scope:SCOPE_SYS
	s_wait_loadcnt 0x0
	global_inv scope:SCOPE_SYS
	v_cmp_eq_u32_e32 vcc_lo, 0, v1
	v_mov_b32_e32 v1, 0
	s_or_not1_b32 s7, vcc_lo, exec_lo
.LBB0_781:                              ;   in Loop: Header=BB0_779 Depth=2
	s_wait_xcnt 0x0
	s_or_b32 exec_lo, exec_lo, s12
	s_and_saveexec_b32 s12, s7
	s_cbranch_execz .LBB0_783
; %bb.782:                              ;   in Loop: Header=BB0_779 Depth=2
	s_wait_loadcnt 0x0
	v_cmp_eq_u32_e32 vcc_lo, s4, v7
	v_cmp_eq_u32_e64 s0, s4, v9
	s_and_b32 s0, vcc_lo, s0
	s_delay_alu instid0(SALU_CYCLE_1)
	s_or_not1_b32 s0, s0, exec_lo
.LBB0_783:                              ;   in Loop: Header=BB0_779 Depth=2
	s_or_b32 exec_lo, exec_lo, s12
	s_delay_alu instid0(SALU_CYCLE_1) | instskip(NEXT) | instid1(SALU_CYCLE_1)
	s_and_b32 s0, exec_lo, s0
	s_or_b32 s6, s0, s6
	s_delay_alu instid0(SALU_CYCLE_1)
	s_and_not1_b32 exec_lo, exec_lo, s6
	s_cbranch_execnz .LBB0_779
; %bb.784:                              ;   in Loop: Header=BB0_779 Depth=2
	s_or_b32 exec_lo, exec_lo, s6
	s_wait_loadcnt 0x0
	v_dual_mov_b32 v7, v8 :: v_dual_mov_b32 v1, 0
	s_mov_b32 s6, 0
	s_delay_alu instid0(VALU_DEP_1) | instskip(SKIP_1) | instid1(SALU_CYCLE_1)
	v_cmp_eq_u64_e32 vcc_lo, s[4:5], v[6:7]
	s_or_b32 s1, vcc_lo, s1
	s_and_not1_b32 exec_lo, exec_lo, s1
	s_cbranch_execnz .LBB0_779
; %bb.785:                              ;   in Loop: Header=BB0_1 Depth=1
	s_or_b32 exec_lo, exec_lo, s1
	s_add_co_i32 s4, s2, 0x70
	s_mov_b32 s1, s3
	s_bfe_u32 s0, s4, 0x100003
	v_dual_mov_b32 v2, s4 :: v_dual_mov_b32 v3, s4
	s_mulk_i32 s0, 0x20c5
	v_dual_mov_b32 v5, s4 :: v_dual_mov_b32 v1, 0
	s_lshr_b32 s0, s0, 20
	s_mov_b32 s5, s3
	s_mulk_i32 s0, 0x3e8
	s_delay_alu instid0(SALU_CYCLE_1) | instskip(NEXT) | instid1(SALU_CYCLE_1)
	s_sub_co_i32 s0, s4, s0
	s_and_b32 s0, s0, 0xffff
	s_delay_alu instid0(SALU_CYCLE_1) | instskip(NEXT) | instid1(SALU_CYCLE_1)
	s_lshl_b32 s0, s0, 12
	v_add_nc_u64_e32 v[6:7], s[0:1], v[10:11]
	v_add_nc_u64_e32 v[14:15], s[0:1], v[12:13]
	s_mov_b32 s1, 0
	global_store_b128 v[6:7], v[2:5], off th:TH_STORE_NT
.LBB0_786:                              ;   Parent Loop BB0_1 Depth=1
                                        ; =>  This Inner Loop Header: Depth=2
	s_wait_loadcnt 0x0
	global_load_b128 v[6:9], v[14:15], off th:TH_LOAD_NT
	v_add_nc_u32_e32 v1, 1, v1
	s_mov_b32 s0, -1
	s_mov_b32 s7, -1
	s_mov_b32 s12, exec_lo
	s_wait_xcnt 0x0
	v_cmpx_eq_u32_e32 0xf4240, v1
	s_cbranch_execz .LBB0_788
; %bb.787:                              ;   in Loop: Header=BB0_786 Depth=2
	s_wait_loadcnt 0x0
	s_wait_storecnt 0x0
	global_load_b32 v1, v4, s[10:11] scope:SCOPE_SYS
	s_wait_loadcnt 0x0
	global_inv scope:SCOPE_SYS
	v_cmp_eq_u32_e32 vcc_lo, 0, v1
	v_mov_b32_e32 v1, 0
	s_or_not1_b32 s7, vcc_lo, exec_lo
.LBB0_788:                              ;   in Loop: Header=BB0_786 Depth=2
	s_wait_xcnt 0x0
	s_or_b32 exec_lo, exec_lo, s12
	s_and_saveexec_b32 s12, s7
	s_cbranch_execz .LBB0_790
; %bb.789:                              ;   in Loop: Header=BB0_786 Depth=2
	s_wait_loadcnt 0x0
	v_cmp_eq_u32_e32 vcc_lo, s4, v7
	v_cmp_eq_u32_e64 s0, s4, v9
	s_and_b32 s0, vcc_lo, s0
	s_delay_alu instid0(SALU_CYCLE_1)
	s_or_not1_b32 s0, s0, exec_lo
.LBB0_790:                              ;   in Loop: Header=BB0_786 Depth=2
	s_or_b32 exec_lo, exec_lo, s12
	s_delay_alu instid0(SALU_CYCLE_1) | instskip(NEXT) | instid1(SALU_CYCLE_1)
	s_and_b32 s0, exec_lo, s0
	s_or_b32 s6, s0, s6
	s_delay_alu instid0(SALU_CYCLE_1)
	s_and_not1_b32 exec_lo, exec_lo, s6
	s_cbranch_execnz .LBB0_786
; %bb.791:                              ;   in Loop: Header=BB0_786 Depth=2
	s_or_b32 exec_lo, exec_lo, s6
	s_wait_loadcnt 0x0
	v_dual_mov_b32 v7, v8 :: v_dual_mov_b32 v1, 0
	s_mov_b32 s6, 0
	s_delay_alu instid0(VALU_DEP_1) | instskip(SKIP_1) | instid1(SALU_CYCLE_1)
	v_cmp_eq_u64_e32 vcc_lo, s[4:5], v[6:7]
	s_or_b32 s1, vcc_lo, s1
	s_and_not1_b32 exec_lo, exec_lo, s1
	s_cbranch_execnz .LBB0_786
; %bb.792:                              ;   in Loop: Header=BB0_1 Depth=1
	s_or_b32 exec_lo, exec_lo, s1
	s_add_co_i32 s4, s2, 0x71
	s_mov_b32 s1, s3
	s_bfe_u32 s0, s4, 0x100003
	v_dual_mov_b32 v2, s4 :: v_dual_mov_b32 v3, s4
	s_mulk_i32 s0, 0x20c5
	v_dual_mov_b32 v5, s4 :: v_dual_mov_b32 v1, 0
	s_lshr_b32 s0, s0, 20
	s_mov_b32 s5, s3
	s_mulk_i32 s0, 0x3e8
	s_delay_alu instid0(SALU_CYCLE_1) | instskip(NEXT) | instid1(SALU_CYCLE_1)
	s_sub_co_i32 s0, s4, s0
	s_and_b32 s0, s0, 0xffff
	s_delay_alu instid0(SALU_CYCLE_1) | instskip(NEXT) | instid1(SALU_CYCLE_1)
	s_lshl_b32 s0, s0, 12
	v_add_nc_u64_e32 v[6:7], s[0:1], v[10:11]
	v_add_nc_u64_e32 v[14:15], s[0:1], v[12:13]
	s_mov_b32 s1, 0
	global_store_b128 v[6:7], v[2:5], off th:TH_STORE_NT
.LBB0_793:                              ;   Parent Loop BB0_1 Depth=1
                                        ; =>  This Inner Loop Header: Depth=2
	s_wait_loadcnt 0x0
	global_load_b128 v[6:9], v[14:15], off th:TH_LOAD_NT
	v_add_nc_u32_e32 v1, 1, v1
	s_mov_b32 s0, -1
	s_mov_b32 s7, -1
	s_mov_b32 s12, exec_lo
	s_wait_xcnt 0x0
	v_cmpx_eq_u32_e32 0xf4240, v1
	s_cbranch_execz .LBB0_795
; %bb.794:                              ;   in Loop: Header=BB0_793 Depth=2
	s_wait_loadcnt 0x0
	s_wait_storecnt 0x0
	global_load_b32 v1, v4, s[10:11] scope:SCOPE_SYS
	s_wait_loadcnt 0x0
	global_inv scope:SCOPE_SYS
	v_cmp_eq_u32_e32 vcc_lo, 0, v1
	v_mov_b32_e32 v1, 0
	s_or_not1_b32 s7, vcc_lo, exec_lo
.LBB0_795:                              ;   in Loop: Header=BB0_793 Depth=2
	s_wait_xcnt 0x0
	s_or_b32 exec_lo, exec_lo, s12
	s_and_saveexec_b32 s12, s7
	s_cbranch_execz .LBB0_797
; %bb.796:                              ;   in Loop: Header=BB0_793 Depth=2
	s_wait_loadcnt 0x0
	v_cmp_eq_u32_e32 vcc_lo, s4, v7
	v_cmp_eq_u32_e64 s0, s4, v9
	s_and_b32 s0, vcc_lo, s0
	s_delay_alu instid0(SALU_CYCLE_1)
	s_or_not1_b32 s0, s0, exec_lo
.LBB0_797:                              ;   in Loop: Header=BB0_793 Depth=2
	s_or_b32 exec_lo, exec_lo, s12
	s_delay_alu instid0(SALU_CYCLE_1) | instskip(NEXT) | instid1(SALU_CYCLE_1)
	s_and_b32 s0, exec_lo, s0
	s_or_b32 s6, s0, s6
	s_delay_alu instid0(SALU_CYCLE_1)
	s_and_not1_b32 exec_lo, exec_lo, s6
	s_cbranch_execnz .LBB0_793
; %bb.798:                              ;   in Loop: Header=BB0_793 Depth=2
	s_or_b32 exec_lo, exec_lo, s6
	s_wait_loadcnt 0x0
	v_dual_mov_b32 v7, v8 :: v_dual_mov_b32 v1, 0
	s_mov_b32 s6, 0
	s_delay_alu instid0(VALU_DEP_1) | instskip(SKIP_1) | instid1(SALU_CYCLE_1)
	v_cmp_eq_u64_e32 vcc_lo, s[4:5], v[6:7]
	s_or_b32 s1, vcc_lo, s1
	s_and_not1_b32 exec_lo, exec_lo, s1
	s_cbranch_execnz .LBB0_793
; %bb.799:                              ;   in Loop: Header=BB0_1 Depth=1
	s_or_b32 exec_lo, exec_lo, s1
	s_add_co_i32 s4, s2, 0x72
	s_mov_b32 s1, s3
	s_bfe_u32 s0, s4, 0x100003
	v_dual_mov_b32 v2, s4 :: v_dual_mov_b32 v3, s4
	s_mulk_i32 s0, 0x20c5
	v_dual_mov_b32 v5, s4 :: v_dual_mov_b32 v1, 0
	s_lshr_b32 s0, s0, 20
	s_mov_b32 s5, s3
	s_mulk_i32 s0, 0x3e8
	s_delay_alu instid0(SALU_CYCLE_1) | instskip(NEXT) | instid1(SALU_CYCLE_1)
	s_sub_co_i32 s0, s4, s0
	s_and_b32 s0, s0, 0xffff
	s_delay_alu instid0(SALU_CYCLE_1) | instskip(NEXT) | instid1(SALU_CYCLE_1)
	s_lshl_b32 s0, s0, 12
	v_add_nc_u64_e32 v[6:7], s[0:1], v[10:11]
	v_add_nc_u64_e32 v[14:15], s[0:1], v[12:13]
	s_mov_b32 s1, 0
	global_store_b128 v[6:7], v[2:5], off th:TH_STORE_NT
.LBB0_800:                              ;   Parent Loop BB0_1 Depth=1
                                        ; =>  This Inner Loop Header: Depth=2
	s_wait_loadcnt 0x0
	global_load_b128 v[6:9], v[14:15], off th:TH_LOAD_NT
	v_add_nc_u32_e32 v1, 1, v1
	s_mov_b32 s0, -1
	s_mov_b32 s7, -1
	s_mov_b32 s12, exec_lo
	s_wait_xcnt 0x0
	v_cmpx_eq_u32_e32 0xf4240, v1
	s_cbranch_execz .LBB0_802
; %bb.801:                              ;   in Loop: Header=BB0_800 Depth=2
	s_wait_loadcnt 0x0
	s_wait_storecnt 0x0
	global_load_b32 v1, v4, s[10:11] scope:SCOPE_SYS
	s_wait_loadcnt 0x0
	global_inv scope:SCOPE_SYS
	v_cmp_eq_u32_e32 vcc_lo, 0, v1
	v_mov_b32_e32 v1, 0
	s_or_not1_b32 s7, vcc_lo, exec_lo
.LBB0_802:                              ;   in Loop: Header=BB0_800 Depth=2
	s_wait_xcnt 0x0
	s_or_b32 exec_lo, exec_lo, s12
	s_and_saveexec_b32 s12, s7
	s_cbranch_execz .LBB0_804
; %bb.803:                              ;   in Loop: Header=BB0_800 Depth=2
	s_wait_loadcnt 0x0
	v_cmp_eq_u32_e32 vcc_lo, s4, v7
	v_cmp_eq_u32_e64 s0, s4, v9
	s_and_b32 s0, vcc_lo, s0
	s_delay_alu instid0(SALU_CYCLE_1)
	s_or_not1_b32 s0, s0, exec_lo
.LBB0_804:                              ;   in Loop: Header=BB0_800 Depth=2
	s_or_b32 exec_lo, exec_lo, s12
	s_delay_alu instid0(SALU_CYCLE_1) | instskip(NEXT) | instid1(SALU_CYCLE_1)
	s_and_b32 s0, exec_lo, s0
	s_or_b32 s6, s0, s6
	s_delay_alu instid0(SALU_CYCLE_1)
	s_and_not1_b32 exec_lo, exec_lo, s6
	s_cbranch_execnz .LBB0_800
; %bb.805:                              ;   in Loop: Header=BB0_800 Depth=2
	s_or_b32 exec_lo, exec_lo, s6
	s_wait_loadcnt 0x0
	v_dual_mov_b32 v7, v8 :: v_dual_mov_b32 v1, 0
	s_mov_b32 s6, 0
	s_delay_alu instid0(VALU_DEP_1) | instskip(SKIP_1) | instid1(SALU_CYCLE_1)
	v_cmp_eq_u64_e32 vcc_lo, s[4:5], v[6:7]
	s_or_b32 s1, vcc_lo, s1
	s_and_not1_b32 exec_lo, exec_lo, s1
	s_cbranch_execnz .LBB0_800
; %bb.806:                              ;   in Loop: Header=BB0_1 Depth=1
	s_or_b32 exec_lo, exec_lo, s1
	s_add_co_i32 s4, s2, 0x73
	s_mov_b32 s1, s3
	s_bfe_u32 s0, s4, 0x100003
	v_dual_mov_b32 v2, s4 :: v_dual_mov_b32 v3, s4
	s_mulk_i32 s0, 0x20c5
	v_dual_mov_b32 v5, s4 :: v_dual_mov_b32 v1, 0
	s_lshr_b32 s0, s0, 20
	s_mov_b32 s5, s3
	s_mulk_i32 s0, 0x3e8
	s_delay_alu instid0(SALU_CYCLE_1) | instskip(NEXT) | instid1(SALU_CYCLE_1)
	s_sub_co_i32 s0, s4, s0
	s_and_b32 s0, s0, 0xffff
	s_delay_alu instid0(SALU_CYCLE_1) | instskip(NEXT) | instid1(SALU_CYCLE_1)
	s_lshl_b32 s0, s0, 12
	v_add_nc_u64_e32 v[6:7], s[0:1], v[10:11]
	v_add_nc_u64_e32 v[14:15], s[0:1], v[12:13]
	s_mov_b32 s1, 0
	global_store_b128 v[6:7], v[2:5], off th:TH_STORE_NT
.LBB0_807:                              ;   Parent Loop BB0_1 Depth=1
                                        ; =>  This Inner Loop Header: Depth=2
	s_wait_loadcnt 0x0
	global_load_b128 v[6:9], v[14:15], off th:TH_LOAD_NT
	v_add_nc_u32_e32 v1, 1, v1
	s_mov_b32 s0, -1
	s_mov_b32 s7, -1
	s_mov_b32 s12, exec_lo
	s_wait_xcnt 0x0
	v_cmpx_eq_u32_e32 0xf4240, v1
	s_cbranch_execz .LBB0_809
; %bb.808:                              ;   in Loop: Header=BB0_807 Depth=2
	s_wait_loadcnt 0x0
	s_wait_storecnt 0x0
	global_load_b32 v1, v4, s[10:11] scope:SCOPE_SYS
	s_wait_loadcnt 0x0
	global_inv scope:SCOPE_SYS
	v_cmp_eq_u32_e32 vcc_lo, 0, v1
	v_mov_b32_e32 v1, 0
	s_or_not1_b32 s7, vcc_lo, exec_lo
.LBB0_809:                              ;   in Loop: Header=BB0_807 Depth=2
	s_wait_xcnt 0x0
	s_or_b32 exec_lo, exec_lo, s12
	s_and_saveexec_b32 s12, s7
	s_cbranch_execz .LBB0_811
; %bb.810:                              ;   in Loop: Header=BB0_807 Depth=2
	s_wait_loadcnt 0x0
	v_cmp_eq_u32_e32 vcc_lo, s4, v7
	v_cmp_eq_u32_e64 s0, s4, v9
	s_and_b32 s0, vcc_lo, s0
	s_delay_alu instid0(SALU_CYCLE_1)
	s_or_not1_b32 s0, s0, exec_lo
.LBB0_811:                              ;   in Loop: Header=BB0_807 Depth=2
	s_or_b32 exec_lo, exec_lo, s12
	s_delay_alu instid0(SALU_CYCLE_1) | instskip(NEXT) | instid1(SALU_CYCLE_1)
	s_and_b32 s0, exec_lo, s0
	s_or_b32 s6, s0, s6
	s_delay_alu instid0(SALU_CYCLE_1)
	s_and_not1_b32 exec_lo, exec_lo, s6
	s_cbranch_execnz .LBB0_807
; %bb.812:                              ;   in Loop: Header=BB0_807 Depth=2
	s_or_b32 exec_lo, exec_lo, s6
	s_wait_loadcnt 0x0
	v_dual_mov_b32 v7, v8 :: v_dual_mov_b32 v1, 0
	s_mov_b32 s6, 0
	s_delay_alu instid0(VALU_DEP_1) | instskip(SKIP_1) | instid1(SALU_CYCLE_1)
	v_cmp_eq_u64_e32 vcc_lo, s[4:5], v[6:7]
	s_or_b32 s1, vcc_lo, s1
	s_and_not1_b32 exec_lo, exec_lo, s1
	s_cbranch_execnz .LBB0_807
; %bb.813:                              ;   in Loop: Header=BB0_1 Depth=1
	s_or_b32 exec_lo, exec_lo, s1
	s_add_co_i32 s4, s2, 0x74
	s_mov_b32 s1, s3
	s_bfe_u32 s0, s4, 0x100003
	v_dual_mov_b32 v2, s4 :: v_dual_mov_b32 v3, s4
	s_mulk_i32 s0, 0x20c5
	v_dual_mov_b32 v5, s4 :: v_dual_mov_b32 v1, 0
	s_lshr_b32 s0, s0, 20
	s_mov_b32 s5, s3
	s_mulk_i32 s0, 0x3e8
	s_delay_alu instid0(SALU_CYCLE_1) | instskip(NEXT) | instid1(SALU_CYCLE_1)
	s_sub_co_i32 s0, s4, s0
	s_and_b32 s0, s0, 0xffff
	s_delay_alu instid0(SALU_CYCLE_1) | instskip(NEXT) | instid1(SALU_CYCLE_1)
	s_lshl_b32 s0, s0, 12
	v_add_nc_u64_e32 v[6:7], s[0:1], v[10:11]
	v_add_nc_u64_e32 v[14:15], s[0:1], v[12:13]
	s_mov_b32 s1, 0
	global_store_b128 v[6:7], v[2:5], off th:TH_STORE_NT
.LBB0_814:                              ;   Parent Loop BB0_1 Depth=1
                                        ; =>  This Inner Loop Header: Depth=2
	s_wait_loadcnt 0x0
	global_load_b128 v[6:9], v[14:15], off th:TH_LOAD_NT
	v_add_nc_u32_e32 v1, 1, v1
	s_mov_b32 s0, -1
	s_mov_b32 s7, -1
	s_mov_b32 s12, exec_lo
	s_wait_xcnt 0x0
	v_cmpx_eq_u32_e32 0xf4240, v1
	s_cbranch_execz .LBB0_816
; %bb.815:                              ;   in Loop: Header=BB0_814 Depth=2
	s_wait_loadcnt 0x0
	s_wait_storecnt 0x0
	global_load_b32 v1, v4, s[10:11] scope:SCOPE_SYS
	s_wait_loadcnt 0x0
	global_inv scope:SCOPE_SYS
	v_cmp_eq_u32_e32 vcc_lo, 0, v1
	v_mov_b32_e32 v1, 0
	s_or_not1_b32 s7, vcc_lo, exec_lo
.LBB0_816:                              ;   in Loop: Header=BB0_814 Depth=2
	s_wait_xcnt 0x0
	s_or_b32 exec_lo, exec_lo, s12
	s_and_saveexec_b32 s12, s7
	s_cbranch_execz .LBB0_818
; %bb.817:                              ;   in Loop: Header=BB0_814 Depth=2
	s_wait_loadcnt 0x0
	v_cmp_eq_u32_e32 vcc_lo, s4, v7
	v_cmp_eq_u32_e64 s0, s4, v9
	s_and_b32 s0, vcc_lo, s0
	s_delay_alu instid0(SALU_CYCLE_1)
	s_or_not1_b32 s0, s0, exec_lo
.LBB0_818:                              ;   in Loop: Header=BB0_814 Depth=2
	s_or_b32 exec_lo, exec_lo, s12
	s_delay_alu instid0(SALU_CYCLE_1) | instskip(NEXT) | instid1(SALU_CYCLE_1)
	s_and_b32 s0, exec_lo, s0
	s_or_b32 s6, s0, s6
	s_delay_alu instid0(SALU_CYCLE_1)
	s_and_not1_b32 exec_lo, exec_lo, s6
	s_cbranch_execnz .LBB0_814
; %bb.819:                              ;   in Loop: Header=BB0_814 Depth=2
	s_or_b32 exec_lo, exec_lo, s6
	s_wait_loadcnt 0x0
	v_dual_mov_b32 v7, v8 :: v_dual_mov_b32 v1, 0
	s_mov_b32 s6, 0
	s_delay_alu instid0(VALU_DEP_1) | instskip(SKIP_1) | instid1(SALU_CYCLE_1)
	v_cmp_eq_u64_e32 vcc_lo, s[4:5], v[6:7]
	s_or_b32 s1, vcc_lo, s1
	s_and_not1_b32 exec_lo, exec_lo, s1
	s_cbranch_execnz .LBB0_814
; %bb.820:                              ;   in Loop: Header=BB0_1 Depth=1
	s_or_b32 exec_lo, exec_lo, s1
	s_add_co_i32 s4, s2, 0x75
	s_mov_b32 s1, s3
	s_bfe_u32 s0, s4, 0x100003
	v_dual_mov_b32 v2, s4 :: v_dual_mov_b32 v3, s4
	s_mulk_i32 s0, 0x20c5
	v_dual_mov_b32 v5, s4 :: v_dual_mov_b32 v1, 0
	s_lshr_b32 s0, s0, 20
	s_mov_b32 s5, s3
	s_mulk_i32 s0, 0x3e8
	s_delay_alu instid0(SALU_CYCLE_1) | instskip(NEXT) | instid1(SALU_CYCLE_1)
	s_sub_co_i32 s0, s4, s0
	s_and_b32 s0, s0, 0xffff
	s_delay_alu instid0(SALU_CYCLE_1) | instskip(NEXT) | instid1(SALU_CYCLE_1)
	s_lshl_b32 s0, s0, 12
	v_add_nc_u64_e32 v[6:7], s[0:1], v[10:11]
	v_add_nc_u64_e32 v[14:15], s[0:1], v[12:13]
	s_mov_b32 s1, 0
	global_store_b128 v[6:7], v[2:5], off th:TH_STORE_NT
.LBB0_821:                              ;   Parent Loop BB0_1 Depth=1
                                        ; =>  This Inner Loop Header: Depth=2
	s_wait_loadcnt 0x0
	global_load_b128 v[6:9], v[14:15], off th:TH_LOAD_NT
	v_add_nc_u32_e32 v1, 1, v1
	s_mov_b32 s0, -1
	s_mov_b32 s7, -1
	s_mov_b32 s12, exec_lo
	s_wait_xcnt 0x0
	v_cmpx_eq_u32_e32 0xf4240, v1
	s_cbranch_execz .LBB0_823
; %bb.822:                              ;   in Loop: Header=BB0_821 Depth=2
	s_wait_loadcnt 0x0
	s_wait_storecnt 0x0
	global_load_b32 v1, v4, s[10:11] scope:SCOPE_SYS
	s_wait_loadcnt 0x0
	global_inv scope:SCOPE_SYS
	v_cmp_eq_u32_e32 vcc_lo, 0, v1
	v_mov_b32_e32 v1, 0
	s_or_not1_b32 s7, vcc_lo, exec_lo
.LBB0_823:                              ;   in Loop: Header=BB0_821 Depth=2
	s_wait_xcnt 0x0
	s_or_b32 exec_lo, exec_lo, s12
	s_and_saveexec_b32 s12, s7
	s_cbranch_execz .LBB0_825
; %bb.824:                              ;   in Loop: Header=BB0_821 Depth=2
	s_wait_loadcnt 0x0
	v_cmp_eq_u32_e32 vcc_lo, s4, v7
	v_cmp_eq_u32_e64 s0, s4, v9
	s_and_b32 s0, vcc_lo, s0
	s_delay_alu instid0(SALU_CYCLE_1)
	s_or_not1_b32 s0, s0, exec_lo
.LBB0_825:                              ;   in Loop: Header=BB0_821 Depth=2
	s_or_b32 exec_lo, exec_lo, s12
	s_delay_alu instid0(SALU_CYCLE_1) | instskip(NEXT) | instid1(SALU_CYCLE_1)
	s_and_b32 s0, exec_lo, s0
	s_or_b32 s6, s0, s6
	s_delay_alu instid0(SALU_CYCLE_1)
	s_and_not1_b32 exec_lo, exec_lo, s6
	s_cbranch_execnz .LBB0_821
; %bb.826:                              ;   in Loop: Header=BB0_821 Depth=2
	s_or_b32 exec_lo, exec_lo, s6
	s_wait_loadcnt 0x0
	v_dual_mov_b32 v7, v8 :: v_dual_mov_b32 v1, 0
	s_mov_b32 s6, 0
	s_delay_alu instid0(VALU_DEP_1) | instskip(SKIP_1) | instid1(SALU_CYCLE_1)
	v_cmp_eq_u64_e32 vcc_lo, s[4:5], v[6:7]
	s_or_b32 s1, vcc_lo, s1
	s_and_not1_b32 exec_lo, exec_lo, s1
	s_cbranch_execnz .LBB0_821
; %bb.827:                              ;   in Loop: Header=BB0_1 Depth=1
	s_or_b32 exec_lo, exec_lo, s1
	s_add_co_i32 s4, s2, 0x76
	s_mov_b32 s1, s3
	s_bfe_u32 s0, s4, 0x100003
	v_dual_mov_b32 v2, s4 :: v_dual_mov_b32 v3, s4
	s_mulk_i32 s0, 0x20c5
	v_dual_mov_b32 v5, s4 :: v_dual_mov_b32 v1, 0
	s_lshr_b32 s0, s0, 20
	s_mov_b32 s5, s3
	s_mulk_i32 s0, 0x3e8
	s_delay_alu instid0(SALU_CYCLE_1) | instskip(NEXT) | instid1(SALU_CYCLE_1)
	s_sub_co_i32 s0, s4, s0
	s_and_b32 s0, s0, 0xffff
	s_delay_alu instid0(SALU_CYCLE_1) | instskip(NEXT) | instid1(SALU_CYCLE_1)
	s_lshl_b32 s0, s0, 12
	v_add_nc_u64_e32 v[6:7], s[0:1], v[10:11]
	v_add_nc_u64_e32 v[14:15], s[0:1], v[12:13]
	s_mov_b32 s1, 0
	global_store_b128 v[6:7], v[2:5], off th:TH_STORE_NT
.LBB0_828:                              ;   Parent Loop BB0_1 Depth=1
                                        ; =>  This Inner Loop Header: Depth=2
	s_wait_loadcnt 0x0
	global_load_b128 v[6:9], v[14:15], off th:TH_LOAD_NT
	v_add_nc_u32_e32 v1, 1, v1
	s_mov_b32 s0, -1
	s_mov_b32 s7, -1
	s_mov_b32 s12, exec_lo
	s_wait_xcnt 0x0
	v_cmpx_eq_u32_e32 0xf4240, v1
	s_cbranch_execz .LBB0_830
; %bb.829:                              ;   in Loop: Header=BB0_828 Depth=2
	s_wait_loadcnt 0x0
	s_wait_storecnt 0x0
	global_load_b32 v1, v4, s[10:11] scope:SCOPE_SYS
	s_wait_loadcnt 0x0
	global_inv scope:SCOPE_SYS
	v_cmp_eq_u32_e32 vcc_lo, 0, v1
	v_mov_b32_e32 v1, 0
	s_or_not1_b32 s7, vcc_lo, exec_lo
.LBB0_830:                              ;   in Loop: Header=BB0_828 Depth=2
	s_wait_xcnt 0x0
	s_or_b32 exec_lo, exec_lo, s12
	s_and_saveexec_b32 s12, s7
	s_cbranch_execz .LBB0_832
; %bb.831:                              ;   in Loop: Header=BB0_828 Depth=2
	s_wait_loadcnt 0x0
	v_cmp_eq_u32_e32 vcc_lo, s4, v7
	v_cmp_eq_u32_e64 s0, s4, v9
	s_and_b32 s0, vcc_lo, s0
	s_delay_alu instid0(SALU_CYCLE_1)
	s_or_not1_b32 s0, s0, exec_lo
.LBB0_832:                              ;   in Loop: Header=BB0_828 Depth=2
	s_or_b32 exec_lo, exec_lo, s12
	s_delay_alu instid0(SALU_CYCLE_1) | instskip(NEXT) | instid1(SALU_CYCLE_1)
	s_and_b32 s0, exec_lo, s0
	s_or_b32 s6, s0, s6
	s_delay_alu instid0(SALU_CYCLE_1)
	s_and_not1_b32 exec_lo, exec_lo, s6
	s_cbranch_execnz .LBB0_828
; %bb.833:                              ;   in Loop: Header=BB0_828 Depth=2
	s_or_b32 exec_lo, exec_lo, s6
	s_wait_loadcnt 0x0
	v_dual_mov_b32 v7, v8 :: v_dual_mov_b32 v1, 0
	s_mov_b32 s6, 0
	s_delay_alu instid0(VALU_DEP_1) | instskip(SKIP_1) | instid1(SALU_CYCLE_1)
	v_cmp_eq_u64_e32 vcc_lo, s[4:5], v[6:7]
	s_or_b32 s1, vcc_lo, s1
	s_and_not1_b32 exec_lo, exec_lo, s1
	s_cbranch_execnz .LBB0_828
; %bb.834:                              ;   in Loop: Header=BB0_1 Depth=1
	s_or_b32 exec_lo, exec_lo, s1
	s_add_co_i32 s4, s2, 0x77
	s_mov_b32 s1, s3
	s_bfe_u32 s0, s4, 0x100003
	v_dual_mov_b32 v2, s4 :: v_dual_mov_b32 v3, s4
	s_mulk_i32 s0, 0x20c5
	v_dual_mov_b32 v5, s4 :: v_dual_mov_b32 v1, 0
	s_lshr_b32 s0, s0, 20
	s_mov_b32 s5, s3
	s_mulk_i32 s0, 0x3e8
	s_delay_alu instid0(SALU_CYCLE_1) | instskip(NEXT) | instid1(SALU_CYCLE_1)
	s_sub_co_i32 s0, s4, s0
	s_and_b32 s0, s0, 0xffff
	s_delay_alu instid0(SALU_CYCLE_1) | instskip(NEXT) | instid1(SALU_CYCLE_1)
	s_lshl_b32 s0, s0, 12
	v_add_nc_u64_e32 v[6:7], s[0:1], v[10:11]
	v_add_nc_u64_e32 v[14:15], s[0:1], v[12:13]
	s_mov_b32 s1, 0
	global_store_b128 v[6:7], v[2:5], off th:TH_STORE_NT
.LBB0_835:                              ;   Parent Loop BB0_1 Depth=1
                                        ; =>  This Inner Loop Header: Depth=2
	s_wait_loadcnt 0x0
	global_load_b128 v[6:9], v[14:15], off th:TH_LOAD_NT
	v_add_nc_u32_e32 v1, 1, v1
	s_mov_b32 s0, -1
	s_mov_b32 s7, -1
	s_mov_b32 s12, exec_lo
	s_wait_xcnt 0x0
	v_cmpx_eq_u32_e32 0xf4240, v1
	s_cbranch_execz .LBB0_837
; %bb.836:                              ;   in Loop: Header=BB0_835 Depth=2
	s_wait_loadcnt 0x0
	s_wait_storecnt 0x0
	global_load_b32 v1, v4, s[10:11] scope:SCOPE_SYS
	s_wait_loadcnt 0x0
	global_inv scope:SCOPE_SYS
	v_cmp_eq_u32_e32 vcc_lo, 0, v1
	v_mov_b32_e32 v1, 0
	s_or_not1_b32 s7, vcc_lo, exec_lo
.LBB0_837:                              ;   in Loop: Header=BB0_835 Depth=2
	s_wait_xcnt 0x0
	s_or_b32 exec_lo, exec_lo, s12
	s_and_saveexec_b32 s12, s7
	s_cbranch_execz .LBB0_839
; %bb.838:                              ;   in Loop: Header=BB0_835 Depth=2
	s_wait_loadcnt 0x0
	v_cmp_eq_u32_e32 vcc_lo, s4, v7
	v_cmp_eq_u32_e64 s0, s4, v9
	s_and_b32 s0, vcc_lo, s0
	s_delay_alu instid0(SALU_CYCLE_1)
	s_or_not1_b32 s0, s0, exec_lo
.LBB0_839:                              ;   in Loop: Header=BB0_835 Depth=2
	s_or_b32 exec_lo, exec_lo, s12
	s_delay_alu instid0(SALU_CYCLE_1) | instskip(NEXT) | instid1(SALU_CYCLE_1)
	s_and_b32 s0, exec_lo, s0
	s_or_b32 s6, s0, s6
	s_delay_alu instid0(SALU_CYCLE_1)
	s_and_not1_b32 exec_lo, exec_lo, s6
	s_cbranch_execnz .LBB0_835
; %bb.840:                              ;   in Loop: Header=BB0_835 Depth=2
	s_or_b32 exec_lo, exec_lo, s6
	s_wait_loadcnt 0x0
	v_dual_mov_b32 v7, v8 :: v_dual_mov_b32 v1, 0
	s_mov_b32 s6, 0
	s_delay_alu instid0(VALU_DEP_1) | instskip(SKIP_1) | instid1(SALU_CYCLE_1)
	v_cmp_eq_u64_e32 vcc_lo, s[4:5], v[6:7]
	s_or_b32 s1, vcc_lo, s1
	s_and_not1_b32 exec_lo, exec_lo, s1
	s_cbranch_execnz .LBB0_835
; %bb.841:                              ;   in Loop: Header=BB0_1 Depth=1
	s_or_b32 exec_lo, exec_lo, s1
	s_add_co_i32 s4, s2, 0x78
	s_mov_b32 s1, s3
	s_bfe_u32 s0, s4, 0x100003
	v_dual_mov_b32 v2, s4 :: v_dual_mov_b32 v3, s4
	s_mulk_i32 s0, 0x20c5
	v_dual_mov_b32 v5, s4 :: v_dual_mov_b32 v1, 0
	s_lshr_b32 s0, s0, 20
	s_mov_b32 s5, s3
	s_mulk_i32 s0, 0x3e8
	s_delay_alu instid0(SALU_CYCLE_1) | instskip(NEXT) | instid1(SALU_CYCLE_1)
	s_sub_co_i32 s0, s4, s0
	s_and_b32 s0, s0, 0xffff
	s_delay_alu instid0(SALU_CYCLE_1) | instskip(NEXT) | instid1(SALU_CYCLE_1)
	s_lshl_b32 s0, s0, 12
	v_add_nc_u64_e32 v[6:7], s[0:1], v[10:11]
	v_add_nc_u64_e32 v[14:15], s[0:1], v[12:13]
	s_mov_b32 s1, 0
	global_store_b128 v[6:7], v[2:5], off th:TH_STORE_NT
.LBB0_842:                              ;   Parent Loop BB0_1 Depth=1
                                        ; =>  This Inner Loop Header: Depth=2
	s_wait_loadcnt 0x0
	global_load_b128 v[6:9], v[14:15], off th:TH_LOAD_NT
	v_add_nc_u32_e32 v1, 1, v1
	s_mov_b32 s0, -1
	s_mov_b32 s7, -1
	s_mov_b32 s12, exec_lo
	s_wait_xcnt 0x0
	v_cmpx_eq_u32_e32 0xf4240, v1
	s_cbranch_execz .LBB0_844
; %bb.843:                              ;   in Loop: Header=BB0_842 Depth=2
	s_wait_loadcnt 0x0
	s_wait_storecnt 0x0
	global_load_b32 v1, v4, s[10:11] scope:SCOPE_SYS
	s_wait_loadcnt 0x0
	global_inv scope:SCOPE_SYS
	v_cmp_eq_u32_e32 vcc_lo, 0, v1
	v_mov_b32_e32 v1, 0
	s_or_not1_b32 s7, vcc_lo, exec_lo
.LBB0_844:                              ;   in Loop: Header=BB0_842 Depth=2
	s_wait_xcnt 0x0
	s_or_b32 exec_lo, exec_lo, s12
	s_and_saveexec_b32 s12, s7
	s_cbranch_execz .LBB0_846
; %bb.845:                              ;   in Loop: Header=BB0_842 Depth=2
	s_wait_loadcnt 0x0
	v_cmp_eq_u32_e32 vcc_lo, s4, v7
	v_cmp_eq_u32_e64 s0, s4, v9
	s_and_b32 s0, vcc_lo, s0
	s_delay_alu instid0(SALU_CYCLE_1)
	s_or_not1_b32 s0, s0, exec_lo
.LBB0_846:                              ;   in Loop: Header=BB0_842 Depth=2
	s_or_b32 exec_lo, exec_lo, s12
	s_delay_alu instid0(SALU_CYCLE_1) | instskip(NEXT) | instid1(SALU_CYCLE_1)
	s_and_b32 s0, exec_lo, s0
	s_or_b32 s6, s0, s6
	s_delay_alu instid0(SALU_CYCLE_1)
	s_and_not1_b32 exec_lo, exec_lo, s6
	s_cbranch_execnz .LBB0_842
; %bb.847:                              ;   in Loop: Header=BB0_842 Depth=2
	s_or_b32 exec_lo, exec_lo, s6
	s_wait_loadcnt 0x0
	v_dual_mov_b32 v7, v8 :: v_dual_mov_b32 v1, 0
	s_mov_b32 s6, 0
	s_delay_alu instid0(VALU_DEP_1) | instskip(SKIP_1) | instid1(SALU_CYCLE_1)
	v_cmp_eq_u64_e32 vcc_lo, s[4:5], v[6:7]
	s_or_b32 s1, vcc_lo, s1
	s_and_not1_b32 exec_lo, exec_lo, s1
	s_cbranch_execnz .LBB0_842
; %bb.848:                              ;   in Loop: Header=BB0_1 Depth=1
	s_or_b32 exec_lo, exec_lo, s1
	s_add_co_i32 s4, s2, 0x79
	s_mov_b32 s1, s3
	s_bfe_u32 s0, s4, 0x100003
	v_dual_mov_b32 v2, s4 :: v_dual_mov_b32 v3, s4
	s_mulk_i32 s0, 0x20c5
	v_dual_mov_b32 v5, s4 :: v_dual_mov_b32 v1, 0
	s_lshr_b32 s0, s0, 20
	s_mov_b32 s5, s3
	s_mulk_i32 s0, 0x3e8
	s_delay_alu instid0(SALU_CYCLE_1) | instskip(NEXT) | instid1(SALU_CYCLE_1)
	s_sub_co_i32 s0, s4, s0
	s_and_b32 s0, s0, 0xffff
	s_delay_alu instid0(SALU_CYCLE_1) | instskip(NEXT) | instid1(SALU_CYCLE_1)
	s_lshl_b32 s0, s0, 12
	v_add_nc_u64_e32 v[6:7], s[0:1], v[10:11]
	v_add_nc_u64_e32 v[14:15], s[0:1], v[12:13]
	s_mov_b32 s1, 0
	global_store_b128 v[6:7], v[2:5], off th:TH_STORE_NT
.LBB0_849:                              ;   Parent Loop BB0_1 Depth=1
                                        ; =>  This Inner Loop Header: Depth=2
	s_wait_loadcnt 0x0
	global_load_b128 v[6:9], v[14:15], off th:TH_LOAD_NT
	v_add_nc_u32_e32 v1, 1, v1
	s_mov_b32 s0, -1
	s_mov_b32 s7, -1
	s_mov_b32 s12, exec_lo
	s_wait_xcnt 0x0
	v_cmpx_eq_u32_e32 0xf4240, v1
	s_cbranch_execz .LBB0_851
; %bb.850:                              ;   in Loop: Header=BB0_849 Depth=2
	s_wait_loadcnt 0x0
	s_wait_storecnt 0x0
	global_load_b32 v1, v4, s[10:11] scope:SCOPE_SYS
	s_wait_loadcnt 0x0
	global_inv scope:SCOPE_SYS
	v_cmp_eq_u32_e32 vcc_lo, 0, v1
	v_mov_b32_e32 v1, 0
	s_or_not1_b32 s7, vcc_lo, exec_lo
.LBB0_851:                              ;   in Loop: Header=BB0_849 Depth=2
	s_wait_xcnt 0x0
	s_or_b32 exec_lo, exec_lo, s12
	s_and_saveexec_b32 s12, s7
	s_cbranch_execz .LBB0_853
; %bb.852:                              ;   in Loop: Header=BB0_849 Depth=2
	s_wait_loadcnt 0x0
	v_cmp_eq_u32_e32 vcc_lo, s4, v7
	v_cmp_eq_u32_e64 s0, s4, v9
	s_and_b32 s0, vcc_lo, s0
	s_delay_alu instid0(SALU_CYCLE_1)
	s_or_not1_b32 s0, s0, exec_lo
.LBB0_853:                              ;   in Loop: Header=BB0_849 Depth=2
	s_or_b32 exec_lo, exec_lo, s12
	s_delay_alu instid0(SALU_CYCLE_1) | instskip(NEXT) | instid1(SALU_CYCLE_1)
	s_and_b32 s0, exec_lo, s0
	s_or_b32 s6, s0, s6
	s_delay_alu instid0(SALU_CYCLE_1)
	s_and_not1_b32 exec_lo, exec_lo, s6
	s_cbranch_execnz .LBB0_849
; %bb.854:                              ;   in Loop: Header=BB0_849 Depth=2
	s_or_b32 exec_lo, exec_lo, s6
	s_wait_loadcnt 0x0
	v_dual_mov_b32 v7, v8 :: v_dual_mov_b32 v1, 0
	s_mov_b32 s6, 0
	s_delay_alu instid0(VALU_DEP_1) | instskip(SKIP_1) | instid1(SALU_CYCLE_1)
	v_cmp_eq_u64_e32 vcc_lo, s[4:5], v[6:7]
	s_or_b32 s1, vcc_lo, s1
	s_and_not1_b32 exec_lo, exec_lo, s1
	s_cbranch_execnz .LBB0_849
; %bb.855:                              ;   in Loop: Header=BB0_1 Depth=1
	s_or_b32 exec_lo, exec_lo, s1
	s_add_co_i32 s4, s2, 0x7a
	s_mov_b32 s1, s3
	s_bfe_u32 s0, s4, 0x100003
	v_dual_mov_b32 v2, s4 :: v_dual_mov_b32 v3, s4
	s_mulk_i32 s0, 0x20c5
	v_dual_mov_b32 v5, s4 :: v_dual_mov_b32 v1, 0
	s_lshr_b32 s0, s0, 20
	s_mov_b32 s5, s3
	s_mulk_i32 s0, 0x3e8
	s_delay_alu instid0(SALU_CYCLE_1) | instskip(NEXT) | instid1(SALU_CYCLE_1)
	s_sub_co_i32 s0, s4, s0
	s_and_b32 s0, s0, 0xffff
	s_delay_alu instid0(SALU_CYCLE_1) | instskip(NEXT) | instid1(SALU_CYCLE_1)
	s_lshl_b32 s0, s0, 12
	v_add_nc_u64_e32 v[6:7], s[0:1], v[10:11]
	v_add_nc_u64_e32 v[14:15], s[0:1], v[12:13]
	s_mov_b32 s1, 0
	global_store_b128 v[6:7], v[2:5], off th:TH_STORE_NT
.LBB0_856:                              ;   Parent Loop BB0_1 Depth=1
                                        ; =>  This Inner Loop Header: Depth=2
	s_wait_loadcnt 0x0
	global_load_b128 v[6:9], v[14:15], off th:TH_LOAD_NT
	v_add_nc_u32_e32 v1, 1, v1
	s_mov_b32 s0, -1
	s_mov_b32 s7, -1
	s_mov_b32 s12, exec_lo
	s_wait_xcnt 0x0
	v_cmpx_eq_u32_e32 0xf4240, v1
	s_cbranch_execz .LBB0_858
; %bb.857:                              ;   in Loop: Header=BB0_856 Depth=2
	s_wait_loadcnt 0x0
	s_wait_storecnt 0x0
	global_load_b32 v1, v4, s[10:11] scope:SCOPE_SYS
	s_wait_loadcnt 0x0
	global_inv scope:SCOPE_SYS
	v_cmp_eq_u32_e32 vcc_lo, 0, v1
	v_mov_b32_e32 v1, 0
	s_or_not1_b32 s7, vcc_lo, exec_lo
.LBB0_858:                              ;   in Loop: Header=BB0_856 Depth=2
	s_wait_xcnt 0x0
	s_or_b32 exec_lo, exec_lo, s12
	s_and_saveexec_b32 s12, s7
	s_cbranch_execz .LBB0_860
; %bb.859:                              ;   in Loop: Header=BB0_856 Depth=2
	s_wait_loadcnt 0x0
	v_cmp_eq_u32_e32 vcc_lo, s4, v7
	v_cmp_eq_u32_e64 s0, s4, v9
	s_and_b32 s0, vcc_lo, s0
	s_delay_alu instid0(SALU_CYCLE_1)
	s_or_not1_b32 s0, s0, exec_lo
.LBB0_860:                              ;   in Loop: Header=BB0_856 Depth=2
	s_or_b32 exec_lo, exec_lo, s12
	s_delay_alu instid0(SALU_CYCLE_1) | instskip(NEXT) | instid1(SALU_CYCLE_1)
	s_and_b32 s0, exec_lo, s0
	s_or_b32 s6, s0, s6
	s_delay_alu instid0(SALU_CYCLE_1)
	s_and_not1_b32 exec_lo, exec_lo, s6
	s_cbranch_execnz .LBB0_856
; %bb.861:                              ;   in Loop: Header=BB0_856 Depth=2
	s_or_b32 exec_lo, exec_lo, s6
	s_wait_loadcnt 0x0
	v_dual_mov_b32 v7, v8 :: v_dual_mov_b32 v1, 0
	s_mov_b32 s6, 0
	s_delay_alu instid0(VALU_DEP_1) | instskip(SKIP_1) | instid1(SALU_CYCLE_1)
	v_cmp_eq_u64_e32 vcc_lo, s[4:5], v[6:7]
	s_or_b32 s1, vcc_lo, s1
	s_and_not1_b32 exec_lo, exec_lo, s1
	s_cbranch_execnz .LBB0_856
; %bb.862:                              ;   in Loop: Header=BB0_1 Depth=1
	s_or_b32 exec_lo, exec_lo, s1
	s_add_co_i32 s4, s2, 0x7b
	s_mov_b32 s1, s3
	s_bfe_u32 s0, s4, 0x100003
	v_dual_mov_b32 v2, s4 :: v_dual_mov_b32 v3, s4
	s_mulk_i32 s0, 0x20c5
	v_dual_mov_b32 v5, s4 :: v_dual_mov_b32 v1, 0
	s_lshr_b32 s0, s0, 20
	s_mov_b32 s5, s3
	s_mulk_i32 s0, 0x3e8
	s_delay_alu instid0(SALU_CYCLE_1) | instskip(NEXT) | instid1(SALU_CYCLE_1)
	s_sub_co_i32 s0, s4, s0
	s_and_b32 s0, s0, 0xffff
	s_delay_alu instid0(SALU_CYCLE_1) | instskip(NEXT) | instid1(SALU_CYCLE_1)
	s_lshl_b32 s0, s0, 12
	v_add_nc_u64_e32 v[6:7], s[0:1], v[10:11]
	v_add_nc_u64_e32 v[14:15], s[0:1], v[12:13]
	s_mov_b32 s1, 0
	global_store_b128 v[6:7], v[2:5], off th:TH_STORE_NT
.LBB0_863:                              ;   Parent Loop BB0_1 Depth=1
                                        ; =>  This Inner Loop Header: Depth=2
	s_wait_loadcnt 0x0
	global_load_b128 v[6:9], v[14:15], off th:TH_LOAD_NT
	v_add_nc_u32_e32 v1, 1, v1
	s_mov_b32 s0, -1
	s_mov_b32 s7, -1
	s_mov_b32 s12, exec_lo
	s_wait_xcnt 0x0
	v_cmpx_eq_u32_e32 0xf4240, v1
	s_cbranch_execz .LBB0_865
; %bb.864:                              ;   in Loop: Header=BB0_863 Depth=2
	s_wait_loadcnt 0x0
	s_wait_storecnt 0x0
	global_load_b32 v1, v4, s[10:11] scope:SCOPE_SYS
	s_wait_loadcnt 0x0
	global_inv scope:SCOPE_SYS
	v_cmp_eq_u32_e32 vcc_lo, 0, v1
	v_mov_b32_e32 v1, 0
	s_or_not1_b32 s7, vcc_lo, exec_lo
.LBB0_865:                              ;   in Loop: Header=BB0_863 Depth=2
	s_wait_xcnt 0x0
	s_or_b32 exec_lo, exec_lo, s12
	s_and_saveexec_b32 s12, s7
	s_cbranch_execz .LBB0_867
; %bb.866:                              ;   in Loop: Header=BB0_863 Depth=2
	s_wait_loadcnt 0x0
	v_cmp_eq_u32_e32 vcc_lo, s4, v7
	v_cmp_eq_u32_e64 s0, s4, v9
	s_and_b32 s0, vcc_lo, s0
	s_delay_alu instid0(SALU_CYCLE_1)
	s_or_not1_b32 s0, s0, exec_lo
.LBB0_867:                              ;   in Loop: Header=BB0_863 Depth=2
	s_or_b32 exec_lo, exec_lo, s12
	s_delay_alu instid0(SALU_CYCLE_1) | instskip(NEXT) | instid1(SALU_CYCLE_1)
	s_and_b32 s0, exec_lo, s0
	s_or_b32 s6, s0, s6
	s_delay_alu instid0(SALU_CYCLE_1)
	s_and_not1_b32 exec_lo, exec_lo, s6
	s_cbranch_execnz .LBB0_863
; %bb.868:                              ;   in Loop: Header=BB0_863 Depth=2
	s_or_b32 exec_lo, exec_lo, s6
	s_wait_loadcnt 0x0
	v_dual_mov_b32 v7, v8 :: v_dual_mov_b32 v1, 0
	s_mov_b32 s6, 0
	s_delay_alu instid0(VALU_DEP_1) | instskip(SKIP_1) | instid1(SALU_CYCLE_1)
	v_cmp_eq_u64_e32 vcc_lo, s[4:5], v[6:7]
	s_or_b32 s1, vcc_lo, s1
	s_and_not1_b32 exec_lo, exec_lo, s1
	s_cbranch_execnz .LBB0_863
; %bb.869:                              ;   in Loop: Header=BB0_1 Depth=1
	s_or_b32 exec_lo, exec_lo, s1
	s_add_co_i32 s4, s2, 0x7c
	s_mov_b32 s1, s3
	s_bfe_u32 s0, s4, 0x100003
	v_dual_mov_b32 v2, s4 :: v_dual_mov_b32 v3, s4
	s_mulk_i32 s0, 0x20c5
	v_dual_mov_b32 v5, s4 :: v_dual_mov_b32 v1, 0
	s_lshr_b32 s0, s0, 20
	s_mov_b32 s5, s3
	s_mulk_i32 s0, 0x3e8
	s_delay_alu instid0(SALU_CYCLE_1) | instskip(NEXT) | instid1(SALU_CYCLE_1)
	s_sub_co_i32 s0, s4, s0
	s_and_b32 s0, s0, 0xffff
	s_delay_alu instid0(SALU_CYCLE_1) | instskip(NEXT) | instid1(SALU_CYCLE_1)
	s_lshl_b32 s0, s0, 12
	v_add_nc_u64_e32 v[6:7], s[0:1], v[10:11]
	v_add_nc_u64_e32 v[14:15], s[0:1], v[12:13]
	s_mov_b32 s1, 0
	global_store_b128 v[6:7], v[2:5], off th:TH_STORE_NT
.LBB0_870:                              ;   Parent Loop BB0_1 Depth=1
                                        ; =>  This Inner Loop Header: Depth=2
	s_wait_loadcnt 0x0
	global_load_b128 v[6:9], v[14:15], off th:TH_LOAD_NT
	v_add_nc_u32_e32 v1, 1, v1
	s_mov_b32 s0, -1
	s_mov_b32 s7, -1
	s_mov_b32 s12, exec_lo
	s_wait_xcnt 0x0
	v_cmpx_eq_u32_e32 0xf4240, v1
	s_cbranch_execz .LBB0_872
; %bb.871:                              ;   in Loop: Header=BB0_870 Depth=2
	s_wait_loadcnt 0x0
	s_wait_storecnt 0x0
	global_load_b32 v1, v4, s[10:11] scope:SCOPE_SYS
	s_wait_loadcnt 0x0
	global_inv scope:SCOPE_SYS
	v_cmp_eq_u32_e32 vcc_lo, 0, v1
	v_mov_b32_e32 v1, 0
	s_or_not1_b32 s7, vcc_lo, exec_lo
.LBB0_872:                              ;   in Loop: Header=BB0_870 Depth=2
	s_wait_xcnt 0x0
	s_or_b32 exec_lo, exec_lo, s12
	s_and_saveexec_b32 s12, s7
	s_cbranch_execz .LBB0_874
; %bb.873:                              ;   in Loop: Header=BB0_870 Depth=2
	s_wait_loadcnt 0x0
	v_cmp_eq_u32_e32 vcc_lo, s4, v7
	v_cmp_eq_u32_e64 s0, s4, v9
	s_and_b32 s0, vcc_lo, s0
	s_delay_alu instid0(SALU_CYCLE_1)
	s_or_not1_b32 s0, s0, exec_lo
.LBB0_874:                              ;   in Loop: Header=BB0_870 Depth=2
	s_or_b32 exec_lo, exec_lo, s12
	s_delay_alu instid0(SALU_CYCLE_1) | instskip(NEXT) | instid1(SALU_CYCLE_1)
	s_and_b32 s0, exec_lo, s0
	s_or_b32 s6, s0, s6
	s_delay_alu instid0(SALU_CYCLE_1)
	s_and_not1_b32 exec_lo, exec_lo, s6
	s_cbranch_execnz .LBB0_870
; %bb.875:                              ;   in Loop: Header=BB0_870 Depth=2
	s_or_b32 exec_lo, exec_lo, s6
	s_wait_loadcnt 0x0
	v_dual_mov_b32 v7, v8 :: v_dual_mov_b32 v1, 0
	s_mov_b32 s6, 0
	s_delay_alu instid0(VALU_DEP_1) | instskip(SKIP_1) | instid1(SALU_CYCLE_1)
	v_cmp_eq_u64_e32 vcc_lo, s[4:5], v[6:7]
	s_or_b32 s1, vcc_lo, s1
	s_and_not1_b32 exec_lo, exec_lo, s1
	s_cbranch_execnz .LBB0_870
; %bb.876:                              ;   in Loop: Header=BB0_1 Depth=1
	s_or_b32 exec_lo, exec_lo, s1
	s_add_co_i32 s4, s2, 0x7d
	s_mov_b32 s1, s3
	s_bfe_u32 s0, s4, 0x100003
	v_dual_mov_b32 v2, s4 :: v_dual_mov_b32 v3, s4
	s_mulk_i32 s0, 0x20c5
	v_dual_mov_b32 v5, s4 :: v_dual_mov_b32 v1, 0
	s_lshr_b32 s0, s0, 20
	s_mov_b32 s5, s3
	s_mulk_i32 s0, 0x3e8
	s_delay_alu instid0(SALU_CYCLE_1) | instskip(NEXT) | instid1(SALU_CYCLE_1)
	s_sub_co_i32 s0, s4, s0
	s_and_b32 s0, s0, 0xffff
	s_delay_alu instid0(SALU_CYCLE_1) | instskip(NEXT) | instid1(SALU_CYCLE_1)
	s_lshl_b32 s0, s0, 12
	v_add_nc_u64_e32 v[6:7], s[0:1], v[10:11]
	v_add_nc_u64_e32 v[14:15], s[0:1], v[12:13]
	s_mov_b32 s1, 0
	global_store_b128 v[6:7], v[2:5], off th:TH_STORE_NT
.LBB0_877:                              ;   Parent Loop BB0_1 Depth=1
                                        ; =>  This Inner Loop Header: Depth=2
	s_wait_loadcnt 0x0
	global_load_b128 v[6:9], v[14:15], off th:TH_LOAD_NT
	v_add_nc_u32_e32 v1, 1, v1
	s_mov_b32 s0, -1
	s_mov_b32 s7, -1
	s_mov_b32 s12, exec_lo
	s_wait_xcnt 0x0
	v_cmpx_eq_u32_e32 0xf4240, v1
	s_cbranch_execz .LBB0_879
; %bb.878:                              ;   in Loop: Header=BB0_877 Depth=2
	s_wait_loadcnt 0x0
	s_wait_storecnt 0x0
	global_load_b32 v1, v4, s[10:11] scope:SCOPE_SYS
	s_wait_loadcnt 0x0
	global_inv scope:SCOPE_SYS
	v_cmp_eq_u32_e32 vcc_lo, 0, v1
	v_mov_b32_e32 v1, 0
	s_or_not1_b32 s7, vcc_lo, exec_lo
.LBB0_879:                              ;   in Loop: Header=BB0_877 Depth=2
	s_wait_xcnt 0x0
	s_or_b32 exec_lo, exec_lo, s12
	s_and_saveexec_b32 s12, s7
	s_cbranch_execz .LBB0_881
; %bb.880:                              ;   in Loop: Header=BB0_877 Depth=2
	s_wait_loadcnt 0x0
	v_cmp_eq_u32_e32 vcc_lo, s4, v7
	v_cmp_eq_u32_e64 s0, s4, v9
	s_and_b32 s0, vcc_lo, s0
	s_delay_alu instid0(SALU_CYCLE_1)
	s_or_not1_b32 s0, s0, exec_lo
.LBB0_881:                              ;   in Loop: Header=BB0_877 Depth=2
	s_or_b32 exec_lo, exec_lo, s12
	s_delay_alu instid0(SALU_CYCLE_1) | instskip(NEXT) | instid1(SALU_CYCLE_1)
	s_and_b32 s0, exec_lo, s0
	s_or_b32 s6, s0, s6
	s_delay_alu instid0(SALU_CYCLE_1)
	s_and_not1_b32 exec_lo, exec_lo, s6
	s_cbranch_execnz .LBB0_877
; %bb.882:                              ;   in Loop: Header=BB0_877 Depth=2
	s_or_b32 exec_lo, exec_lo, s6
	s_wait_loadcnt 0x0
	v_dual_mov_b32 v7, v8 :: v_dual_mov_b32 v1, 0
	s_mov_b32 s6, 0
	s_delay_alu instid0(VALU_DEP_1) | instskip(SKIP_1) | instid1(SALU_CYCLE_1)
	v_cmp_eq_u64_e32 vcc_lo, s[4:5], v[6:7]
	s_or_b32 s1, vcc_lo, s1
	s_and_not1_b32 exec_lo, exec_lo, s1
	s_cbranch_execnz .LBB0_877
; %bb.883:                              ;   in Loop: Header=BB0_1 Depth=1
	s_or_b32 exec_lo, exec_lo, s1
	s_add_co_i32 s4, s2, 0x7e
	s_mov_b32 s1, s3
	s_bfe_u32 s0, s4, 0x100003
	v_dual_mov_b32 v2, s4 :: v_dual_mov_b32 v3, s4
	s_mulk_i32 s0, 0x20c5
	v_dual_mov_b32 v5, s4 :: v_dual_mov_b32 v1, 0
	s_lshr_b32 s0, s0, 20
	s_mov_b32 s5, s3
	s_mulk_i32 s0, 0x3e8
	s_delay_alu instid0(SALU_CYCLE_1) | instskip(NEXT) | instid1(SALU_CYCLE_1)
	s_sub_co_i32 s0, s4, s0
	s_and_b32 s0, s0, 0xffff
	s_delay_alu instid0(SALU_CYCLE_1) | instskip(NEXT) | instid1(SALU_CYCLE_1)
	s_lshl_b32 s0, s0, 12
	v_add_nc_u64_e32 v[6:7], s[0:1], v[10:11]
	v_add_nc_u64_e32 v[14:15], s[0:1], v[12:13]
	s_mov_b32 s1, 0
	global_store_b128 v[6:7], v[2:5], off th:TH_STORE_NT
.LBB0_884:                              ;   Parent Loop BB0_1 Depth=1
                                        ; =>  This Inner Loop Header: Depth=2
	s_wait_loadcnt 0x0
	global_load_b128 v[6:9], v[14:15], off th:TH_LOAD_NT
	v_add_nc_u32_e32 v1, 1, v1
	s_mov_b32 s0, -1
	s_mov_b32 s7, -1
	s_mov_b32 s12, exec_lo
	s_wait_xcnt 0x0
	v_cmpx_eq_u32_e32 0xf4240, v1
	s_cbranch_execz .LBB0_886
; %bb.885:                              ;   in Loop: Header=BB0_884 Depth=2
	s_wait_loadcnt 0x0
	s_wait_storecnt 0x0
	global_load_b32 v1, v4, s[10:11] scope:SCOPE_SYS
	s_wait_loadcnt 0x0
	global_inv scope:SCOPE_SYS
	v_cmp_eq_u32_e32 vcc_lo, 0, v1
	v_mov_b32_e32 v1, 0
	s_or_not1_b32 s7, vcc_lo, exec_lo
.LBB0_886:                              ;   in Loop: Header=BB0_884 Depth=2
	s_wait_xcnt 0x0
	s_or_b32 exec_lo, exec_lo, s12
	s_and_saveexec_b32 s12, s7
	s_cbranch_execz .LBB0_888
; %bb.887:                              ;   in Loop: Header=BB0_884 Depth=2
	s_wait_loadcnt 0x0
	v_cmp_eq_u32_e32 vcc_lo, s4, v7
	v_cmp_eq_u32_e64 s0, s4, v9
	s_and_b32 s0, vcc_lo, s0
	s_delay_alu instid0(SALU_CYCLE_1)
	s_or_not1_b32 s0, s0, exec_lo
.LBB0_888:                              ;   in Loop: Header=BB0_884 Depth=2
	s_or_b32 exec_lo, exec_lo, s12
	s_delay_alu instid0(SALU_CYCLE_1) | instskip(NEXT) | instid1(SALU_CYCLE_1)
	s_and_b32 s0, exec_lo, s0
	s_or_b32 s6, s0, s6
	s_delay_alu instid0(SALU_CYCLE_1)
	s_and_not1_b32 exec_lo, exec_lo, s6
	s_cbranch_execnz .LBB0_884
; %bb.889:                              ;   in Loop: Header=BB0_884 Depth=2
	s_or_b32 exec_lo, exec_lo, s6
	s_wait_loadcnt 0x0
	v_dual_mov_b32 v7, v8 :: v_dual_mov_b32 v1, 0
	s_mov_b32 s6, 0
	s_delay_alu instid0(VALU_DEP_1) | instskip(SKIP_1) | instid1(SALU_CYCLE_1)
	v_cmp_eq_u64_e32 vcc_lo, s[4:5], v[6:7]
	s_or_b32 s1, vcc_lo, s1
	s_and_not1_b32 exec_lo, exec_lo, s1
	s_cbranch_execnz .LBB0_884
; %bb.890:                              ;   in Loop: Header=BB0_1 Depth=1
	s_or_b32 exec_lo, exec_lo, s1
	s_add_co_i32 s4, s2, 0x7f
	s_mov_b32 s1, s3
	s_bfe_u32 s0, s4, 0x100003
	v_dual_mov_b32 v2, s4 :: v_dual_mov_b32 v3, s4
	s_mulk_i32 s0, 0x20c5
	v_dual_mov_b32 v5, s4 :: v_dual_mov_b32 v1, 0
	s_lshr_b32 s0, s0, 20
	s_mov_b32 s5, s3
	s_mulk_i32 s0, 0x3e8
	s_delay_alu instid0(SALU_CYCLE_1) | instskip(NEXT) | instid1(SALU_CYCLE_1)
	s_sub_co_i32 s0, s4, s0
	s_and_b32 s0, s0, 0xffff
	s_delay_alu instid0(SALU_CYCLE_1) | instskip(NEXT) | instid1(SALU_CYCLE_1)
	s_lshl_b32 s0, s0, 12
	v_add_nc_u64_e32 v[6:7], s[0:1], v[10:11]
	v_add_nc_u64_e32 v[14:15], s[0:1], v[12:13]
	s_mov_b32 s1, 0
	global_store_b128 v[6:7], v[2:5], off th:TH_STORE_NT
.LBB0_891:                              ;   Parent Loop BB0_1 Depth=1
                                        ; =>  This Inner Loop Header: Depth=2
	s_wait_loadcnt 0x0
	global_load_b128 v[6:9], v[14:15], off th:TH_LOAD_NT
	v_add_nc_u32_e32 v1, 1, v1
	s_mov_b32 s0, -1
	s_mov_b32 s7, -1
	s_mov_b32 s12, exec_lo
	s_wait_xcnt 0x0
	v_cmpx_eq_u32_e32 0xf4240, v1
	s_cbranch_execz .LBB0_893
; %bb.892:                              ;   in Loop: Header=BB0_891 Depth=2
	s_wait_loadcnt 0x0
	s_wait_storecnt 0x0
	global_load_b32 v1, v4, s[10:11] scope:SCOPE_SYS
	s_wait_loadcnt 0x0
	global_inv scope:SCOPE_SYS
	v_cmp_eq_u32_e32 vcc_lo, 0, v1
	v_mov_b32_e32 v1, 0
	s_or_not1_b32 s7, vcc_lo, exec_lo
.LBB0_893:                              ;   in Loop: Header=BB0_891 Depth=2
	s_wait_xcnt 0x0
	s_or_b32 exec_lo, exec_lo, s12
	s_and_saveexec_b32 s12, s7
	s_cbranch_execz .LBB0_895
; %bb.894:                              ;   in Loop: Header=BB0_891 Depth=2
	s_wait_loadcnt 0x0
	v_cmp_eq_u32_e32 vcc_lo, s4, v7
	v_cmp_eq_u32_e64 s0, s4, v9
	s_and_b32 s0, vcc_lo, s0
	s_delay_alu instid0(SALU_CYCLE_1)
	s_or_not1_b32 s0, s0, exec_lo
.LBB0_895:                              ;   in Loop: Header=BB0_891 Depth=2
	s_or_b32 exec_lo, exec_lo, s12
	s_delay_alu instid0(SALU_CYCLE_1) | instskip(NEXT) | instid1(SALU_CYCLE_1)
	s_and_b32 s0, exec_lo, s0
	s_or_b32 s6, s0, s6
	s_delay_alu instid0(SALU_CYCLE_1)
	s_and_not1_b32 exec_lo, exec_lo, s6
	s_cbranch_execnz .LBB0_891
; %bb.896:                              ;   in Loop: Header=BB0_891 Depth=2
	s_or_b32 exec_lo, exec_lo, s6
	s_wait_loadcnt 0x0
	v_dual_mov_b32 v7, v8 :: v_dual_mov_b32 v1, 0
	s_mov_b32 s6, 0
	s_delay_alu instid0(VALU_DEP_1) | instskip(SKIP_1) | instid1(SALU_CYCLE_1)
	v_cmp_eq_u64_e32 vcc_lo, s[4:5], v[6:7]
	s_or_b32 s1, vcc_lo, s1
	s_and_not1_b32 exec_lo, exec_lo, s1
	s_cbranch_execnz .LBB0_891
; %bb.897:                              ;   in Loop: Header=BB0_1 Depth=1
	s_or_b32 exec_lo, exec_lo, s1
	s_add_co_i32 s4, s2, 0x80
	s_mov_b32 s1, s3
	s_bfe_u32 s0, s4, 0x100003
	v_dual_mov_b32 v2, s4 :: v_dual_mov_b32 v3, s4
	s_mulk_i32 s0, 0x20c5
	v_dual_mov_b32 v5, s4 :: v_dual_mov_b32 v1, 0
	s_lshr_b32 s0, s0, 20
	s_mov_b32 s5, s3
	s_mulk_i32 s0, 0x3e8
	s_delay_alu instid0(SALU_CYCLE_1) | instskip(NEXT) | instid1(SALU_CYCLE_1)
	s_sub_co_i32 s0, s4, s0
	s_and_b32 s0, s0, 0xffff
	s_delay_alu instid0(SALU_CYCLE_1) | instskip(NEXT) | instid1(SALU_CYCLE_1)
	s_lshl_b32 s0, s0, 12
	v_add_nc_u64_e32 v[6:7], s[0:1], v[10:11]
	v_add_nc_u64_e32 v[14:15], s[0:1], v[12:13]
	s_mov_b32 s1, 0
	global_store_b128 v[6:7], v[2:5], off th:TH_STORE_NT
.LBB0_898:                              ;   Parent Loop BB0_1 Depth=1
                                        ; =>  This Inner Loop Header: Depth=2
	s_wait_loadcnt 0x0
	global_load_b128 v[6:9], v[14:15], off th:TH_LOAD_NT
	v_add_nc_u32_e32 v1, 1, v1
	s_mov_b32 s0, -1
	s_mov_b32 s7, -1
	s_mov_b32 s12, exec_lo
	s_wait_xcnt 0x0
	v_cmpx_eq_u32_e32 0xf4240, v1
	s_cbranch_execz .LBB0_900
; %bb.899:                              ;   in Loop: Header=BB0_898 Depth=2
	s_wait_loadcnt 0x0
	s_wait_storecnt 0x0
	global_load_b32 v1, v4, s[10:11] scope:SCOPE_SYS
	s_wait_loadcnt 0x0
	global_inv scope:SCOPE_SYS
	v_cmp_eq_u32_e32 vcc_lo, 0, v1
	v_mov_b32_e32 v1, 0
	s_or_not1_b32 s7, vcc_lo, exec_lo
.LBB0_900:                              ;   in Loop: Header=BB0_898 Depth=2
	s_wait_xcnt 0x0
	s_or_b32 exec_lo, exec_lo, s12
	s_and_saveexec_b32 s12, s7
	s_cbranch_execz .LBB0_902
; %bb.901:                              ;   in Loop: Header=BB0_898 Depth=2
	s_wait_loadcnt 0x0
	v_cmp_eq_u32_e32 vcc_lo, s4, v7
	v_cmp_eq_u32_e64 s0, s4, v9
	s_and_b32 s0, vcc_lo, s0
	s_delay_alu instid0(SALU_CYCLE_1)
	s_or_not1_b32 s0, s0, exec_lo
.LBB0_902:                              ;   in Loop: Header=BB0_898 Depth=2
	s_or_b32 exec_lo, exec_lo, s12
	s_delay_alu instid0(SALU_CYCLE_1) | instskip(NEXT) | instid1(SALU_CYCLE_1)
	s_and_b32 s0, exec_lo, s0
	s_or_b32 s6, s0, s6
	s_delay_alu instid0(SALU_CYCLE_1)
	s_and_not1_b32 exec_lo, exec_lo, s6
	s_cbranch_execnz .LBB0_898
; %bb.903:                              ;   in Loop: Header=BB0_898 Depth=2
	s_or_b32 exec_lo, exec_lo, s6
	s_wait_loadcnt 0x0
	v_dual_mov_b32 v7, v8 :: v_dual_mov_b32 v1, 0
	s_mov_b32 s6, 0
	s_delay_alu instid0(VALU_DEP_1) | instskip(SKIP_1) | instid1(SALU_CYCLE_1)
	v_cmp_eq_u64_e32 vcc_lo, s[4:5], v[6:7]
	s_or_b32 s1, vcc_lo, s1
	s_and_not1_b32 exec_lo, exec_lo, s1
	s_cbranch_execnz .LBB0_898
; %bb.904:                              ;   in Loop: Header=BB0_1 Depth=1
	s_or_b32 exec_lo, exec_lo, s1
	s_add_co_i32 s4, s2, 0x81
	s_mov_b32 s1, s3
	s_bfe_u32 s0, s4, 0x100003
	v_dual_mov_b32 v2, s4 :: v_dual_mov_b32 v3, s4
	s_mulk_i32 s0, 0x20c5
	v_dual_mov_b32 v5, s4 :: v_dual_mov_b32 v1, 0
	s_lshr_b32 s0, s0, 20
	s_mov_b32 s5, s3
	s_mulk_i32 s0, 0x3e8
	s_delay_alu instid0(SALU_CYCLE_1) | instskip(NEXT) | instid1(SALU_CYCLE_1)
	s_sub_co_i32 s0, s4, s0
	s_and_b32 s0, s0, 0xffff
	s_delay_alu instid0(SALU_CYCLE_1) | instskip(NEXT) | instid1(SALU_CYCLE_1)
	s_lshl_b32 s0, s0, 12
	v_add_nc_u64_e32 v[6:7], s[0:1], v[10:11]
	v_add_nc_u64_e32 v[14:15], s[0:1], v[12:13]
	s_mov_b32 s1, 0
	global_store_b128 v[6:7], v[2:5], off th:TH_STORE_NT
.LBB0_905:                              ;   Parent Loop BB0_1 Depth=1
                                        ; =>  This Inner Loop Header: Depth=2
	s_wait_loadcnt 0x0
	global_load_b128 v[6:9], v[14:15], off th:TH_LOAD_NT
	v_add_nc_u32_e32 v1, 1, v1
	s_mov_b32 s0, -1
	s_mov_b32 s7, -1
	s_mov_b32 s12, exec_lo
	s_wait_xcnt 0x0
	v_cmpx_eq_u32_e32 0xf4240, v1
	s_cbranch_execz .LBB0_907
; %bb.906:                              ;   in Loop: Header=BB0_905 Depth=2
	s_wait_loadcnt 0x0
	s_wait_storecnt 0x0
	global_load_b32 v1, v4, s[10:11] scope:SCOPE_SYS
	s_wait_loadcnt 0x0
	global_inv scope:SCOPE_SYS
	v_cmp_eq_u32_e32 vcc_lo, 0, v1
	v_mov_b32_e32 v1, 0
	s_or_not1_b32 s7, vcc_lo, exec_lo
.LBB0_907:                              ;   in Loop: Header=BB0_905 Depth=2
	s_wait_xcnt 0x0
	s_or_b32 exec_lo, exec_lo, s12
	s_and_saveexec_b32 s12, s7
	s_cbranch_execz .LBB0_909
; %bb.908:                              ;   in Loop: Header=BB0_905 Depth=2
	s_wait_loadcnt 0x0
	v_cmp_eq_u32_e32 vcc_lo, s4, v7
	v_cmp_eq_u32_e64 s0, s4, v9
	s_and_b32 s0, vcc_lo, s0
	s_delay_alu instid0(SALU_CYCLE_1)
	s_or_not1_b32 s0, s0, exec_lo
.LBB0_909:                              ;   in Loop: Header=BB0_905 Depth=2
	s_or_b32 exec_lo, exec_lo, s12
	s_delay_alu instid0(SALU_CYCLE_1) | instskip(NEXT) | instid1(SALU_CYCLE_1)
	s_and_b32 s0, exec_lo, s0
	s_or_b32 s6, s0, s6
	s_delay_alu instid0(SALU_CYCLE_1)
	s_and_not1_b32 exec_lo, exec_lo, s6
	s_cbranch_execnz .LBB0_905
; %bb.910:                              ;   in Loop: Header=BB0_905 Depth=2
	s_or_b32 exec_lo, exec_lo, s6
	s_wait_loadcnt 0x0
	v_dual_mov_b32 v7, v8 :: v_dual_mov_b32 v1, 0
	s_mov_b32 s6, 0
	s_delay_alu instid0(VALU_DEP_1) | instskip(SKIP_1) | instid1(SALU_CYCLE_1)
	v_cmp_eq_u64_e32 vcc_lo, s[4:5], v[6:7]
	s_or_b32 s1, vcc_lo, s1
	s_and_not1_b32 exec_lo, exec_lo, s1
	s_cbranch_execnz .LBB0_905
; %bb.911:                              ;   in Loop: Header=BB0_1 Depth=1
	s_or_b32 exec_lo, exec_lo, s1
	s_add_co_i32 s4, s2, 0x82
	s_mov_b32 s1, s3
	s_bfe_u32 s0, s4, 0x100003
	v_dual_mov_b32 v2, s4 :: v_dual_mov_b32 v3, s4
	s_mulk_i32 s0, 0x20c5
	v_dual_mov_b32 v5, s4 :: v_dual_mov_b32 v1, 0
	s_lshr_b32 s0, s0, 20
	s_mov_b32 s5, s3
	s_mulk_i32 s0, 0x3e8
	s_delay_alu instid0(SALU_CYCLE_1) | instskip(NEXT) | instid1(SALU_CYCLE_1)
	s_sub_co_i32 s0, s4, s0
	s_and_b32 s0, s0, 0xffff
	s_delay_alu instid0(SALU_CYCLE_1) | instskip(NEXT) | instid1(SALU_CYCLE_1)
	s_lshl_b32 s0, s0, 12
	v_add_nc_u64_e32 v[6:7], s[0:1], v[10:11]
	v_add_nc_u64_e32 v[14:15], s[0:1], v[12:13]
	s_mov_b32 s1, 0
	global_store_b128 v[6:7], v[2:5], off th:TH_STORE_NT
.LBB0_912:                              ;   Parent Loop BB0_1 Depth=1
                                        ; =>  This Inner Loop Header: Depth=2
	s_wait_loadcnt 0x0
	global_load_b128 v[6:9], v[14:15], off th:TH_LOAD_NT
	v_add_nc_u32_e32 v1, 1, v1
	s_mov_b32 s0, -1
	s_mov_b32 s7, -1
	s_mov_b32 s12, exec_lo
	s_wait_xcnt 0x0
	v_cmpx_eq_u32_e32 0xf4240, v1
	s_cbranch_execz .LBB0_914
; %bb.913:                              ;   in Loop: Header=BB0_912 Depth=2
	s_wait_loadcnt 0x0
	s_wait_storecnt 0x0
	global_load_b32 v1, v4, s[10:11] scope:SCOPE_SYS
	s_wait_loadcnt 0x0
	global_inv scope:SCOPE_SYS
	v_cmp_eq_u32_e32 vcc_lo, 0, v1
	v_mov_b32_e32 v1, 0
	s_or_not1_b32 s7, vcc_lo, exec_lo
.LBB0_914:                              ;   in Loop: Header=BB0_912 Depth=2
	s_wait_xcnt 0x0
	s_or_b32 exec_lo, exec_lo, s12
	s_and_saveexec_b32 s12, s7
	s_cbranch_execz .LBB0_916
; %bb.915:                              ;   in Loop: Header=BB0_912 Depth=2
	s_wait_loadcnt 0x0
	v_cmp_eq_u32_e32 vcc_lo, s4, v7
	v_cmp_eq_u32_e64 s0, s4, v9
	s_and_b32 s0, vcc_lo, s0
	s_delay_alu instid0(SALU_CYCLE_1)
	s_or_not1_b32 s0, s0, exec_lo
.LBB0_916:                              ;   in Loop: Header=BB0_912 Depth=2
	s_or_b32 exec_lo, exec_lo, s12
	s_delay_alu instid0(SALU_CYCLE_1) | instskip(NEXT) | instid1(SALU_CYCLE_1)
	s_and_b32 s0, exec_lo, s0
	s_or_b32 s6, s0, s6
	s_delay_alu instid0(SALU_CYCLE_1)
	s_and_not1_b32 exec_lo, exec_lo, s6
	s_cbranch_execnz .LBB0_912
; %bb.917:                              ;   in Loop: Header=BB0_912 Depth=2
	s_or_b32 exec_lo, exec_lo, s6
	s_wait_loadcnt 0x0
	v_dual_mov_b32 v7, v8 :: v_dual_mov_b32 v1, 0
	s_mov_b32 s6, 0
	s_delay_alu instid0(VALU_DEP_1) | instskip(SKIP_1) | instid1(SALU_CYCLE_1)
	v_cmp_eq_u64_e32 vcc_lo, s[4:5], v[6:7]
	s_or_b32 s1, vcc_lo, s1
	s_and_not1_b32 exec_lo, exec_lo, s1
	s_cbranch_execnz .LBB0_912
; %bb.918:                              ;   in Loop: Header=BB0_1 Depth=1
	s_or_b32 exec_lo, exec_lo, s1
	s_add_co_i32 s4, s2, 0x83
	s_mov_b32 s1, s3
	s_bfe_u32 s0, s4, 0x100003
	v_dual_mov_b32 v2, s4 :: v_dual_mov_b32 v3, s4
	s_mulk_i32 s0, 0x20c5
	v_dual_mov_b32 v5, s4 :: v_dual_mov_b32 v1, 0
	s_lshr_b32 s0, s0, 20
	s_mov_b32 s5, s3
	s_mulk_i32 s0, 0x3e8
	s_delay_alu instid0(SALU_CYCLE_1) | instskip(NEXT) | instid1(SALU_CYCLE_1)
	s_sub_co_i32 s0, s4, s0
	s_and_b32 s0, s0, 0xffff
	s_delay_alu instid0(SALU_CYCLE_1) | instskip(NEXT) | instid1(SALU_CYCLE_1)
	s_lshl_b32 s0, s0, 12
	v_add_nc_u64_e32 v[6:7], s[0:1], v[10:11]
	v_add_nc_u64_e32 v[14:15], s[0:1], v[12:13]
	s_mov_b32 s1, 0
	global_store_b128 v[6:7], v[2:5], off th:TH_STORE_NT
.LBB0_919:                              ;   Parent Loop BB0_1 Depth=1
                                        ; =>  This Inner Loop Header: Depth=2
	s_wait_loadcnt 0x0
	global_load_b128 v[6:9], v[14:15], off th:TH_LOAD_NT
	v_add_nc_u32_e32 v1, 1, v1
	s_mov_b32 s0, -1
	s_mov_b32 s7, -1
	s_mov_b32 s12, exec_lo
	s_wait_xcnt 0x0
	v_cmpx_eq_u32_e32 0xf4240, v1
	s_cbranch_execz .LBB0_921
; %bb.920:                              ;   in Loop: Header=BB0_919 Depth=2
	s_wait_loadcnt 0x0
	s_wait_storecnt 0x0
	global_load_b32 v1, v4, s[10:11] scope:SCOPE_SYS
	s_wait_loadcnt 0x0
	global_inv scope:SCOPE_SYS
	v_cmp_eq_u32_e32 vcc_lo, 0, v1
	v_mov_b32_e32 v1, 0
	s_or_not1_b32 s7, vcc_lo, exec_lo
.LBB0_921:                              ;   in Loop: Header=BB0_919 Depth=2
	s_wait_xcnt 0x0
	s_or_b32 exec_lo, exec_lo, s12
	s_and_saveexec_b32 s12, s7
	s_cbranch_execz .LBB0_923
; %bb.922:                              ;   in Loop: Header=BB0_919 Depth=2
	s_wait_loadcnt 0x0
	v_cmp_eq_u32_e32 vcc_lo, s4, v7
	v_cmp_eq_u32_e64 s0, s4, v9
	s_and_b32 s0, vcc_lo, s0
	s_delay_alu instid0(SALU_CYCLE_1)
	s_or_not1_b32 s0, s0, exec_lo
.LBB0_923:                              ;   in Loop: Header=BB0_919 Depth=2
	s_or_b32 exec_lo, exec_lo, s12
	s_delay_alu instid0(SALU_CYCLE_1) | instskip(NEXT) | instid1(SALU_CYCLE_1)
	s_and_b32 s0, exec_lo, s0
	s_or_b32 s6, s0, s6
	s_delay_alu instid0(SALU_CYCLE_1)
	s_and_not1_b32 exec_lo, exec_lo, s6
	s_cbranch_execnz .LBB0_919
; %bb.924:                              ;   in Loop: Header=BB0_919 Depth=2
	s_or_b32 exec_lo, exec_lo, s6
	s_wait_loadcnt 0x0
	v_dual_mov_b32 v7, v8 :: v_dual_mov_b32 v1, 0
	s_mov_b32 s6, 0
	s_delay_alu instid0(VALU_DEP_1) | instskip(SKIP_1) | instid1(SALU_CYCLE_1)
	v_cmp_eq_u64_e32 vcc_lo, s[4:5], v[6:7]
	s_or_b32 s1, vcc_lo, s1
	s_and_not1_b32 exec_lo, exec_lo, s1
	s_cbranch_execnz .LBB0_919
; %bb.925:                              ;   in Loop: Header=BB0_1 Depth=1
	s_or_b32 exec_lo, exec_lo, s1
	s_add_co_i32 s4, s2, 0x84
	s_mov_b32 s1, s3
	s_bfe_u32 s0, s4, 0x100003
	v_dual_mov_b32 v2, s4 :: v_dual_mov_b32 v3, s4
	s_mulk_i32 s0, 0x20c5
	v_dual_mov_b32 v5, s4 :: v_dual_mov_b32 v1, 0
	s_lshr_b32 s0, s0, 20
	s_mov_b32 s5, s3
	s_mulk_i32 s0, 0x3e8
	s_delay_alu instid0(SALU_CYCLE_1) | instskip(NEXT) | instid1(SALU_CYCLE_1)
	s_sub_co_i32 s0, s4, s0
	s_and_b32 s0, s0, 0xffff
	s_delay_alu instid0(SALU_CYCLE_1) | instskip(NEXT) | instid1(SALU_CYCLE_1)
	s_lshl_b32 s0, s0, 12
	v_add_nc_u64_e32 v[6:7], s[0:1], v[10:11]
	v_add_nc_u64_e32 v[14:15], s[0:1], v[12:13]
	s_mov_b32 s1, 0
	global_store_b128 v[6:7], v[2:5], off th:TH_STORE_NT
.LBB0_926:                              ;   Parent Loop BB0_1 Depth=1
                                        ; =>  This Inner Loop Header: Depth=2
	s_wait_loadcnt 0x0
	global_load_b128 v[6:9], v[14:15], off th:TH_LOAD_NT
	v_add_nc_u32_e32 v1, 1, v1
	s_mov_b32 s0, -1
	s_mov_b32 s7, -1
	s_mov_b32 s12, exec_lo
	s_wait_xcnt 0x0
	v_cmpx_eq_u32_e32 0xf4240, v1
	s_cbranch_execz .LBB0_928
; %bb.927:                              ;   in Loop: Header=BB0_926 Depth=2
	s_wait_loadcnt 0x0
	s_wait_storecnt 0x0
	global_load_b32 v1, v4, s[10:11] scope:SCOPE_SYS
	s_wait_loadcnt 0x0
	global_inv scope:SCOPE_SYS
	v_cmp_eq_u32_e32 vcc_lo, 0, v1
	v_mov_b32_e32 v1, 0
	s_or_not1_b32 s7, vcc_lo, exec_lo
.LBB0_928:                              ;   in Loop: Header=BB0_926 Depth=2
	s_wait_xcnt 0x0
	s_or_b32 exec_lo, exec_lo, s12
	s_and_saveexec_b32 s12, s7
	s_cbranch_execz .LBB0_930
; %bb.929:                              ;   in Loop: Header=BB0_926 Depth=2
	s_wait_loadcnt 0x0
	v_cmp_eq_u32_e32 vcc_lo, s4, v7
	v_cmp_eq_u32_e64 s0, s4, v9
	s_and_b32 s0, vcc_lo, s0
	s_delay_alu instid0(SALU_CYCLE_1)
	s_or_not1_b32 s0, s0, exec_lo
.LBB0_930:                              ;   in Loop: Header=BB0_926 Depth=2
	s_or_b32 exec_lo, exec_lo, s12
	s_delay_alu instid0(SALU_CYCLE_1) | instskip(NEXT) | instid1(SALU_CYCLE_1)
	s_and_b32 s0, exec_lo, s0
	s_or_b32 s6, s0, s6
	s_delay_alu instid0(SALU_CYCLE_1)
	s_and_not1_b32 exec_lo, exec_lo, s6
	s_cbranch_execnz .LBB0_926
; %bb.931:                              ;   in Loop: Header=BB0_926 Depth=2
	s_or_b32 exec_lo, exec_lo, s6
	s_wait_loadcnt 0x0
	v_dual_mov_b32 v7, v8 :: v_dual_mov_b32 v1, 0
	s_mov_b32 s6, 0
	s_delay_alu instid0(VALU_DEP_1) | instskip(SKIP_1) | instid1(SALU_CYCLE_1)
	v_cmp_eq_u64_e32 vcc_lo, s[4:5], v[6:7]
	s_or_b32 s1, vcc_lo, s1
	s_and_not1_b32 exec_lo, exec_lo, s1
	s_cbranch_execnz .LBB0_926
; %bb.932:                              ;   in Loop: Header=BB0_1 Depth=1
	s_or_b32 exec_lo, exec_lo, s1
	s_add_co_i32 s4, s2, 0x85
	s_mov_b32 s1, s3
	s_bfe_u32 s0, s4, 0x100003
	v_dual_mov_b32 v2, s4 :: v_dual_mov_b32 v3, s4
	s_mulk_i32 s0, 0x20c5
	v_dual_mov_b32 v5, s4 :: v_dual_mov_b32 v1, 0
	s_lshr_b32 s0, s0, 20
	s_mov_b32 s5, s3
	s_mulk_i32 s0, 0x3e8
	s_delay_alu instid0(SALU_CYCLE_1) | instskip(NEXT) | instid1(SALU_CYCLE_1)
	s_sub_co_i32 s0, s4, s0
	s_and_b32 s0, s0, 0xffff
	s_delay_alu instid0(SALU_CYCLE_1) | instskip(NEXT) | instid1(SALU_CYCLE_1)
	s_lshl_b32 s0, s0, 12
	v_add_nc_u64_e32 v[6:7], s[0:1], v[10:11]
	v_add_nc_u64_e32 v[14:15], s[0:1], v[12:13]
	s_mov_b32 s1, 0
	global_store_b128 v[6:7], v[2:5], off th:TH_STORE_NT
.LBB0_933:                              ;   Parent Loop BB0_1 Depth=1
                                        ; =>  This Inner Loop Header: Depth=2
	s_wait_loadcnt 0x0
	global_load_b128 v[6:9], v[14:15], off th:TH_LOAD_NT
	v_add_nc_u32_e32 v1, 1, v1
	s_mov_b32 s0, -1
	s_mov_b32 s7, -1
	s_mov_b32 s12, exec_lo
	s_wait_xcnt 0x0
	v_cmpx_eq_u32_e32 0xf4240, v1
	s_cbranch_execz .LBB0_935
; %bb.934:                              ;   in Loop: Header=BB0_933 Depth=2
	s_wait_loadcnt 0x0
	s_wait_storecnt 0x0
	global_load_b32 v1, v4, s[10:11] scope:SCOPE_SYS
	s_wait_loadcnt 0x0
	global_inv scope:SCOPE_SYS
	v_cmp_eq_u32_e32 vcc_lo, 0, v1
	v_mov_b32_e32 v1, 0
	s_or_not1_b32 s7, vcc_lo, exec_lo
.LBB0_935:                              ;   in Loop: Header=BB0_933 Depth=2
	s_wait_xcnt 0x0
	s_or_b32 exec_lo, exec_lo, s12
	s_and_saveexec_b32 s12, s7
	s_cbranch_execz .LBB0_937
; %bb.936:                              ;   in Loop: Header=BB0_933 Depth=2
	s_wait_loadcnt 0x0
	v_cmp_eq_u32_e32 vcc_lo, s4, v7
	v_cmp_eq_u32_e64 s0, s4, v9
	s_and_b32 s0, vcc_lo, s0
	s_delay_alu instid0(SALU_CYCLE_1)
	s_or_not1_b32 s0, s0, exec_lo
.LBB0_937:                              ;   in Loop: Header=BB0_933 Depth=2
	s_or_b32 exec_lo, exec_lo, s12
	s_delay_alu instid0(SALU_CYCLE_1) | instskip(NEXT) | instid1(SALU_CYCLE_1)
	s_and_b32 s0, exec_lo, s0
	s_or_b32 s6, s0, s6
	s_delay_alu instid0(SALU_CYCLE_1)
	s_and_not1_b32 exec_lo, exec_lo, s6
	s_cbranch_execnz .LBB0_933
; %bb.938:                              ;   in Loop: Header=BB0_933 Depth=2
	s_or_b32 exec_lo, exec_lo, s6
	s_wait_loadcnt 0x0
	v_dual_mov_b32 v7, v8 :: v_dual_mov_b32 v1, 0
	s_mov_b32 s6, 0
	s_delay_alu instid0(VALU_DEP_1) | instskip(SKIP_1) | instid1(SALU_CYCLE_1)
	v_cmp_eq_u64_e32 vcc_lo, s[4:5], v[6:7]
	s_or_b32 s1, vcc_lo, s1
	s_and_not1_b32 exec_lo, exec_lo, s1
	s_cbranch_execnz .LBB0_933
; %bb.939:                              ;   in Loop: Header=BB0_1 Depth=1
	s_or_b32 exec_lo, exec_lo, s1
	s_add_co_i32 s4, s2, 0x86
	s_mov_b32 s1, s3
	s_bfe_u32 s0, s4, 0x100003
	v_dual_mov_b32 v2, s4 :: v_dual_mov_b32 v3, s4
	s_mulk_i32 s0, 0x20c5
	v_dual_mov_b32 v5, s4 :: v_dual_mov_b32 v1, 0
	s_lshr_b32 s0, s0, 20
	s_mov_b32 s5, s3
	s_mulk_i32 s0, 0x3e8
	s_delay_alu instid0(SALU_CYCLE_1) | instskip(NEXT) | instid1(SALU_CYCLE_1)
	s_sub_co_i32 s0, s4, s0
	s_and_b32 s0, s0, 0xffff
	s_delay_alu instid0(SALU_CYCLE_1) | instskip(NEXT) | instid1(SALU_CYCLE_1)
	s_lshl_b32 s0, s0, 12
	v_add_nc_u64_e32 v[6:7], s[0:1], v[10:11]
	v_add_nc_u64_e32 v[14:15], s[0:1], v[12:13]
	s_mov_b32 s1, 0
	global_store_b128 v[6:7], v[2:5], off th:TH_STORE_NT
.LBB0_940:                              ;   Parent Loop BB0_1 Depth=1
                                        ; =>  This Inner Loop Header: Depth=2
	s_wait_loadcnt 0x0
	global_load_b128 v[6:9], v[14:15], off th:TH_LOAD_NT
	v_add_nc_u32_e32 v1, 1, v1
	s_mov_b32 s0, -1
	s_mov_b32 s7, -1
	s_mov_b32 s12, exec_lo
	s_wait_xcnt 0x0
	v_cmpx_eq_u32_e32 0xf4240, v1
	s_cbranch_execz .LBB0_942
; %bb.941:                              ;   in Loop: Header=BB0_940 Depth=2
	s_wait_loadcnt 0x0
	s_wait_storecnt 0x0
	global_load_b32 v1, v4, s[10:11] scope:SCOPE_SYS
	s_wait_loadcnt 0x0
	global_inv scope:SCOPE_SYS
	v_cmp_eq_u32_e32 vcc_lo, 0, v1
	v_mov_b32_e32 v1, 0
	s_or_not1_b32 s7, vcc_lo, exec_lo
.LBB0_942:                              ;   in Loop: Header=BB0_940 Depth=2
	s_wait_xcnt 0x0
	s_or_b32 exec_lo, exec_lo, s12
	s_and_saveexec_b32 s12, s7
	s_cbranch_execz .LBB0_944
; %bb.943:                              ;   in Loop: Header=BB0_940 Depth=2
	s_wait_loadcnt 0x0
	v_cmp_eq_u32_e32 vcc_lo, s4, v7
	v_cmp_eq_u32_e64 s0, s4, v9
	s_and_b32 s0, vcc_lo, s0
	s_delay_alu instid0(SALU_CYCLE_1)
	s_or_not1_b32 s0, s0, exec_lo
.LBB0_944:                              ;   in Loop: Header=BB0_940 Depth=2
	s_or_b32 exec_lo, exec_lo, s12
	s_delay_alu instid0(SALU_CYCLE_1) | instskip(NEXT) | instid1(SALU_CYCLE_1)
	s_and_b32 s0, exec_lo, s0
	s_or_b32 s6, s0, s6
	s_delay_alu instid0(SALU_CYCLE_1)
	s_and_not1_b32 exec_lo, exec_lo, s6
	s_cbranch_execnz .LBB0_940
; %bb.945:                              ;   in Loop: Header=BB0_940 Depth=2
	s_or_b32 exec_lo, exec_lo, s6
	s_wait_loadcnt 0x0
	v_dual_mov_b32 v7, v8 :: v_dual_mov_b32 v1, 0
	s_mov_b32 s6, 0
	s_delay_alu instid0(VALU_DEP_1) | instskip(SKIP_1) | instid1(SALU_CYCLE_1)
	v_cmp_eq_u64_e32 vcc_lo, s[4:5], v[6:7]
	s_or_b32 s1, vcc_lo, s1
	s_and_not1_b32 exec_lo, exec_lo, s1
	s_cbranch_execnz .LBB0_940
; %bb.946:                              ;   in Loop: Header=BB0_1 Depth=1
	s_or_b32 exec_lo, exec_lo, s1
	s_add_co_i32 s4, s2, 0x87
	s_mov_b32 s1, s3
	s_bfe_u32 s0, s4, 0x100003
	v_dual_mov_b32 v2, s4 :: v_dual_mov_b32 v3, s4
	s_mulk_i32 s0, 0x20c5
	v_dual_mov_b32 v5, s4 :: v_dual_mov_b32 v1, 0
	s_lshr_b32 s0, s0, 20
	s_mov_b32 s5, s3
	s_mulk_i32 s0, 0x3e8
	s_delay_alu instid0(SALU_CYCLE_1) | instskip(NEXT) | instid1(SALU_CYCLE_1)
	s_sub_co_i32 s0, s4, s0
	s_and_b32 s0, s0, 0xffff
	s_delay_alu instid0(SALU_CYCLE_1) | instskip(NEXT) | instid1(SALU_CYCLE_1)
	s_lshl_b32 s0, s0, 12
	v_add_nc_u64_e32 v[6:7], s[0:1], v[10:11]
	v_add_nc_u64_e32 v[14:15], s[0:1], v[12:13]
	s_mov_b32 s1, 0
	global_store_b128 v[6:7], v[2:5], off th:TH_STORE_NT
.LBB0_947:                              ;   Parent Loop BB0_1 Depth=1
                                        ; =>  This Inner Loop Header: Depth=2
	s_wait_loadcnt 0x0
	global_load_b128 v[6:9], v[14:15], off th:TH_LOAD_NT
	v_add_nc_u32_e32 v1, 1, v1
	s_mov_b32 s0, -1
	s_mov_b32 s7, -1
	s_mov_b32 s12, exec_lo
	s_wait_xcnt 0x0
	v_cmpx_eq_u32_e32 0xf4240, v1
	s_cbranch_execz .LBB0_949
; %bb.948:                              ;   in Loop: Header=BB0_947 Depth=2
	s_wait_loadcnt 0x0
	s_wait_storecnt 0x0
	global_load_b32 v1, v4, s[10:11] scope:SCOPE_SYS
	s_wait_loadcnt 0x0
	global_inv scope:SCOPE_SYS
	v_cmp_eq_u32_e32 vcc_lo, 0, v1
	v_mov_b32_e32 v1, 0
	s_or_not1_b32 s7, vcc_lo, exec_lo
.LBB0_949:                              ;   in Loop: Header=BB0_947 Depth=2
	s_wait_xcnt 0x0
	s_or_b32 exec_lo, exec_lo, s12
	s_and_saveexec_b32 s12, s7
	s_cbranch_execz .LBB0_951
; %bb.950:                              ;   in Loop: Header=BB0_947 Depth=2
	s_wait_loadcnt 0x0
	v_cmp_eq_u32_e32 vcc_lo, s4, v7
	v_cmp_eq_u32_e64 s0, s4, v9
	s_and_b32 s0, vcc_lo, s0
	s_delay_alu instid0(SALU_CYCLE_1)
	s_or_not1_b32 s0, s0, exec_lo
.LBB0_951:                              ;   in Loop: Header=BB0_947 Depth=2
	s_or_b32 exec_lo, exec_lo, s12
	s_delay_alu instid0(SALU_CYCLE_1) | instskip(NEXT) | instid1(SALU_CYCLE_1)
	s_and_b32 s0, exec_lo, s0
	s_or_b32 s6, s0, s6
	s_delay_alu instid0(SALU_CYCLE_1)
	s_and_not1_b32 exec_lo, exec_lo, s6
	s_cbranch_execnz .LBB0_947
; %bb.952:                              ;   in Loop: Header=BB0_947 Depth=2
	s_or_b32 exec_lo, exec_lo, s6
	s_wait_loadcnt 0x0
	v_dual_mov_b32 v7, v8 :: v_dual_mov_b32 v1, 0
	s_mov_b32 s6, 0
	s_delay_alu instid0(VALU_DEP_1) | instskip(SKIP_1) | instid1(SALU_CYCLE_1)
	v_cmp_eq_u64_e32 vcc_lo, s[4:5], v[6:7]
	s_or_b32 s1, vcc_lo, s1
	s_and_not1_b32 exec_lo, exec_lo, s1
	s_cbranch_execnz .LBB0_947
; %bb.953:                              ;   in Loop: Header=BB0_1 Depth=1
	s_or_b32 exec_lo, exec_lo, s1
	s_add_co_i32 s4, s2, 0x88
	s_mov_b32 s1, s3
	s_bfe_u32 s0, s4, 0x100003
	v_dual_mov_b32 v2, s4 :: v_dual_mov_b32 v3, s4
	s_mulk_i32 s0, 0x20c5
	v_dual_mov_b32 v5, s4 :: v_dual_mov_b32 v1, 0
	s_lshr_b32 s0, s0, 20
	s_mov_b32 s5, s3
	s_mulk_i32 s0, 0x3e8
	s_delay_alu instid0(SALU_CYCLE_1) | instskip(NEXT) | instid1(SALU_CYCLE_1)
	s_sub_co_i32 s0, s4, s0
	s_and_b32 s0, s0, 0xffff
	s_delay_alu instid0(SALU_CYCLE_1) | instskip(NEXT) | instid1(SALU_CYCLE_1)
	s_lshl_b32 s0, s0, 12
	v_add_nc_u64_e32 v[6:7], s[0:1], v[10:11]
	v_add_nc_u64_e32 v[14:15], s[0:1], v[12:13]
	s_mov_b32 s1, 0
	global_store_b128 v[6:7], v[2:5], off th:TH_STORE_NT
.LBB0_954:                              ;   Parent Loop BB0_1 Depth=1
                                        ; =>  This Inner Loop Header: Depth=2
	s_wait_loadcnt 0x0
	global_load_b128 v[6:9], v[14:15], off th:TH_LOAD_NT
	v_add_nc_u32_e32 v1, 1, v1
	s_mov_b32 s0, -1
	s_mov_b32 s7, -1
	s_mov_b32 s12, exec_lo
	s_wait_xcnt 0x0
	v_cmpx_eq_u32_e32 0xf4240, v1
	s_cbranch_execz .LBB0_956
; %bb.955:                              ;   in Loop: Header=BB0_954 Depth=2
	s_wait_loadcnt 0x0
	s_wait_storecnt 0x0
	global_load_b32 v1, v4, s[10:11] scope:SCOPE_SYS
	s_wait_loadcnt 0x0
	global_inv scope:SCOPE_SYS
	v_cmp_eq_u32_e32 vcc_lo, 0, v1
	v_mov_b32_e32 v1, 0
	s_or_not1_b32 s7, vcc_lo, exec_lo
.LBB0_956:                              ;   in Loop: Header=BB0_954 Depth=2
	s_wait_xcnt 0x0
	s_or_b32 exec_lo, exec_lo, s12
	s_and_saveexec_b32 s12, s7
	s_cbranch_execz .LBB0_958
; %bb.957:                              ;   in Loop: Header=BB0_954 Depth=2
	s_wait_loadcnt 0x0
	v_cmp_eq_u32_e32 vcc_lo, s4, v7
	v_cmp_eq_u32_e64 s0, s4, v9
	s_and_b32 s0, vcc_lo, s0
	s_delay_alu instid0(SALU_CYCLE_1)
	s_or_not1_b32 s0, s0, exec_lo
.LBB0_958:                              ;   in Loop: Header=BB0_954 Depth=2
	s_or_b32 exec_lo, exec_lo, s12
	s_delay_alu instid0(SALU_CYCLE_1) | instskip(NEXT) | instid1(SALU_CYCLE_1)
	s_and_b32 s0, exec_lo, s0
	s_or_b32 s6, s0, s6
	s_delay_alu instid0(SALU_CYCLE_1)
	s_and_not1_b32 exec_lo, exec_lo, s6
	s_cbranch_execnz .LBB0_954
; %bb.959:                              ;   in Loop: Header=BB0_954 Depth=2
	s_or_b32 exec_lo, exec_lo, s6
	s_wait_loadcnt 0x0
	v_dual_mov_b32 v7, v8 :: v_dual_mov_b32 v1, 0
	s_mov_b32 s6, 0
	s_delay_alu instid0(VALU_DEP_1) | instskip(SKIP_1) | instid1(SALU_CYCLE_1)
	v_cmp_eq_u64_e32 vcc_lo, s[4:5], v[6:7]
	s_or_b32 s1, vcc_lo, s1
	s_and_not1_b32 exec_lo, exec_lo, s1
	s_cbranch_execnz .LBB0_954
; %bb.960:                              ;   in Loop: Header=BB0_1 Depth=1
	s_or_b32 exec_lo, exec_lo, s1
	s_add_co_i32 s4, s2, 0x89
	s_mov_b32 s1, s3
	s_bfe_u32 s0, s4, 0x100003
	v_dual_mov_b32 v2, s4 :: v_dual_mov_b32 v3, s4
	s_mulk_i32 s0, 0x20c5
	v_dual_mov_b32 v5, s4 :: v_dual_mov_b32 v1, 0
	s_lshr_b32 s0, s0, 20
	s_mov_b32 s5, s3
	s_mulk_i32 s0, 0x3e8
	s_delay_alu instid0(SALU_CYCLE_1) | instskip(NEXT) | instid1(SALU_CYCLE_1)
	s_sub_co_i32 s0, s4, s0
	s_and_b32 s0, s0, 0xffff
	s_delay_alu instid0(SALU_CYCLE_1) | instskip(NEXT) | instid1(SALU_CYCLE_1)
	s_lshl_b32 s0, s0, 12
	v_add_nc_u64_e32 v[6:7], s[0:1], v[10:11]
	v_add_nc_u64_e32 v[14:15], s[0:1], v[12:13]
	s_mov_b32 s1, 0
	global_store_b128 v[6:7], v[2:5], off th:TH_STORE_NT
.LBB0_961:                              ;   Parent Loop BB0_1 Depth=1
                                        ; =>  This Inner Loop Header: Depth=2
	s_wait_loadcnt 0x0
	global_load_b128 v[6:9], v[14:15], off th:TH_LOAD_NT
	v_add_nc_u32_e32 v1, 1, v1
	s_mov_b32 s0, -1
	s_mov_b32 s7, -1
	s_mov_b32 s12, exec_lo
	s_wait_xcnt 0x0
	v_cmpx_eq_u32_e32 0xf4240, v1
	s_cbranch_execz .LBB0_963
; %bb.962:                              ;   in Loop: Header=BB0_961 Depth=2
	s_wait_loadcnt 0x0
	s_wait_storecnt 0x0
	global_load_b32 v1, v4, s[10:11] scope:SCOPE_SYS
	s_wait_loadcnt 0x0
	global_inv scope:SCOPE_SYS
	v_cmp_eq_u32_e32 vcc_lo, 0, v1
	v_mov_b32_e32 v1, 0
	s_or_not1_b32 s7, vcc_lo, exec_lo
.LBB0_963:                              ;   in Loop: Header=BB0_961 Depth=2
	s_wait_xcnt 0x0
	s_or_b32 exec_lo, exec_lo, s12
	s_and_saveexec_b32 s12, s7
	s_cbranch_execz .LBB0_965
; %bb.964:                              ;   in Loop: Header=BB0_961 Depth=2
	s_wait_loadcnt 0x0
	v_cmp_eq_u32_e32 vcc_lo, s4, v7
	v_cmp_eq_u32_e64 s0, s4, v9
	s_and_b32 s0, vcc_lo, s0
	s_delay_alu instid0(SALU_CYCLE_1)
	s_or_not1_b32 s0, s0, exec_lo
.LBB0_965:                              ;   in Loop: Header=BB0_961 Depth=2
	s_or_b32 exec_lo, exec_lo, s12
	s_delay_alu instid0(SALU_CYCLE_1) | instskip(NEXT) | instid1(SALU_CYCLE_1)
	s_and_b32 s0, exec_lo, s0
	s_or_b32 s6, s0, s6
	s_delay_alu instid0(SALU_CYCLE_1)
	s_and_not1_b32 exec_lo, exec_lo, s6
	s_cbranch_execnz .LBB0_961
; %bb.966:                              ;   in Loop: Header=BB0_961 Depth=2
	s_or_b32 exec_lo, exec_lo, s6
	s_wait_loadcnt 0x0
	v_dual_mov_b32 v7, v8 :: v_dual_mov_b32 v1, 0
	s_mov_b32 s6, 0
	s_delay_alu instid0(VALU_DEP_1) | instskip(SKIP_1) | instid1(SALU_CYCLE_1)
	v_cmp_eq_u64_e32 vcc_lo, s[4:5], v[6:7]
	s_or_b32 s1, vcc_lo, s1
	s_and_not1_b32 exec_lo, exec_lo, s1
	s_cbranch_execnz .LBB0_961
; %bb.967:                              ;   in Loop: Header=BB0_1 Depth=1
	s_or_b32 exec_lo, exec_lo, s1
	s_add_co_i32 s4, s2, 0x8a
	s_mov_b32 s1, s3
	s_bfe_u32 s0, s4, 0x100003
	v_dual_mov_b32 v2, s4 :: v_dual_mov_b32 v3, s4
	s_mulk_i32 s0, 0x20c5
	v_dual_mov_b32 v5, s4 :: v_dual_mov_b32 v1, 0
	s_lshr_b32 s0, s0, 20
	s_mov_b32 s5, s3
	s_mulk_i32 s0, 0x3e8
	s_delay_alu instid0(SALU_CYCLE_1) | instskip(NEXT) | instid1(SALU_CYCLE_1)
	s_sub_co_i32 s0, s4, s0
	s_and_b32 s0, s0, 0xffff
	s_delay_alu instid0(SALU_CYCLE_1) | instskip(NEXT) | instid1(SALU_CYCLE_1)
	s_lshl_b32 s0, s0, 12
	v_add_nc_u64_e32 v[6:7], s[0:1], v[10:11]
	v_add_nc_u64_e32 v[14:15], s[0:1], v[12:13]
	s_mov_b32 s1, 0
	global_store_b128 v[6:7], v[2:5], off th:TH_STORE_NT
.LBB0_968:                              ;   Parent Loop BB0_1 Depth=1
                                        ; =>  This Inner Loop Header: Depth=2
	s_wait_loadcnt 0x0
	global_load_b128 v[6:9], v[14:15], off th:TH_LOAD_NT
	v_add_nc_u32_e32 v1, 1, v1
	s_mov_b32 s0, -1
	s_mov_b32 s7, -1
	s_mov_b32 s12, exec_lo
	s_wait_xcnt 0x0
	v_cmpx_eq_u32_e32 0xf4240, v1
	s_cbranch_execz .LBB0_970
; %bb.969:                              ;   in Loop: Header=BB0_968 Depth=2
	s_wait_loadcnt 0x0
	s_wait_storecnt 0x0
	global_load_b32 v1, v4, s[10:11] scope:SCOPE_SYS
	s_wait_loadcnt 0x0
	global_inv scope:SCOPE_SYS
	v_cmp_eq_u32_e32 vcc_lo, 0, v1
	v_mov_b32_e32 v1, 0
	s_or_not1_b32 s7, vcc_lo, exec_lo
.LBB0_970:                              ;   in Loop: Header=BB0_968 Depth=2
	s_wait_xcnt 0x0
	s_or_b32 exec_lo, exec_lo, s12
	s_and_saveexec_b32 s12, s7
	s_cbranch_execz .LBB0_972
; %bb.971:                              ;   in Loop: Header=BB0_968 Depth=2
	s_wait_loadcnt 0x0
	v_cmp_eq_u32_e32 vcc_lo, s4, v7
	v_cmp_eq_u32_e64 s0, s4, v9
	s_and_b32 s0, vcc_lo, s0
	s_delay_alu instid0(SALU_CYCLE_1)
	s_or_not1_b32 s0, s0, exec_lo
.LBB0_972:                              ;   in Loop: Header=BB0_968 Depth=2
	s_or_b32 exec_lo, exec_lo, s12
	s_delay_alu instid0(SALU_CYCLE_1) | instskip(NEXT) | instid1(SALU_CYCLE_1)
	s_and_b32 s0, exec_lo, s0
	s_or_b32 s6, s0, s6
	s_delay_alu instid0(SALU_CYCLE_1)
	s_and_not1_b32 exec_lo, exec_lo, s6
	s_cbranch_execnz .LBB0_968
; %bb.973:                              ;   in Loop: Header=BB0_968 Depth=2
	s_or_b32 exec_lo, exec_lo, s6
	s_wait_loadcnt 0x0
	v_dual_mov_b32 v7, v8 :: v_dual_mov_b32 v1, 0
	s_mov_b32 s6, 0
	s_delay_alu instid0(VALU_DEP_1) | instskip(SKIP_1) | instid1(SALU_CYCLE_1)
	v_cmp_eq_u64_e32 vcc_lo, s[4:5], v[6:7]
	s_or_b32 s1, vcc_lo, s1
	s_and_not1_b32 exec_lo, exec_lo, s1
	s_cbranch_execnz .LBB0_968
; %bb.974:                              ;   in Loop: Header=BB0_1 Depth=1
	s_or_b32 exec_lo, exec_lo, s1
	s_add_co_i32 s4, s2, 0x8b
	s_mov_b32 s1, s3
	s_bfe_u32 s0, s4, 0x100003
	v_dual_mov_b32 v2, s4 :: v_dual_mov_b32 v3, s4
	s_mulk_i32 s0, 0x20c5
	v_dual_mov_b32 v5, s4 :: v_dual_mov_b32 v1, 0
	s_lshr_b32 s0, s0, 20
	s_mov_b32 s5, s3
	s_mulk_i32 s0, 0x3e8
	s_delay_alu instid0(SALU_CYCLE_1) | instskip(NEXT) | instid1(SALU_CYCLE_1)
	s_sub_co_i32 s0, s4, s0
	s_and_b32 s0, s0, 0xffff
	s_delay_alu instid0(SALU_CYCLE_1) | instskip(NEXT) | instid1(SALU_CYCLE_1)
	s_lshl_b32 s0, s0, 12
	v_add_nc_u64_e32 v[6:7], s[0:1], v[10:11]
	v_add_nc_u64_e32 v[14:15], s[0:1], v[12:13]
	s_mov_b32 s1, 0
	global_store_b128 v[6:7], v[2:5], off th:TH_STORE_NT
.LBB0_975:                              ;   Parent Loop BB0_1 Depth=1
                                        ; =>  This Inner Loop Header: Depth=2
	s_wait_loadcnt 0x0
	global_load_b128 v[6:9], v[14:15], off th:TH_LOAD_NT
	v_add_nc_u32_e32 v1, 1, v1
	s_mov_b32 s0, -1
	s_mov_b32 s7, -1
	s_mov_b32 s12, exec_lo
	s_wait_xcnt 0x0
	v_cmpx_eq_u32_e32 0xf4240, v1
	s_cbranch_execz .LBB0_977
; %bb.976:                              ;   in Loop: Header=BB0_975 Depth=2
	s_wait_loadcnt 0x0
	s_wait_storecnt 0x0
	global_load_b32 v1, v4, s[10:11] scope:SCOPE_SYS
	s_wait_loadcnt 0x0
	global_inv scope:SCOPE_SYS
	v_cmp_eq_u32_e32 vcc_lo, 0, v1
	v_mov_b32_e32 v1, 0
	s_or_not1_b32 s7, vcc_lo, exec_lo
.LBB0_977:                              ;   in Loop: Header=BB0_975 Depth=2
	s_wait_xcnt 0x0
	s_or_b32 exec_lo, exec_lo, s12
	s_and_saveexec_b32 s12, s7
	s_cbranch_execz .LBB0_979
; %bb.978:                              ;   in Loop: Header=BB0_975 Depth=2
	s_wait_loadcnt 0x0
	v_cmp_eq_u32_e32 vcc_lo, s4, v7
	v_cmp_eq_u32_e64 s0, s4, v9
	s_and_b32 s0, vcc_lo, s0
	s_delay_alu instid0(SALU_CYCLE_1)
	s_or_not1_b32 s0, s0, exec_lo
.LBB0_979:                              ;   in Loop: Header=BB0_975 Depth=2
	s_or_b32 exec_lo, exec_lo, s12
	s_delay_alu instid0(SALU_CYCLE_1) | instskip(NEXT) | instid1(SALU_CYCLE_1)
	s_and_b32 s0, exec_lo, s0
	s_or_b32 s6, s0, s6
	s_delay_alu instid0(SALU_CYCLE_1)
	s_and_not1_b32 exec_lo, exec_lo, s6
	s_cbranch_execnz .LBB0_975
; %bb.980:                              ;   in Loop: Header=BB0_975 Depth=2
	s_or_b32 exec_lo, exec_lo, s6
	s_wait_loadcnt 0x0
	v_dual_mov_b32 v7, v8 :: v_dual_mov_b32 v1, 0
	s_mov_b32 s6, 0
	s_delay_alu instid0(VALU_DEP_1) | instskip(SKIP_1) | instid1(SALU_CYCLE_1)
	v_cmp_eq_u64_e32 vcc_lo, s[4:5], v[6:7]
	s_or_b32 s1, vcc_lo, s1
	s_and_not1_b32 exec_lo, exec_lo, s1
	s_cbranch_execnz .LBB0_975
; %bb.981:                              ;   in Loop: Header=BB0_1 Depth=1
	s_or_b32 exec_lo, exec_lo, s1
	s_add_co_i32 s4, s2, 0x8c
	s_mov_b32 s1, s3
	s_bfe_u32 s0, s4, 0x100003
	v_dual_mov_b32 v2, s4 :: v_dual_mov_b32 v3, s4
	s_mulk_i32 s0, 0x20c5
	v_dual_mov_b32 v5, s4 :: v_dual_mov_b32 v1, 0
	s_lshr_b32 s0, s0, 20
	s_mov_b32 s5, s3
	s_mulk_i32 s0, 0x3e8
	s_delay_alu instid0(SALU_CYCLE_1) | instskip(NEXT) | instid1(SALU_CYCLE_1)
	s_sub_co_i32 s0, s4, s0
	s_and_b32 s0, s0, 0xffff
	s_delay_alu instid0(SALU_CYCLE_1) | instskip(NEXT) | instid1(SALU_CYCLE_1)
	s_lshl_b32 s0, s0, 12
	v_add_nc_u64_e32 v[6:7], s[0:1], v[10:11]
	v_add_nc_u64_e32 v[14:15], s[0:1], v[12:13]
	s_mov_b32 s1, 0
	global_store_b128 v[6:7], v[2:5], off th:TH_STORE_NT
.LBB0_982:                              ;   Parent Loop BB0_1 Depth=1
                                        ; =>  This Inner Loop Header: Depth=2
	s_wait_loadcnt 0x0
	global_load_b128 v[6:9], v[14:15], off th:TH_LOAD_NT
	v_add_nc_u32_e32 v1, 1, v1
	s_mov_b32 s0, -1
	s_mov_b32 s7, -1
	s_mov_b32 s12, exec_lo
	s_wait_xcnt 0x0
	v_cmpx_eq_u32_e32 0xf4240, v1
	s_cbranch_execz .LBB0_984
; %bb.983:                              ;   in Loop: Header=BB0_982 Depth=2
	s_wait_loadcnt 0x0
	s_wait_storecnt 0x0
	global_load_b32 v1, v4, s[10:11] scope:SCOPE_SYS
	s_wait_loadcnt 0x0
	global_inv scope:SCOPE_SYS
	v_cmp_eq_u32_e32 vcc_lo, 0, v1
	v_mov_b32_e32 v1, 0
	s_or_not1_b32 s7, vcc_lo, exec_lo
.LBB0_984:                              ;   in Loop: Header=BB0_982 Depth=2
	s_wait_xcnt 0x0
	s_or_b32 exec_lo, exec_lo, s12
	s_and_saveexec_b32 s12, s7
	s_cbranch_execz .LBB0_986
; %bb.985:                              ;   in Loop: Header=BB0_982 Depth=2
	s_wait_loadcnt 0x0
	v_cmp_eq_u32_e32 vcc_lo, s4, v7
	v_cmp_eq_u32_e64 s0, s4, v9
	s_and_b32 s0, vcc_lo, s0
	s_delay_alu instid0(SALU_CYCLE_1)
	s_or_not1_b32 s0, s0, exec_lo
.LBB0_986:                              ;   in Loop: Header=BB0_982 Depth=2
	s_or_b32 exec_lo, exec_lo, s12
	s_delay_alu instid0(SALU_CYCLE_1) | instskip(NEXT) | instid1(SALU_CYCLE_1)
	s_and_b32 s0, exec_lo, s0
	s_or_b32 s6, s0, s6
	s_delay_alu instid0(SALU_CYCLE_1)
	s_and_not1_b32 exec_lo, exec_lo, s6
	s_cbranch_execnz .LBB0_982
; %bb.987:                              ;   in Loop: Header=BB0_982 Depth=2
	s_or_b32 exec_lo, exec_lo, s6
	s_wait_loadcnt 0x0
	v_dual_mov_b32 v7, v8 :: v_dual_mov_b32 v1, 0
	s_mov_b32 s6, 0
	s_delay_alu instid0(VALU_DEP_1) | instskip(SKIP_1) | instid1(SALU_CYCLE_1)
	v_cmp_eq_u64_e32 vcc_lo, s[4:5], v[6:7]
	s_or_b32 s1, vcc_lo, s1
	s_and_not1_b32 exec_lo, exec_lo, s1
	s_cbranch_execnz .LBB0_982
; %bb.988:                              ;   in Loop: Header=BB0_1 Depth=1
	s_or_b32 exec_lo, exec_lo, s1
	s_add_co_i32 s4, s2, 0x8d
	s_mov_b32 s1, s3
	s_bfe_u32 s0, s4, 0x100003
	v_dual_mov_b32 v2, s4 :: v_dual_mov_b32 v3, s4
	s_mulk_i32 s0, 0x20c5
	v_dual_mov_b32 v5, s4 :: v_dual_mov_b32 v1, 0
	s_lshr_b32 s0, s0, 20
	s_mov_b32 s5, s3
	s_mulk_i32 s0, 0x3e8
	s_delay_alu instid0(SALU_CYCLE_1) | instskip(NEXT) | instid1(SALU_CYCLE_1)
	s_sub_co_i32 s0, s4, s0
	s_and_b32 s0, s0, 0xffff
	s_delay_alu instid0(SALU_CYCLE_1) | instskip(NEXT) | instid1(SALU_CYCLE_1)
	s_lshl_b32 s0, s0, 12
	v_add_nc_u64_e32 v[6:7], s[0:1], v[10:11]
	v_add_nc_u64_e32 v[14:15], s[0:1], v[12:13]
	s_mov_b32 s1, 0
	global_store_b128 v[6:7], v[2:5], off th:TH_STORE_NT
.LBB0_989:                              ;   Parent Loop BB0_1 Depth=1
                                        ; =>  This Inner Loop Header: Depth=2
	s_wait_loadcnt 0x0
	global_load_b128 v[6:9], v[14:15], off th:TH_LOAD_NT
	v_add_nc_u32_e32 v1, 1, v1
	s_mov_b32 s0, -1
	s_mov_b32 s7, -1
	s_mov_b32 s12, exec_lo
	s_wait_xcnt 0x0
	v_cmpx_eq_u32_e32 0xf4240, v1
	s_cbranch_execz .LBB0_991
; %bb.990:                              ;   in Loop: Header=BB0_989 Depth=2
	s_wait_loadcnt 0x0
	s_wait_storecnt 0x0
	global_load_b32 v1, v4, s[10:11] scope:SCOPE_SYS
	s_wait_loadcnt 0x0
	global_inv scope:SCOPE_SYS
	v_cmp_eq_u32_e32 vcc_lo, 0, v1
	v_mov_b32_e32 v1, 0
	s_or_not1_b32 s7, vcc_lo, exec_lo
.LBB0_991:                              ;   in Loop: Header=BB0_989 Depth=2
	s_wait_xcnt 0x0
	s_or_b32 exec_lo, exec_lo, s12
	s_and_saveexec_b32 s12, s7
	s_cbranch_execz .LBB0_993
; %bb.992:                              ;   in Loop: Header=BB0_989 Depth=2
	s_wait_loadcnt 0x0
	v_cmp_eq_u32_e32 vcc_lo, s4, v7
	v_cmp_eq_u32_e64 s0, s4, v9
	s_and_b32 s0, vcc_lo, s0
	s_delay_alu instid0(SALU_CYCLE_1)
	s_or_not1_b32 s0, s0, exec_lo
.LBB0_993:                              ;   in Loop: Header=BB0_989 Depth=2
	s_or_b32 exec_lo, exec_lo, s12
	s_delay_alu instid0(SALU_CYCLE_1) | instskip(NEXT) | instid1(SALU_CYCLE_1)
	s_and_b32 s0, exec_lo, s0
	s_or_b32 s6, s0, s6
	s_delay_alu instid0(SALU_CYCLE_1)
	s_and_not1_b32 exec_lo, exec_lo, s6
	s_cbranch_execnz .LBB0_989
; %bb.994:                              ;   in Loop: Header=BB0_989 Depth=2
	s_or_b32 exec_lo, exec_lo, s6
	s_wait_loadcnt 0x0
	v_dual_mov_b32 v7, v8 :: v_dual_mov_b32 v1, 0
	s_mov_b32 s6, 0
	s_delay_alu instid0(VALU_DEP_1) | instskip(SKIP_1) | instid1(SALU_CYCLE_1)
	v_cmp_eq_u64_e32 vcc_lo, s[4:5], v[6:7]
	s_or_b32 s1, vcc_lo, s1
	s_and_not1_b32 exec_lo, exec_lo, s1
	s_cbranch_execnz .LBB0_989
; %bb.995:                              ;   in Loop: Header=BB0_1 Depth=1
	s_or_b32 exec_lo, exec_lo, s1
	s_add_co_i32 s4, s2, 0x8e
	s_mov_b32 s1, s3
	s_bfe_u32 s0, s4, 0x100003
	v_dual_mov_b32 v2, s4 :: v_dual_mov_b32 v3, s4
	s_mulk_i32 s0, 0x20c5
	v_dual_mov_b32 v5, s4 :: v_dual_mov_b32 v1, 0
	s_lshr_b32 s0, s0, 20
	s_mov_b32 s5, s3
	s_mulk_i32 s0, 0x3e8
	s_delay_alu instid0(SALU_CYCLE_1) | instskip(NEXT) | instid1(SALU_CYCLE_1)
	s_sub_co_i32 s0, s4, s0
	s_and_b32 s0, s0, 0xffff
	s_delay_alu instid0(SALU_CYCLE_1) | instskip(NEXT) | instid1(SALU_CYCLE_1)
	s_lshl_b32 s0, s0, 12
	v_add_nc_u64_e32 v[6:7], s[0:1], v[10:11]
	v_add_nc_u64_e32 v[14:15], s[0:1], v[12:13]
	s_mov_b32 s1, 0
	global_store_b128 v[6:7], v[2:5], off th:TH_STORE_NT
.LBB0_996:                              ;   Parent Loop BB0_1 Depth=1
                                        ; =>  This Inner Loop Header: Depth=2
	s_wait_loadcnt 0x0
	global_load_b128 v[6:9], v[14:15], off th:TH_LOAD_NT
	v_add_nc_u32_e32 v1, 1, v1
	s_mov_b32 s0, -1
	s_mov_b32 s7, -1
	s_mov_b32 s12, exec_lo
	s_wait_xcnt 0x0
	v_cmpx_eq_u32_e32 0xf4240, v1
	s_cbranch_execz .LBB0_998
; %bb.997:                              ;   in Loop: Header=BB0_996 Depth=2
	s_wait_loadcnt 0x0
	s_wait_storecnt 0x0
	global_load_b32 v1, v4, s[10:11] scope:SCOPE_SYS
	s_wait_loadcnt 0x0
	global_inv scope:SCOPE_SYS
	v_cmp_eq_u32_e32 vcc_lo, 0, v1
	v_mov_b32_e32 v1, 0
	s_or_not1_b32 s7, vcc_lo, exec_lo
.LBB0_998:                              ;   in Loop: Header=BB0_996 Depth=2
	s_wait_xcnt 0x0
	s_or_b32 exec_lo, exec_lo, s12
	s_and_saveexec_b32 s12, s7
	s_cbranch_execz .LBB0_1000
; %bb.999:                              ;   in Loop: Header=BB0_996 Depth=2
	s_wait_loadcnt 0x0
	v_cmp_eq_u32_e32 vcc_lo, s4, v7
	v_cmp_eq_u32_e64 s0, s4, v9
	s_and_b32 s0, vcc_lo, s0
	s_delay_alu instid0(SALU_CYCLE_1)
	s_or_not1_b32 s0, s0, exec_lo
.LBB0_1000:                             ;   in Loop: Header=BB0_996 Depth=2
	s_or_b32 exec_lo, exec_lo, s12
	s_delay_alu instid0(SALU_CYCLE_1) | instskip(NEXT) | instid1(SALU_CYCLE_1)
	s_and_b32 s0, exec_lo, s0
	s_or_b32 s6, s0, s6
	s_delay_alu instid0(SALU_CYCLE_1)
	s_and_not1_b32 exec_lo, exec_lo, s6
	s_cbranch_execnz .LBB0_996
; %bb.1001:                             ;   in Loop: Header=BB0_996 Depth=2
	s_or_b32 exec_lo, exec_lo, s6
	s_wait_loadcnt 0x0
	v_dual_mov_b32 v7, v8 :: v_dual_mov_b32 v1, 0
	s_mov_b32 s6, 0
	s_delay_alu instid0(VALU_DEP_1) | instskip(SKIP_1) | instid1(SALU_CYCLE_1)
	v_cmp_eq_u64_e32 vcc_lo, s[4:5], v[6:7]
	s_or_b32 s1, vcc_lo, s1
	s_and_not1_b32 exec_lo, exec_lo, s1
	s_cbranch_execnz .LBB0_996
; %bb.1002:                             ;   in Loop: Header=BB0_1 Depth=1
	s_or_b32 exec_lo, exec_lo, s1
	s_add_co_i32 s4, s2, 0x8f
	s_mov_b32 s1, s3
	s_bfe_u32 s0, s4, 0x100003
	v_dual_mov_b32 v2, s4 :: v_dual_mov_b32 v3, s4
	s_mulk_i32 s0, 0x20c5
	v_dual_mov_b32 v5, s4 :: v_dual_mov_b32 v1, 0
	s_lshr_b32 s0, s0, 20
	s_mov_b32 s5, s3
	s_mulk_i32 s0, 0x3e8
	s_delay_alu instid0(SALU_CYCLE_1) | instskip(NEXT) | instid1(SALU_CYCLE_1)
	s_sub_co_i32 s0, s4, s0
	s_and_b32 s0, s0, 0xffff
	s_delay_alu instid0(SALU_CYCLE_1) | instskip(NEXT) | instid1(SALU_CYCLE_1)
	s_lshl_b32 s0, s0, 12
	v_add_nc_u64_e32 v[6:7], s[0:1], v[10:11]
	v_add_nc_u64_e32 v[14:15], s[0:1], v[12:13]
	s_mov_b32 s1, 0
	global_store_b128 v[6:7], v[2:5], off th:TH_STORE_NT
.LBB0_1003:                             ;   Parent Loop BB0_1 Depth=1
                                        ; =>  This Inner Loop Header: Depth=2
	s_wait_loadcnt 0x0
	global_load_b128 v[6:9], v[14:15], off th:TH_LOAD_NT
	v_add_nc_u32_e32 v1, 1, v1
	s_mov_b32 s0, -1
	s_mov_b32 s7, -1
	s_mov_b32 s12, exec_lo
	s_wait_xcnt 0x0
	v_cmpx_eq_u32_e32 0xf4240, v1
	s_cbranch_execz .LBB0_1005
; %bb.1004:                             ;   in Loop: Header=BB0_1003 Depth=2
	s_wait_loadcnt 0x0
	s_wait_storecnt 0x0
	global_load_b32 v1, v4, s[10:11] scope:SCOPE_SYS
	s_wait_loadcnt 0x0
	global_inv scope:SCOPE_SYS
	v_cmp_eq_u32_e32 vcc_lo, 0, v1
	v_mov_b32_e32 v1, 0
	s_or_not1_b32 s7, vcc_lo, exec_lo
.LBB0_1005:                             ;   in Loop: Header=BB0_1003 Depth=2
	s_wait_xcnt 0x0
	s_or_b32 exec_lo, exec_lo, s12
	s_and_saveexec_b32 s12, s7
	s_cbranch_execz .LBB0_1007
; %bb.1006:                             ;   in Loop: Header=BB0_1003 Depth=2
	s_wait_loadcnt 0x0
	v_cmp_eq_u32_e32 vcc_lo, s4, v7
	v_cmp_eq_u32_e64 s0, s4, v9
	s_and_b32 s0, vcc_lo, s0
	s_delay_alu instid0(SALU_CYCLE_1)
	s_or_not1_b32 s0, s0, exec_lo
.LBB0_1007:                             ;   in Loop: Header=BB0_1003 Depth=2
	s_or_b32 exec_lo, exec_lo, s12
	s_delay_alu instid0(SALU_CYCLE_1) | instskip(NEXT) | instid1(SALU_CYCLE_1)
	s_and_b32 s0, exec_lo, s0
	s_or_b32 s6, s0, s6
	s_delay_alu instid0(SALU_CYCLE_1)
	s_and_not1_b32 exec_lo, exec_lo, s6
	s_cbranch_execnz .LBB0_1003
; %bb.1008:                             ;   in Loop: Header=BB0_1003 Depth=2
	s_or_b32 exec_lo, exec_lo, s6
	s_wait_loadcnt 0x0
	v_dual_mov_b32 v7, v8 :: v_dual_mov_b32 v1, 0
	s_mov_b32 s6, 0
	s_delay_alu instid0(VALU_DEP_1) | instskip(SKIP_1) | instid1(SALU_CYCLE_1)
	v_cmp_eq_u64_e32 vcc_lo, s[4:5], v[6:7]
	s_or_b32 s1, vcc_lo, s1
	s_and_not1_b32 exec_lo, exec_lo, s1
	s_cbranch_execnz .LBB0_1003
; %bb.1009:                             ;   in Loop: Header=BB0_1 Depth=1
	s_or_b32 exec_lo, exec_lo, s1
	s_add_co_i32 s4, s2, 0x90
	s_mov_b32 s1, s3
	s_bfe_u32 s0, s4, 0x100003
	v_dual_mov_b32 v2, s4 :: v_dual_mov_b32 v3, s4
	s_mulk_i32 s0, 0x20c5
	v_dual_mov_b32 v5, s4 :: v_dual_mov_b32 v1, 0
	s_lshr_b32 s0, s0, 20
	s_mov_b32 s5, s3
	s_mulk_i32 s0, 0x3e8
	s_delay_alu instid0(SALU_CYCLE_1) | instskip(NEXT) | instid1(SALU_CYCLE_1)
	s_sub_co_i32 s0, s4, s0
	s_and_b32 s0, s0, 0xffff
	s_delay_alu instid0(SALU_CYCLE_1) | instskip(NEXT) | instid1(SALU_CYCLE_1)
	s_lshl_b32 s0, s0, 12
	v_add_nc_u64_e32 v[6:7], s[0:1], v[10:11]
	v_add_nc_u64_e32 v[14:15], s[0:1], v[12:13]
	s_mov_b32 s1, 0
	global_store_b128 v[6:7], v[2:5], off th:TH_STORE_NT
.LBB0_1010:                             ;   Parent Loop BB0_1 Depth=1
                                        ; =>  This Inner Loop Header: Depth=2
	s_wait_loadcnt 0x0
	global_load_b128 v[6:9], v[14:15], off th:TH_LOAD_NT
	v_add_nc_u32_e32 v1, 1, v1
	s_mov_b32 s0, -1
	s_mov_b32 s7, -1
	s_mov_b32 s12, exec_lo
	s_wait_xcnt 0x0
	v_cmpx_eq_u32_e32 0xf4240, v1
	s_cbranch_execz .LBB0_1012
; %bb.1011:                             ;   in Loop: Header=BB0_1010 Depth=2
	s_wait_loadcnt 0x0
	s_wait_storecnt 0x0
	global_load_b32 v1, v4, s[10:11] scope:SCOPE_SYS
	s_wait_loadcnt 0x0
	global_inv scope:SCOPE_SYS
	v_cmp_eq_u32_e32 vcc_lo, 0, v1
	v_mov_b32_e32 v1, 0
	s_or_not1_b32 s7, vcc_lo, exec_lo
.LBB0_1012:                             ;   in Loop: Header=BB0_1010 Depth=2
	s_wait_xcnt 0x0
	s_or_b32 exec_lo, exec_lo, s12
	s_and_saveexec_b32 s12, s7
	s_cbranch_execz .LBB0_1014
; %bb.1013:                             ;   in Loop: Header=BB0_1010 Depth=2
	s_wait_loadcnt 0x0
	v_cmp_eq_u32_e32 vcc_lo, s4, v7
	v_cmp_eq_u32_e64 s0, s4, v9
	s_and_b32 s0, vcc_lo, s0
	s_delay_alu instid0(SALU_CYCLE_1)
	s_or_not1_b32 s0, s0, exec_lo
.LBB0_1014:                             ;   in Loop: Header=BB0_1010 Depth=2
	s_or_b32 exec_lo, exec_lo, s12
	s_delay_alu instid0(SALU_CYCLE_1) | instskip(NEXT) | instid1(SALU_CYCLE_1)
	s_and_b32 s0, exec_lo, s0
	s_or_b32 s6, s0, s6
	s_delay_alu instid0(SALU_CYCLE_1)
	s_and_not1_b32 exec_lo, exec_lo, s6
	s_cbranch_execnz .LBB0_1010
; %bb.1015:                             ;   in Loop: Header=BB0_1010 Depth=2
	s_or_b32 exec_lo, exec_lo, s6
	s_wait_loadcnt 0x0
	v_dual_mov_b32 v7, v8 :: v_dual_mov_b32 v1, 0
	s_mov_b32 s6, 0
	s_delay_alu instid0(VALU_DEP_1) | instskip(SKIP_1) | instid1(SALU_CYCLE_1)
	v_cmp_eq_u64_e32 vcc_lo, s[4:5], v[6:7]
	s_or_b32 s1, vcc_lo, s1
	s_and_not1_b32 exec_lo, exec_lo, s1
	s_cbranch_execnz .LBB0_1010
; %bb.1016:                             ;   in Loop: Header=BB0_1 Depth=1
	s_or_b32 exec_lo, exec_lo, s1
	s_add_co_i32 s4, s2, 0x91
	s_mov_b32 s1, s3
	s_bfe_u32 s0, s4, 0x100003
	v_dual_mov_b32 v2, s4 :: v_dual_mov_b32 v3, s4
	s_mulk_i32 s0, 0x20c5
	v_dual_mov_b32 v5, s4 :: v_dual_mov_b32 v1, 0
	s_lshr_b32 s0, s0, 20
	s_mov_b32 s5, s3
	s_mulk_i32 s0, 0x3e8
	s_delay_alu instid0(SALU_CYCLE_1) | instskip(NEXT) | instid1(SALU_CYCLE_1)
	s_sub_co_i32 s0, s4, s0
	s_and_b32 s0, s0, 0xffff
	s_delay_alu instid0(SALU_CYCLE_1) | instskip(NEXT) | instid1(SALU_CYCLE_1)
	s_lshl_b32 s0, s0, 12
	v_add_nc_u64_e32 v[6:7], s[0:1], v[10:11]
	v_add_nc_u64_e32 v[14:15], s[0:1], v[12:13]
	s_mov_b32 s1, 0
	global_store_b128 v[6:7], v[2:5], off th:TH_STORE_NT
.LBB0_1017:                             ;   Parent Loop BB0_1 Depth=1
                                        ; =>  This Inner Loop Header: Depth=2
	s_wait_loadcnt 0x0
	global_load_b128 v[6:9], v[14:15], off th:TH_LOAD_NT
	v_add_nc_u32_e32 v1, 1, v1
	s_mov_b32 s0, -1
	s_mov_b32 s7, -1
	s_mov_b32 s12, exec_lo
	s_wait_xcnt 0x0
	v_cmpx_eq_u32_e32 0xf4240, v1
	s_cbranch_execz .LBB0_1019
; %bb.1018:                             ;   in Loop: Header=BB0_1017 Depth=2
	s_wait_loadcnt 0x0
	s_wait_storecnt 0x0
	global_load_b32 v1, v4, s[10:11] scope:SCOPE_SYS
	s_wait_loadcnt 0x0
	global_inv scope:SCOPE_SYS
	v_cmp_eq_u32_e32 vcc_lo, 0, v1
	v_mov_b32_e32 v1, 0
	s_or_not1_b32 s7, vcc_lo, exec_lo
.LBB0_1019:                             ;   in Loop: Header=BB0_1017 Depth=2
	s_wait_xcnt 0x0
	s_or_b32 exec_lo, exec_lo, s12
	s_and_saveexec_b32 s12, s7
	s_cbranch_execz .LBB0_1021
; %bb.1020:                             ;   in Loop: Header=BB0_1017 Depth=2
	s_wait_loadcnt 0x0
	v_cmp_eq_u32_e32 vcc_lo, s4, v7
	v_cmp_eq_u32_e64 s0, s4, v9
	s_and_b32 s0, vcc_lo, s0
	s_delay_alu instid0(SALU_CYCLE_1)
	s_or_not1_b32 s0, s0, exec_lo
.LBB0_1021:                             ;   in Loop: Header=BB0_1017 Depth=2
	s_or_b32 exec_lo, exec_lo, s12
	s_delay_alu instid0(SALU_CYCLE_1) | instskip(NEXT) | instid1(SALU_CYCLE_1)
	s_and_b32 s0, exec_lo, s0
	s_or_b32 s6, s0, s6
	s_delay_alu instid0(SALU_CYCLE_1)
	s_and_not1_b32 exec_lo, exec_lo, s6
	s_cbranch_execnz .LBB0_1017
; %bb.1022:                             ;   in Loop: Header=BB0_1017 Depth=2
	s_or_b32 exec_lo, exec_lo, s6
	s_wait_loadcnt 0x0
	v_dual_mov_b32 v7, v8 :: v_dual_mov_b32 v1, 0
	s_mov_b32 s6, 0
	s_delay_alu instid0(VALU_DEP_1) | instskip(SKIP_1) | instid1(SALU_CYCLE_1)
	v_cmp_eq_u64_e32 vcc_lo, s[4:5], v[6:7]
	s_or_b32 s1, vcc_lo, s1
	s_and_not1_b32 exec_lo, exec_lo, s1
	s_cbranch_execnz .LBB0_1017
; %bb.1023:                             ;   in Loop: Header=BB0_1 Depth=1
	s_or_b32 exec_lo, exec_lo, s1
	s_add_co_i32 s4, s2, 0x92
	s_mov_b32 s1, s3
	s_bfe_u32 s0, s4, 0x100003
	v_dual_mov_b32 v2, s4 :: v_dual_mov_b32 v3, s4
	s_mulk_i32 s0, 0x20c5
	v_dual_mov_b32 v5, s4 :: v_dual_mov_b32 v1, 0
	s_lshr_b32 s0, s0, 20
	s_mov_b32 s5, s3
	s_mulk_i32 s0, 0x3e8
	s_delay_alu instid0(SALU_CYCLE_1) | instskip(NEXT) | instid1(SALU_CYCLE_1)
	s_sub_co_i32 s0, s4, s0
	s_and_b32 s0, s0, 0xffff
	s_delay_alu instid0(SALU_CYCLE_1) | instskip(NEXT) | instid1(SALU_CYCLE_1)
	s_lshl_b32 s0, s0, 12
	v_add_nc_u64_e32 v[6:7], s[0:1], v[10:11]
	v_add_nc_u64_e32 v[14:15], s[0:1], v[12:13]
	s_mov_b32 s1, 0
	global_store_b128 v[6:7], v[2:5], off th:TH_STORE_NT
.LBB0_1024:                             ;   Parent Loop BB0_1 Depth=1
                                        ; =>  This Inner Loop Header: Depth=2
	s_wait_loadcnt 0x0
	global_load_b128 v[6:9], v[14:15], off th:TH_LOAD_NT
	v_add_nc_u32_e32 v1, 1, v1
	s_mov_b32 s0, -1
	s_mov_b32 s7, -1
	s_mov_b32 s12, exec_lo
	s_wait_xcnt 0x0
	v_cmpx_eq_u32_e32 0xf4240, v1
	s_cbranch_execz .LBB0_1026
; %bb.1025:                             ;   in Loop: Header=BB0_1024 Depth=2
	s_wait_loadcnt 0x0
	s_wait_storecnt 0x0
	global_load_b32 v1, v4, s[10:11] scope:SCOPE_SYS
	s_wait_loadcnt 0x0
	global_inv scope:SCOPE_SYS
	v_cmp_eq_u32_e32 vcc_lo, 0, v1
	v_mov_b32_e32 v1, 0
	s_or_not1_b32 s7, vcc_lo, exec_lo
.LBB0_1026:                             ;   in Loop: Header=BB0_1024 Depth=2
	s_wait_xcnt 0x0
	s_or_b32 exec_lo, exec_lo, s12
	s_and_saveexec_b32 s12, s7
	s_cbranch_execz .LBB0_1028
; %bb.1027:                             ;   in Loop: Header=BB0_1024 Depth=2
	s_wait_loadcnt 0x0
	v_cmp_eq_u32_e32 vcc_lo, s4, v7
	v_cmp_eq_u32_e64 s0, s4, v9
	s_and_b32 s0, vcc_lo, s0
	s_delay_alu instid0(SALU_CYCLE_1)
	s_or_not1_b32 s0, s0, exec_lo
.LBB0_1028:                             ;   in Loop: Header=BB0_1024 Depth=2
	s_or_b32 exec_lo, exec_lo, s12
	s_delay_alu instid0(SALU_CYCLE_1) | instskip(NEXT) | instid1(SALU_CYCLE_1)
	s_and_b32 s0, exec_lo, s0
	s_or_b32 s6, s0, s6
	s_delay_alu instid0(SALU_CYCLE_1)
	s_and_not1_b32 exec_lo, exec_lo, s6
	s_cbranch_execnz .LBB0_1024
; %bb.1029:                             ;   in Loop: Header=BB0_1024 Depth=2
	s_or_b32 exec_lo, exec_lo, s6
	s_wait_loadcnt 0x0
	v_dual_mov_b32 v7, v8 :: v_dual_mov_b32 v1, 0
	s_mov_b32 s6, 0
	s_delay_alu instid0(VALU_DEP_1) | instskip(SKIP_1) | instid1(SALU_CYCLE_1)
	v_cmp_eq_u64_e32 vcc_lo, s[4:5], v[6:7]
	s_or_b32 s1, vcc_lo, s1
	s_and_not1_b32 exec_lo, exec_lo, s1
	s_cbranch_execnz .LBB0_1024
; %bb.1030:                             ;   in Loop: Header=BB0_1 Depth=1
	s_or_b32 exec_lo, exec_lo, s1
	s_add_co_i32 s4, s2, 0x93
	s_mov_b32 s1, s3
	s_bfe_u32 s0, s4, 0x100003
	v_dual_mov_b32 v2, s4 :: v_dual_mov_b32 v3, s4
	s_mulk_i32 s0, 0x20c5
	v_dual_mov_b32 v5, s4 :: v_dual_mov_b32 v1, 0
	s_lshr_b32 s0, s0, 20
	s_mov_b32 s5, s3
	s_mulk_i32 s0, 0x3e8
	s_delay_alu instid0(SALU_CYCLE_1) | instskip(NEXT) | instid1(SALU_CYCLE_1)
	s_sub_co_i32 s0, s4, s0
	s_and_b32 s0, s0, 0xffff
	s_delay_alu instid0(SALU_CYCLE_1) | instskip(NEXT) | instid1(SALU_CYCLE_1)
	s_lshl_b32 s0, s0, 12
	v_add_nc_u64_e32 v[6:7], s[0:1], v[10:11]
	v_add_nc_u64_e32 v[14:15], s[0:1], v[12:13]
	s_mov_b32 s1, 0
	global_store_b128 v[6:7], v[2:5], off th:TH_STORE_NT
.LBB0_1031:                             ;   Parent Loop BB0_1 Depth=1
                                        ; =>  This Inner Loop Header: Depth=2
	s_wait_loadcnt 0x0
	global_load_b128 v[6:9], v[14:15], off th:TH_LOAD_NT
	v_add_nc_u32_e32 v1, 1, v1
	s_mov_b32 s0, -1
	s_mov_b32 s7, -1
	s_mov_b32 s12, exec_lo
	s_wait_xcnt 0x0
	v_cmpx_eq_u32_e32 0xf4240, v1
	s_cbranch_execz .LBB0_1033
; %bb.1032:                             ;   in Loop: Header=BB0_1031 Depth=2
	s_wait_loadcnt 0x0
	s_wait_storecnt 0x0
	global_load_b32 v1, v4, s[10:11] scope:SCOPE_SYS
	s_wait_loadcnt 0x0
	global_inv scope:SCOPE_SYS
	v_cmp_eq_u32_e32 vcc_lo, 0, v1
	v_mov_b32_e32 v1, 0
	s_or_not1_b32 s7, vcc_lo, exec_lo
.LBB0_1033:                             ;   in Loop: Header=BB0_1031 Depth=2
	s_wait_xcnt 0x0
	s_or_b32 exec_lo, exec_lo, s12
	s_and_saveexec_b32 s12, s7
	s_cbranch_execz .LBB0_1035
; %bb.1034:                             ;   in Loop: Header=BB0_1031 Depth=2
	s_wait_loadcnt 0x0
	v_cmp_eq_u32_e32 vcc_lo, s4, v7
	v_cmp_eq_u32_e64 s0, s4, v9
	s_and_b32 s0, vcc_lo, s0
	s_delay_alu instid0(SALU_CYCLE_1)
	s_or_not1_b32 s0, s0, exec_lo
.LBB0_1035:                             ;   in Loop: Header=BB0_1031 Depth=2
	s_or_b32 exec_lo, exec_lo, s12
	s_delay_alu instid0(SALU_CYCLE_1) | instskip(NEXT) | instid1(SALU_CYCLE_1)
	s_and_b32 s0, exec_lo, s0
	s_or_b32 s6, s0, s6
	s_delay_alu instid0(SALU_CYCLE_1)
	s_and_not1_b32 exec_lo, exec_lo, s6
	s_cbranch_execnz .LBB0_1031
; %bb.1036:                             ;   in Loop: Header=BB0_1031 Depth=2
	s_or_b32 exec_lo, exec_lo, s6
	s_wait_loadcnt 0x0
	v_dual_mov_b32 v7, v8 :: v_dual_mov_b32 v1, 0
	s_mov_b32 s6, 0
	s_delay_alu instid0(VALU_DEP_1) | instskip(SKIP_1) | instid1(SALU_CYCLE_1)
	v_cmp_eq_u64_e32 vcc_lo, s[4:5], v[6:7]
	s_or_b32 s1, vcc_lo, s1
	s_and_not1_b32 exec_lo, exec_lo, s1
	s_cbranch_execnz .LBB0_1031
; %bb.1037:                             ;   in Loop: Header=BB0_1 Depth=1
	s_or_b32 exec_lo, exec_lo, s1
	s_add_co_i32 s4, s2, 0x94
	s_mov_b32 s1, s3
	s_bfe_u32 s0, s4, 0x100003
	v_dual_mov_b32 v2, s4 :: v_dual_mov_b32 v3, s4
	s_mulk_i32 s0, 0x20c5
	v_dual_mov_b32 v5, s4 :: v_dual_mov_b32 v1, 0
	s_lshr_b32 s0, s0, 20
	s_mov_b32 s5, s3
	s_mulk_i32 s0, 0x3e8
	s_delay_alu instid0(SALU_CYCLE_1) | instskip(NEXT) | instid1(SALU_CYCLE_1)
	s_sub_co_i32 s0, s4, s0
	s_and_b32 s0, s0, 0xffff
	s_delay_alu instid0(SALU_CYCLE_1) | instskip(NEXT) | instid1(SALU_CYCLE_1)
	s_lshl_b32 s0, s0, 12
	v_add_nc_u64_e32 v[6:7], s[0:1], v[10:11]
	v_add_nc_u64_e32 v[14:15], s[0:1], v[12:13]
	s_mov_b32 s1, 0
	global_store_b128 v[6:7], v[2:5], off th:TH_STORE_NT
.LBB0_1038:                             ;   Parent Loop BB0_1 Depth=1
                                        ; =>  This Inner Loop Header: Depth=2
	s_wait_loadcnt 0x0
	global_load_b128 v[6:9], v[14:15], off th:TH_LOAD_NT
	v_add_nc_u32_e32 v1, 1, v1
	s_mov_b32 s0, -1
	s_mov_b32 s7, -1
	s_mov_b32 s12, exec_lo
	s_wait_xcnt 0x0
	v_cmpx_eq_u32_e32 0xf4240, v1
	s_cbranch_execz .LBB0_1040
; %bb.1039:                             ;   in Loop: Header=BB0_1038 Depth=2
	s_wait_loadcnt 0x0
	s_wait_storecnt 0x0
	global_load_b32 v1, v4, s[10:11] scope:SCOPE_SYS
	s_wait_loadcnt 0x0
	global_inv scope:SCOPE_SYS
	v_cmp_eq_u32_e32 vcc_lo, 0, v1
	v_mov_b32_e32 v1, 0
	s_or_not1_b32 s7, vcc_lo, exec_lo
.LBB0_1040:                             ;   in Loop: Header=BB0_1038 Depth=2
	s_wait_xcnt 0x0
	s_or_b32 exec_lo, exec_lo, s12
	s_and_saveexec_b32 s12, s7
	s_cbranch_execz .LBB0_1042
; %bb.1041:                             ;   in Loop: Header=BB0_1038 Depth=2
	s_wait_loadcnt 0x0
	v_cmp_eq_u32_e32 vcc_lo, s4, v7
	v_cmp_eq_u32_e64 s0, s4, v9
	s_and_b32 s0, vcc_lo, s0
	s_delay_alu instid0(SALU_CYCLE_1)
	s_or_not1_b32 s0, s0, exec_lo
.LBB0_1042:                             ;   in Loop: Header=BB0_1038 Depth=2
	s_or_b32 exec_lo, exec_lo, s12
	s_delay_alu instid0(SALU_CYCLE_1) | instskip(NEXT) | instid1(SALU_CYCLE_1)
	s_and_b32 s0, exec_lo, s0
	s_or_b32 s6, s0, s6
	s_delay_alu instid0(SALU_CYCLE_1)
	s_and_not1_b32 exec_lo, exec_lo, s6
	s_cbranch_execnz .LBB0_1038
; %bb.1043:                             ;   in Loop: Header=BB0_1038 Depth=2
	s_or_b32 exec_lo, exec_lo, s6
	s_wait_loadcnt 0x0
	v_dual_mov_b32 v7, v8 :: v_dual_mov_b32 v1, 0
	s_mov_b32 s6, 0
	s_delay_alu instid0(VALU_DEP_1) | instskip(SKIP_1) | instid1(SALU_CYCLE_1)
	v_cmp_eq_u64_e32 vcc_lo, s[4:5], v[6:7]
	s_or_b32 s1, vcc_lo, s1
	s_and_not1_b32 exec_lo, exec_lo, s1
	s_cbranch_execnz .LBB0_1038
; %bb.1044:                             ;   in Loop: Header=BB0_1 Depth=1
	s_or_b32 exec_lo, exec_lo, s1
	s_add_co_i32 s4, s2, 0x95
	s_mov_b32 s1, s3
	s_bfe_u32 s0, s4, 0x100003
	v_dual_mov_b32 v2, s4 :: v_dual_mov_b32 v3, s4
	s_mulk_i32 s0, 0x20c5
	v_dual_mov_b32 v5, s4 :: v_dual_mov_b32 v1, 0
	s_lshr_b32 s0, s0, 20
	s_mov_b32 s5, s3
	s_mulk_i32 s0, 0x3e8
	s_delay_alu instid0(SALU_CYCLE_1) | instskip(NEXT) | instid1(SALU_CYCLE_1)
	s_sub_co_i32 s0, s4, s0
	s_and_b32 s0, s0, 0xffff
	s_delay_alu instid0(SALU_CYCLE_1) | instskip(NEXT) | instid1(SALU_CYCLE_1)
	s_lshl_b32 s0, s0, 12
	v_add_nc_u64_e32 v[6:7], s[0:1], v[10:11]
	v_add_nc_u64_e32 v[14:15], s[0:1], v[12:13]
	s_mov_b32 s1, 0
	global_store_b128 v[6:7], v[2:5], off th:TH_STORE_NT
.LBB0_1045:                             ;   Parent Loop BB0_1 Depth=1
                                        ; =>  This Inner Loop Header: Depth=2
	s_wait_loadcnt 0x0
	global_load_b128 v[6:9], v[14:15], off th:TH_LOAD_NT
	v_add_nc_u32_e32 v1, 1, v1
	s_mov_b32 s0, -1
	s_mov_b32 s7, -1
	s_mov_b32 s12, exec_lo
	s_wait_xcnt 0x0
	v_cmpx_eq_u32_e32 0xf4240, v1
	s_cbranch_execz .LBB0_1047
; %bb.1046:                             ;   in Loop: Header=BB0_1045 Depth=2
	s_wait_loadcnt 0x0
	s_wait_storecnt 0x0
	global_load_b32 v1, v4, s[10:11] scope:SCOPE_SYS
	s_wait_loadcnt 0x0
	global_inv scope:SCOPE_SYS
	v_cmp_eq_u32_e32 vcc_lo, 0, v1
	v_mov_b32_e32 v1, 0
	s_or_not1_b32 s7, vcc_lo, exec_lo
.LBB0_1047:                             ;   in Loop: Header=BB0_1045 Depth=2
	s_wait_xcnt 0x0
	s_or_b32 exec_lo, exec_lo, s12
	s_and_saveexec_b32 s12, s7
	s_cbranch_execz .LBB0_1049
; %bb.1048:                             ;   in Loop: Header=BB0_1045 Depth=2
	s_wait_loadcnt 0x0
	v_cmp_eq_u32_e32 vcc_lo, s4, v7
	v_cmp_eq_u32_e64 s0, s4, v9
	s_and_b32 s0, vcc_lo, s0
	s_delay_alu instid0(SALU_CYCLE_1)
	s_or_not1_b32 s0, s0, exec_lo
.LBB0_1049:                             ;   in Loop: Header=BB0_1045 Depth=2
	s_or_b32 exec_lo, exec_lo, s12
	s_delay_alu instid0(SALU_CYCLE_1) | instskip(NEXT) | instid1(SALU_CYCLE_1)
	s_and_b32 s0, exec_lo, s0
	s_or_b32 s6, s0, s6
	s_delay_alu instid0(SALU_CYCLE_1)
	s_and_not1_b32 exec_lo, exec_lo, s6
	s_cbranch_execnz .LBB0_1045
; %bb.1050:                             ;   in Loop: Header=BB0_1045 Depth=2
	s_or_b32 exec_lo, exec_lo, s6
	s_wait_loadcnt 0x0
	v_dual_mov_b32 v7, v8 :: v_dual_mov_b32 v1, 0
	s_mov_b32 s6, 0
	s_delay_alu instid0(VALU_DEP_1) | instskip(SKIP_1) | instid1(SALU_CYCLE_1)
	v_cmp_eq_u64_e32 vcc_lo, s[4:5], v[6:7]
	s_or_b32 s1, vcc_lo, s1
	s_and_not1_b32 exec_lo, exec_lo, s1
	s_cbranch_execnz .LBB0_1045
; %bb.1051:                             ;   in Loop: Header=BB0_1 Depth=1
	s_or_b32 exec_lo, exec_lo, s1
	s_add_co_i32 s4, s2, 0x96
	s_mov_b32 s1, s3
	s_bfe_u32 s0, s4, 0x100003
	v_dual_mov_b32 v2, s4 :: v_dual_mov_b32 v3, s4
	s_mulk_i32 s0, 0x20c5
	v_dual_mov_b32 v5, s4 :: v_dual_mov_b32 v1, 0
	s_lshr_b32 s0, s0, 20
	s_mov_b32 s5, s3
	s_mulk_i32 s0, 0x3e8
	s_delay_alu instid0(SALU_CYCLE_1) | instskip(NEXT) | instid1(SALU_CYCLE_1)
	s_sub_co_i32 s0, s4, s0
	s_and_b32 s0, s0, 0xffff
	s_delay_alu instid0(SALU_CYCLE_1) | instskip(NEXT) | instid1(SALU_CYCLE_1)
	s_lshl_b32 s0, s0, 12
	v_add_nc_u64_e32 v[6:7], s[0:1], v[10:11]
	v_add_nc_u64_e32 v[14:15], s[0:1], v[12:13]
	s_mov_b32 s1, 0
	global_store_b128 v[6:7], v[2:5], off th:TH_STORE_NT
.LBB0_1052:                             ;   Parent Loop BB0_1 Depth=1
                                        ; =>  This Inner Loop Header: Depth=2
	s_wait_loadcnt 0x0
	global_load_b128 v[6:9], v[14:15], off th:TH_LOAD_NT
	v_add_nc_u32_e32 v1, 1, v1
	s_mov_b32 s0, -1
	s_mov_b32 s7, -1
	s_mov_b32 s12, exec_lo
	s_wait_xcnt 0x0
	v_cmpx_eq_u32_e32 0xf4240, v1
	s_cbranch_execz .LBB0_1054
; %bb.1053:                             ;   in Loop: Header=BB0_1052 Depth=2
	s_wait_loadcnt 0x0
	s_wait_storecnt 0x0
	global_load_b32 v1, v4, s[10:11] scope:SCOPE_SYS
	s_wait_loadcnt 0x0
	global_inv scope:SCOPE_SYS
	v_cmp_eq_u32_e32 vcc_lo, 0, v1
	v_mov_b32_e32 v1, 0
	s_or_not1_b32 s7, vcc_lo, exec_lo
.LBB0_1054:                             ;   in Loop: Header=BB0_1052 Depth=2
	s_wait_xcnt 0x0
	s_or_b32 exec_lo, exec_lo, s12
	s_and_saveexec_b32 s12, s7
	s_cbranch_execz .LBB0_1056
; %bb.1055:                             ;   in Loop: Header=BB0_1052 Depth=2
	s_wait_loadcnt 0x0
	v_cmp_eq_u32_e32 vcc_lo, s4, v7
	v_cmp_eq_u32_e64 s0, s4, v9
	s_and_b32 s0, vcc_lo, s0
	s_delay_alu instid0(SALU_CYCLE_1)
	s_or_not1_b32 s0, s0, exec_lo
.LBB0_1056:                             ;   in Loop: Header=BB0_1052 Depth=2
	s_or_b32 exec_lo, exec_lo, s12
	s_delay_alu instid0(SALU_CYCLE_1) | instskip(NEXT) | instid1(SALU_CYCLE_1)
	s_and_b32 s0, exec_lo, s0
	s_or_b32 s6, s0, s6
	s_delay_alu instid0(SALU_CYCLE_1)
	s_and_not1_b32 exec_lo, exec_lo, s6
	s_cbranch_execnz .LBB0_1052
; %bb.1057:                             ;   in Loop: Header=BB0_1052 Depth=2
	s_or_b32 exec_lo, exec_lo, s6
	s_wait_loadcnt 0x0
	v_dual_mov_b32 v7, v8 :: v_dual_mov_b32 v1, 0
	s_mov_b32 s6, 0
	s_delay_alu instid0(VALU_DEP_1) | instskip(SKIP_1) | instid1(SALU_CYCLE_1)
	v_cmp_eq_u64_e32 vcc_lo, s[4:5], v[6:7]
	s_or_b32 s1, vcc_lo, s1
	s_and_not1_b32 exec_lo, exec_lo, s1
	s_cbranch_execnz .LBB0_1052
; %bb.1058:                             ;   in Loop: Header=BB0_1 Depth=1
	s_or_b32 exec_lo, exec_lo, s1
	s_add_co_i32 s4, s2, 0x97
	s_mov_b32 s1, s3
	s_bfe_u32 s0, s4, 0x100003
	v_dual_mov_b32 v2, s4 :: v_dual_mov_b32 v3, s4
	s_mulk_i32 s0, 0x20c5
	v_dual_mov_b32 v5, s4 :: v_dual_mov_b32 v1, 0
	s_lshr_b32 s0, s0, 20
	s_mov_b32 s5, s3
	s_mulk_i32 s0, 0x3e8
	s_delay_alu instid0(SALU_CYCLE_1) | instskip(NEXT) | instid1(SALU_CYCLE_1)
	s_sub_co_i32 s0, s4, s0
	s_and_b32 s0, s0, 0xffff
	s_delay_alu instid0(SALU_CYCLE_1) | instskip(NEXT) | instid1(SALU_CYCLE_1)
	s_lshl_b32 s0, s0, 12
	v_add_nc_u64_e32 v[6:7], s[0:1], v[10:11]
	v_add_nc_u64_e32 v[14:15], s[0:1], v[12:13]
	s_mov_b32 s1, 0
	global_store_b128 v[6:7], v[2:5], off th:TH_STORE_NT
.LBB0_1059:                             ;   Parent Loop BB0_1 Depth=1
                                        ; =>  This Inner Loop Header: Depth=2
	s_wait_loadcnt 0x0
	global_load_b128 v[6:9], v[14:15], off th:TH_LOAD_NT
	v_add_nc_u32_e32 v1, 1, v1
	s_mov_b32 s0, -1
	s_mov_b32 s7, -1
	s_mov_b32 s12, exec_lo
	s_wait_xcnt 0x0
	v_cmpx_eq_u32_e32 0xf4240, v1
	s_cbranch_execz .LBB0_1061
; %bb.1060:                             ;   in Loop: Header=BB0_1059 Depth=2
	s_wait_loadcnt 0x0
	s_wait_storecnt 0x0
	global_load_b32 v1, v4, s[10:11] scope:SCOPE_SYS
	s_wait_loadcnt 0x0
	global_inv scope:SCOPE_SYS
	v_cmp_eq_u32_e32 vcc_lo, 0, v1
	v_mov_b32_e32 v1, 0
	s_or_not1_b32 s7, vcc_lo, exec_lo
.LBB0_1061:                             ;   in Loop: Header=BB0_1059 Depth=2
	s_wait_xcnt 0x0
	s_or_b32 exec_lo, exec_lo, s12
	s_and_saveexec_b32 s12, s7
	s_cbranch_execz .LBB0_1063
; %bb.1062:                             ;   in Loop: Header=BB0_1059 Depth=2
	s_wait_loadcnt 0x0
	v_cmp_eq_u32_e32 vcc_lo, s4, v7
	v_cmp_eq_u32_e64 s0, s4, v9
	s_and_b32 s0, vcc_lo, s0
	s_delay_alu instid0(SALU_CYCLE_1)
	s_or_not1_b32 s0, s0, exec_lo
.LBB0_1063:                             ;   in Loop: Header=BB0_1059 Depth=2
	s_or_b32 exec_lo, exec_lo, s12
	s_delay_alu instid0(SALU_CYCLE_1) | instskip(NEXT) | instid1(SALU_CYCLE_1)
	s_and_b32 s0, exec_lo, s0
	s_or_b32 s6, s0, s6
	s_delay_alu instid0(SALU_CYCLE_1)
	s_and_not1_b32 exec_lo, exec_lo, s6
	s_cbranch_execnz .LBB0_1059
; %bb.1064:                             ;   in Loop: Header=BB0_1059 Depth=2
	s_or_b32 exec_lo, exec_lo, s6
	s_wait_loadcnt 0x0
	v_dual_mov_b32 v7, v8 :: v_dual_mov_b32 v1, 0
	s_mov_b32 s6, 0
	s_delay_alu instid0(VALU_DEP_1) | instskip(SKIP_1) | instid1(SALU_CYCLE_1)
	v_cmp_eq_u64_e32 vcc_lo, s[4:5], v[6:7]
	s_or_b32 s1, vcc_lo, s1
	s_and_not1_b32 exec_lo, exec_lo, s1
	s_cbranch_execnz .LBB0_1059
; %bb.1065:                             ;   in Loop: Header=BB0_1 Depth=1
	s_or_b32 exec_lo, exec_lo, s1
	s_add_co_i32 s4, s2, 0x98
	s_mov_b32 s1, s3
	s_bfe_u32 s0, s4, 0x100003
	v_dual_mov_b32 v2, s4 :: v_dual_mov_b32 v3, s4
	s_mulk_i32 s0, 0x20c5
	v_dual_mov_b32 v5, s4 :: v_dual_mov_b32 v1, 0
	s_lshr_b32 s0, s0, 20
	s_mov_b32 s5, s3
	s_mulk_i32 s0, 0x3e8
	s_delay_alu instid0(SALU_CYCLE_1) | instskip(NEXT) | instid1(SALU_CYCLE_1)
	s_sub_co_i32 s0, s4, s0
	s_and_b32 s0, s0, 0xffff
	s_delay_alu instid0(SALU_CYCLE_1) | instskip(NEXT) | instid1(SALU_CYCLE_1)
	s_lshl_b32 s0, s0, 12
	v_add_nc_u64_e32 v[6:7], s[0:1], v[10:11]
	v_add_nc_u64_e32 v[14:15], s[0:1], v[12:13]
	s_mov_b32 s1, 0
	global_store_b128 v[6:7], v[2:5], off th:TH_STORE_NT
.LBB0_1066:                             ;   Parent Loop BB0_1 Depth=1
                                        ; =>  This Inner Loop Header: Depth=2
	s_wait_loadcnt 0x0
	global_load_b128 v[6:9], v[14:15], off th:TH_LOAD_NT
	v_add_nc_u32_e32 v1, 1, v1
	s_mov_b32 s0, -1
	s_mov_b32 s7, -1
	s_mov_b32 s12, exec_lo
	s_wait_xcnt 0x0
	v_cmpx_eq_u32_e32 0xf4240, v1
	s_cbranch_execz .LBB0_1068
; %bb.1067:                             ;   in Loop: Header=BB0_1066 Depth=2
	s_wait_loadcnt 0x0
	s_wait_storecnt 0x0
	global_load_b32 v1, v4, s[10:11] scope:SCOPE_SYS
	s_wait_loadcnt 0x0
	global_inv scope:SCOPE_SYS
	v_cmp_eq_u32_e32 vcc_lo, 0, v1
	v_mov_b32_e32 v1, 0
	s_or_not1_b32 s7, vcc_lo, exec_lo
.LBB0_1068:                             ;   in Loop: Header=BB0_1066 Depth=2
	s_wait_xcnt 0x0
	s_or_b32 exec_lo, exec_lo, s12
	s_and_saveexec_b32 s12, s7
	s_cbranch_execz .LBB0_1070
; %bb.1069:                             ;   in Loop: Header=BB0_1066 Depth=2
	s_wait_loadcnt 0x0
	v_cmp_eq_u32_e32 vcc_lo, s4, v7
	v_cmp_eq_u32_e64 s0, s4, v9
	s_and_b32 s0, vcc_lo, s0
	s_delay_alu instid0(SALU_CYCLE_1)
	s_or_not1_b32 s0, s0, exec_lo
.LBB0_1070:                             ;   in Loop: Header=BB0_1066 Depth=2
	s_or_b32 exec_lo, exec_lo, s12
	s_delay_alu instid0(SALU_CYCLE_1) | instskip(NEXT) | instid1(SALU_CYCLE_1)
	s_and_b32 s0, exec_lo, s0
	s_or_b32 s6, s0, s6
	s_delay_alu instid0(SALU_CYCLE_1)
	s_and_not1_b32 exec_lo, exec_lo, s6
	s_cbranch_execnz .LBB0_1066
; %bb.1071:                             ;   in Loop: Header=BB0_1066 Depth=2
	s_or_b32 exec_lo, exec_lo, s6
	s_wait_loadcnt 0x0
	v_dual_mov_b32 v7, v8 :: v_dual_mov_b32 v1, 0
	s_mov_b32 s6, 0
	s_delay_alu instid0(VALU_DEP_1) | instskip(SKIP_1) | instid1(SALU_CYCLE_1)
	v_cmp_eq_u64_e32 vcc_lo, s[4:5], v[6:7]
	s_or_b32 s1, vcc_lo, s1
	s_and_not1_b32 exec_lo, exec_lo, s1
	s_cbranch_execnz .LBB0_1066
; %bb.1072:                             ;   in Loop: Header=BB0_1 Depth=1
	s_or_b32 exec_lo, exec_lo, s1
	s_add_co_i32 s4, s2, 0x99
	s_mov_b32 s1, s3
	s_bfe_u32 s0, s4, 0x100003
	v_dual_mov_b32 v2, s4 :: v_dual_mov_b32 v3, s4
	s_mulk_i32 s0, 0x20c5
	v_dual_mov_b32 v5, s4 :: v_dual_mov_b32 v1, 0
	s_lshr_b32 s0, s0, 20
	s_mov_b32 s5, s3
	s_mulk_i32 s0, 0x3e8
	s_delay_alu instid0(SALU_CYCLE_1) | instskip(NEXT) | instid1(SALU_CYCLE_1)
	s_sub_co_i32 s0, s4, s0
	s_and_b32 s0, s0, 0xffff
	s_delay_alu instid0(SALU_CYCLE_1) | instskip(NEXT) | instid1(SALU_CYCLE_1)
	s_lshl_b32 s0, s0, 12
	v_add_nc_u64_e32 v[6:7], s[0:1], v[10:11]
	v_add_nc_u64_e32 v[14:15], s[0:1], v[12:13]
	s_mov_b32 s1, 0
	global_store_b128 v[6:7], v[2:5], off th:TH_STORE_NT
.LBB0_1073:                             ;   Parent Loop BB0_1 Depth=1
                                        ; =>  This Inner Loop Header: Depth=2
	s_wait_loadcnt 0x0
	global_load_b128 v[6:9], v[14:15], off th:TH_LOAD_NT
	v_add_nc_u32_e32 v1, 1, v1
	s_mov_b32 s0, -1
	s_mov_b32 s7, -1
	s_mov_b32 s12, exec_lo
	s_wait_xcnt 0x0
	v_cmpx_eq_u32_e32 0xf4240, v1
	s_cbranch_execz .LBB0_1075
; %bb.1074:                             ;   in Loop: Header=BB0_1073 Depth=2
	s_wait_loadcnt 0x0
	s_wait_storecnt 0x0
	global_load_b32 v1, v4, s[10:11] scope:SCOPE_SYS
	s_wait_loadcnt 0x0
	global_inv scope:SCOPE_SYS
	v_cmp_eq_u32_e32 vcc_lo, 0, v1
	v_mov_b32_e32 v1, 0
	s_or_not1_b32 s7, vcc_lo, exec_lo
.LBB0_1075:                             ;   in Loop: Header=BB0_1073 Depth=2
	s_wait_xcnt 0x0
	s_or_b32 exec_lo, exec_lo, s12
	s_and_saveexec_b32 s12, s7
	s_cbranch_execz .LBB0_1077
; %bb.1076:                             ;   in Loop: Header=BB0_1073 Depth=2
	s_wait_loadcnt 0x0
	v_cmp_eq_u32_e32 vcc_lo, s4, v7
	v_cmp_eq_u32_e64 s0, s4, v9
	s_and_b32 s0, vcc_lo, s0
	s_delay_alu instid0(SALU_CYCLE_1)
	s_or_not1_b32 s0, s0, exec_lo
.LBB0_1077:                             ;   in Loop: Header=BB0_1073 Depth=2
	s_or_b32 exec_lo, exec_lo, s12
	s_delay_alu instid0(SALU_CYCLE_1) | instskip(NEXT) | instid1(SALU_CYCLE_1)
	s_and_b32 s0, exec_lo, s0
	s_or_b32 s6, s0, s6
	s_delay_alu instid0(SALU_CYCLE_1)
	s_and_not1_b32 exec_lo, exec_lo, s6
	s_cbranch_execnz .LBB0_1073
; %bb.1078:                             ;   in Loop: Header=BB0_1073 Depth=2
	s_or_b32 exec_lo, exec_lo, s6
	s_wait_loadcnt 0x0
	v_dual_mov_b32 v7, v8 :: v_dual_mov_b32 v1, 0
	s_mov_b32 s6, 0
	s_delay_alu instid0(VALU_DEP_1) | instskip(SKIP_1) | instid1(SALU_CYCLE_1)
	v_cmp_eq_u64_e32 vcc_lo, s[4:5], v[6:7]
	s_or_b32 s1, vcc_lo, s1
	s_and_not1_b32 exec_lo, exec_lo, s1
	s_cbranch_execnz .LBB0_1073
; %bb.1079:                             ;   in Loop: Header=BB0_1 Depth=1
	s_or_b32 exec_lo, exec_lo, s1
	s_add_co_i32 s4, s2, 0x9a
	s_mov_b32 s1, s3
	s_bfe_u32 s0, s4, 0x100003
	v_dual_mov_b32 v2, s4 :: v_dual_mov_b32 v3, s4
	s_mulk_i32 s0, 0x20c5
	v_dual_mov_b32 v5, s4 :: v_dual_mov_b32 v1, 0
	s_lshr_b32 s0, s0, 20
	s_mov_b32 s5, s3
	s_mulk_i32 s0, 0x3e8
	s_delay_alu instid0(SALU_CYCLE_1) | instskip(NEXT) | instid1(SALU_CYCLE_1)
	s_sub_co_i32 s0, s4, s0
	s_and_b32 s0, s0, 0xffff
	s_delay_alu instid0(SALU_CYCLE_1) | instskip(NEXT) | instid1(SALU_CYCLE_1)
	s_lshl_b32 s0, s0, 12
	v_add_nc_u64_e32 v[6:7], s[0:1], v[10:11]
	v_add_nc_u64_e32 v[14:15], s[0:1], v[12:13]
	s_mov_b32 s1, 0
	global_store_b128 v[6:7], v[2:5], off th:TH_STORE_NT
.LBB0_1080:                             ;   Parent Loop BB0_1 Depth=1
                                        ; =>  This Inner Loop Header: Depth=2
	s_wait_loadcnt 0x0
	global_load_b128 v[6:9], v[14:15], off th:TH_LOAD_NT
	v_add_nc_u32_e32 v1, 1, v1
	s_mov_b32 s0, -1
	s_mov_b32 s7, -1
	s_mov_b32 s12, exec_lo
	s_wait_xcnt 0x0
	v_cmpx_eq_u32_e32 0xf4240, v1
	s_cbranch_execz .LBB0_1082
; %bb.1081:                             ;   in Loop: Header=BB0_1080 Depth=2
	s_wait_loadcnt 0x0
	s_wait_storecnt 0x0
	global_load_b32 v1, v4, s[10:11] scope:SCOPE_SYS
	s_wait_loadcnt 0x0
	global_inv scope:SCOPE_SYS
	v_cmp_eq_u32_e32 vcc_lo, 0, v1
	v_mov_b32_e32 v1, 0
	s_or_not1_b32 s7, vcc_lo, exec_lo
.LBB0_1082:                             ;   in Loop: Header=BB0_1080 Depth=2
	s_wait_xcnt 0x0
	s_or_b32 exec_lo, exec_lo, s12
	s_and_saveexec_b32 s12, s7
	s_cbranch_execz .LBB0_1084
; %bb.1083:                             ;   in Loop: Header=BB0_1080 Depth=2
	s_wait_loadcnt 0x0
	v_cmp_eq_u32_e32 vcc_lo, s4, v7
	v_cmp_eq_u32_e64 s0, s4, v9
	s_and_b32 s0, vcc_lo, s0
	s_delay_alu instid0(SALU_CYCLE_1)
	s_or_not1_b32 s0, s0, exec_lo
.LBB0_1084:                             ;   in Loop: Header=BB0_1080 Depth=2
	s_or_b32 exec_lo, exec_lo, s12
	s_delay_alu instid0(SALU_CYCLE_1) | instskip(NEXT) | instid1(SALU_CYCLE_1)
	s_and_b32 s0, exec_lo, s0
	s_or_b32 s6, s0, s6
	s_delay_alu instid0(SALU_CYCLE_1)
	s_and_not1_b32 exec_lo, exec_lo, s6
	s_cbranch_execnz .LBB0_1080
; %bb.1085:                             ;   in Loop: Header=BB0_1080 Depth=2
	s_or_b32 exec_lo, exec_lo, s6
	s_wait_loadcnt 0x0
	v_dual_mov_b32 v7, v8 :: v_dual_mov_b32 v1, 0
	s_mov_b32 s6, 0
	s_delay_alu instid0(VALU_DEP_1) | instskip(SKIP_1) | instid1(SALU_CYCLE_1)
	v_cmp_eq_u64_e32 vcc_lo, s[4:5], v[6:7]
	s_or_b32 s1, vcc_lo, s1
	s_and_not1_b32 exec_lo, exec_lo, s1
	s_cbranch_execnz .LBB0_1080
; %bb.1086:                             ;   in Loop: Header=BB0_1 Depth=1
	s_or_b32 exec_lo, exec_lo, s1
	s_add_co_i32 s4, s2, 0x9b
	s_mov_b32 s1, s3
	s_bfe_u32 s0, s4, 0x100003
	v_dual_mov_b32 v2, s4 :: v_dual_mov_b32 v3, s4
	s_mulk_i32 s0, 0x20c5
	v_dual_mov_b32 v5, s4 :: v_dual_mov_b32 v1, 0
	s_lshr_b32 s0, s0, 20
	s_mov_b32 s5, s3
	s_mulk_i32 s0, 0x3e8
	s_delay_alu instid0(SALU_CYCLE_1) | instskip(NEXT) | instid1(SALU_CYCLE_1)
	s_sub_co_i32 s0, s4, s0
	s_and_b32 s0, s0, 0xffff
	s_delay_alu instid0(SALU_CYCLE_1) | instskip(NEXT) | instid1(SALU_CYCLE_1)
	s_lshl_b32 s0, s0, 12
	v_add_nc_u64_e32 v[6:7], s[0:1], v[10:11]
	v_add_nc_u64_e32 v[14:15], s[0:1], v[12:13]
	s_mov_b32 s1, 0
	global_store_b128 v[6:7], v[2:5], off th:TH_STORE_NT
.LBB0_1087:                             ;   Parent Loop BB0_1 Depth=1
                                        ; =>  This Inner Loop Header: Depth=2
	s_wait_loadcnt 0x0
	global_load_b128 v[6:9], v[14:15], off th:TH_LOAD_NT
	v_add_nc_u32_e32 v1, 1, v1
	s_mov_b32 s0, -1
	s_mov_b32 s7, -1
	s_mov_b32 s12, exec_lo
	s_wait_xcnt 0x0
	v_cmpx_eq_u32_e32 0xf4240, v1
	s_cbranch_execz .LBB0_1089
; %bb.1088:                             ;   in Loop: Header=BB0_1087 Depth=2
	s_wait_loadcnt 0x0
	s_wait_storecnt 0x0
	global_load_b32 v1, v4, s[10:11] scope:SCOPE_SYS
	s_wait_loadcnt 0x0
	global_inv scope:SCOPE_SYS
	v_cmp_eq_u32_e32 vcc_lo, 0, v1
	v_mov_b32_e32 v1, 0
	s_or_not1_b32 s7, vcc_lo, exec_lo
.LBB0_1089:                             ;   in Loop: Header=BB0_1087 Depth=2
	s_wait_xcnt 0x0
	s_or_b32 exec_lo, exec_lo, s12
	s_and_saveexec_b32 s12, s7
	s_cbranch_execz .LBB0_1091
; %bb.1090:                             ;   in Loop: Header=BB0_1087 Depth=2
	s_wait_loadcnt 0x0
	v_cmp_eq_u32_e32 vcc_lo, s4, v7
	v_cmp_eq_u32_e64 s0, s4, v9
	s_and_b32 s0, vcc_lo, s0
	s_delay_alu instid0(SALU_CYCLE_1)
	s_or_not1_b32 s0, s0, exec_lo
.LBB0_1091:                             ;   in Loop: Header=BB0_1087 Depth=2
	s_or_b32 exec_lo, exec_lo, s12
	s_delay_alu instid0(SALU_CYCLE_1) | instskip(NEXT) | instid1(SALU_CYCLE_1)
	s_and_b32 s0, exec_lo, s0
	s_or_b32 s6, s0, s6
	s_delay_alu instid0(SALU_CYCLE_1)
	s_and_not1_b32 exec_lo, exec_lo, s6
	s_cbranch_execnz .LBB0_1087
; %bb.1092:                             ;   in Loop: Header=BB0_1087 Depth=2
	s_or_b32 exec_lo, exec_lo, s6
	s_wait_loadcnt 0x0
	v_dual_mov_b32 v7, v8 :: v_dual_mov_b32 v1, 0
	s_mov_b32 s6, 0
	s_delay_alu instid0(VALU_DEP_1) | instskip(SKIP_1) | instid1(SALU_CYCLE_1)
	v_cmp_eq_u64_e32 vcc_lo, s[4:5], v[6:7]
	s_or_b32 s1, vcc_lo, s1
	s_and_not1_b32 exec_lo, exec_lo, s1
	s_cbranch_execnz .LBB0_1087
; %bb.1093:                             ;   in Loop: Header=BB0_1 Depth=1
	s_or_b32 exec_lo, exec_lo, s1
	s_add_co_i32 s4, s2, 0x9c
	s_mov_b32 s1, s3
	s_bfe_u32 s0, s4, 0x100003
	v_dual_mov_b32 v2, s4 :: v_dual_mov_b32 v3, s4
	s_mulk_i32 s0, 0x20c5
	v_dual_mov_b32 v5, s4 :: v_dual_mov_b32 v1, 0
	s_lshr_b32 s0, s0, 20
	s_mov_b32 s5, s3
	s_mulk_i32 s0, 0x3e8
	s_delay_alu instid0(SALU_CYCLE_1) | instskip(NEXT) | instid1(SALU_CYCLE_1)
	s_sub_co_i32 s0, s4, s0
	s_and_b32 s0, s0, 0xffff
	s_delay_alu instid0(SALU_CYCLE_1) | instskip(NEXT) | instid1(SALU_CYCLE_1)
	s_lshl_b32 s0, s0, 12
	v_add_nc_u64_e32 v[6:7], s[0:1], v[10:11]
	v_add_nc_u64_e32 v[14:15], s[0:1], v[12:13]
	s_mov_b32 s1, 0
	global_store_b128 v[6:7], v[2:5], off th:TH_STORE_NT
.LBB0_1094:                             ;   Parent Loop BB0_1 Depth=1
                                        ; =>  This Inner Loop Header: Depth=2
	s_wait_loadcnt 0x0
	global_load_b128 v[6:9], v[14:15], off th:TH_LOAD_NT
	v_add_nc_u32_e32 v1, 1, v1
	s_mov_b32 s0, -1
	s_mov_b32 s7, -1
	s_mov_b32 s12, exec_lo
	s_wait_xcnt 0x0
	v_cmpx_eq_u32_e32 0xf4240, v1
	s_cbranch_execz .LBB0_1096
; %bb.1095:                             ;   in Loop: Header=BB0_1094 Depth=2
	s_wait_loadcnt 0x0
	s_wait_storecnt 0x0
	global_load_b32 v1, v4, s[10:11] scope:SCOPE_SYS
	s_wait_loadcnt 0x0
	global_inv scope:SCOPE_SYS
	v_cmp_eq_u32_e32 vcc_lo, 0, v1
	v_mov_b32_e32 v1, 0
	s_or_not1_b32 s7, vcc_lo, exec_lo
.LBB0_1096:                             ;   in Loop: Header=BB0_1094 Depth=2
	s_wait_xcnt 0x0
	s_or_b32 exec_lo, exec_lo, s12
	s_and_saveexec_b32 s12, s7
	s_cbranch_execz .LBB0_1098
; %bb.1097:                             ;   in Loop: Header=BB0_1094 Depth=2
	s_wait_loadcnt 0x0
	v_cmp_eq_u32_e32 vcc_lo, s4, v7
	v_cmp_eq_u32_e64 s0, s4, v9
	s_and_b32 s0, vcc_lo, s0
	s_delay_alu instid0(SALU_CYCLE_1)
	s_or_not1_b32 s0, s0, exec_lo
.LBB0_1098:                             ;   in Loop: Header=BB0_1094 Depth=2
	s_or_b32 exec_lo, exec_lo, s12
	s_delay_alu instid0(SALU_CYCLE_1) | instskip(NEXT) | instid1(SALU_CYCLE_1)
	s_and_b32 s0, exec_lo, s0
	s_or_b32 s6, s0, s6
	s_delay_alu instid0(SALU_CYCLE_1)
	s_and_not1_b32 exec_lo, exec_lo, s6
	s_cbranch_execnz .LBB0_1094
; %bb.1099:                             ;   in Loop: Header=BB0_1094 Depth=2
	s_or_b32 exec_lo, exec_lo, s6
	s_wait_loadcnt 0x0
	v_dual_mov_b32 v7, v8 :: v_dual_mov_b32 v1, 0
	s_mov_b32 s6, 0
	s_delay_alu instid0(VALU_DEP_1) | instskip(SKIP_1) | instid1(SALU_CYCLE_1)
	v_cmp_eq_u64_e32 vcc_lo, s[4:5], v[6:7]
	s_or_b32 s1, vcc_lo, s1
	s_and_not1_b32 exec_lo, exec_lo, s1
	s_cbranch_execnz .LBB0_1094
; %bb.1100:                             ;   in Loop: Header=BB0_1 Depth=1
	s_or_b32 exec_lo, exec_lo, s1
	s_add_co_i32 s4, s2, 0x9d
	s_mov_b32 s1, s3
	s_bfe_u32 s0, s4, 0x100003
	v_dual_mov_b32 v2, s4 :: v_dual_mov_b32 v3, s4
	s_mulk_i32 s0, 0x20c5
	v_dual_mov_b32 v5, s4 :: v_dual_mov_b32 v1, 0
	s_lshr_b32 s0, s0, 20
	s_mov_b32 s5, s3
	s_mulk_i32 s0, 0x3e8
	s_delay_alu instid0(SALU_CYCLE_1) | instskip(NEXT) | instid1(SALU_CYCLE_1)
	s_sub_co_i32 s0, s4, s0
	s_and_b32 s0, s0, 0xffff
	s_delay_alu instid0(SALU_CYCLE_1) | instskip(NEXT) | instid1(SALU_CYCLE_1)
	s_lshl_b32 s0, s0, 12
	v_add_nc_u64_e32 v[6:7], s[0:1], v[10:11]
	v_add_nc_u64_e32 v[14:15], s[0:1], v[12:13]
	s_mov_b32 s1, 0
	global_store_b128 v[6:7], v[2:5], off th:TH_STORE_NT
.LBB0_1101:                             ;   Parent Loop BB0_1 Depth=1
                                        ; =>  This Inner Loop Header: Depth=2
	s_wait_loadcnt 0x0
	global_load_b128 v[6:9], v[14:15], off th:TH_LOAD_NT
	v_add_nc_u32_e32 v1, 1, v1
	s_mov_b32 s0, -1
	s_mov_b32 s7, -1
	s_mov_b32 s12, exec_lo
	s_wait_xcnt 0x0
	v_cmpx_eq_u32_e32 0xf4240, v1
	s_cbranch_execz .LBB0_1103
; %bb.1102:                             ;   in Loop: Header=BB0_1101 Depth=2
	s_wait_loadcnt 0x0
	s_wait_storecnt 0x0
	global_load_b32 v1, v4, s[10:11] scope:SCOPE_SYS
	s_wait_loadcnt 0x0
	global_inv scope:SCOPE_SYS
	v_cmp_eq_u32_e32 vcc_lo, 0, v1
	v_mov_b32_e32 v1, 0
	s_or_not1_b32 s7, vcc_lo, exec_lo
.LBB0_1103:                             ;   in Loop: Header=BB0_1101 Depth=2
	s_wait_xcnt 0x0
	s_or_b32 exec_lo, exec_lo, s12
	s_and_saveexec_b32 s12, s7
	s_cbranch_execz .LBB0_1105
; %bb.1104:                             ;   in Loop: Header=BB0_1101 Depth=2
	s_wait_loadcnt 0x0
	v_cmp_eq_u32_e32 vcc_lo, s4, v7
	v_cmp_eq_u32_e64 s0, s4, v9
	s_and_b32 s0, vcc_lo, s0
	s_delay_alu instid0(SALU_CYCLE_1)
	s_or_not1_b32 s0, s0, exec_lo
.LBB0_1105:                             ;   in Loop: Header=BB0_1101 Depth=2
	s_or_b32 exec_lo, exec_lo, s12
	s_delay_alu instid0(SALU_CYCLE_1) | instskip(NEXT) | instid1(SALU_CYCLE_1)
	s_and_b32 s0, exec_lo, s0
	s_or_b32 s6, s0, s6
	s_delay_alu instid0(SALU_CYCLE_1)
	s_and_not1_b32 exec_lo, exec_lo, s6
	s_cbranch_execnz .LBB0_1101
; %bb.1106:                             ;   in Loop: Header=BB0_1101 Depth=2
	s_or_b32 exec_lo, exec_lo, s6
	s_wait_loadcnt 0x0
	v_dual_mov_b32 v7, v8 :: v_dual_mov_b32 v1, 0
	s_mov_b32 s6, 0
	s_delay_alu instid0(VALU_DEP_1) | instskip(SKIP_1) | instid1(SALU_CYCLE_1)
	v_cmp_eq_u64_e32 vcc_lo, s[4:5], v[6:7]
	s_or_b32 s1, vcc_lo, s1
	s_and_not1_b32 exec_lo, exec_lo, s1
	s_cbranch_execnz .LBB0_1101
; %bb.1107:                             ;   in Loop: Header=BB0_1 Depth=1
	s_or_b32 exec_lo, exec_lo, s1
	s_add_co_i32 s4, s2, 0x9e
	s_mov_b32 s1, s3
	s_bfe_u32 s0, s4, 0x100003
	v_dual_mov_b32 v2, s4 :: v_dual_mov_b32 v3, s4
	s_mulk_i32 s0, 0x20c5
	v_dual_mov_b32 v5, s4 :: v_dual_mov_b32 v1, 0
	s_lshr_b32 s0, s0, 20
	s_mov_b32 s5, s3
	s_mulk_i32 s0, 0x3e8
	s_delay_alu instid0(SALU_CYCLE_1) | instskip(NEXT) | instid1(SALU_CYCLE_1)
	s_sub_co_i32 s0, s4, s0
	s_and_b32 s0, s0, 0xffff
	s_delay_alu instid0(SALU_CYCLE_1) | instskip(NEXT) | instid1(SALU_CYCLE_1)
	s_lshl_b32 s0, s0, 12
	v_add_nc_u64_e32 v[6:7], s[0:1], v[10:11]
	v_add_nc_u64_e32 v[14:15], s[0:1], v[12:13]
	s_mov_b32 s1, 0
	global_store_b128 v[6:7], v[2:5], off th:TH_STORE_NT
.LBB0_1108:                             ;   Parent Loop BB0_1 Depth=1
                                        ; =>  This Inner Loop Header: Depth=2
	s_wait_loadcnt 0x0
	global_load_b128 v[6:9], v[14:15], off th:TH_LOAD_NT
	v_add_nc_u32_e32 v1, 1, v1
	s_mov_b32 s0, -1
	s_mov_b32 s7, -1
	s_mov_b32 s12, exec_lo
	s_wait_xcnt 0x0
	v_cmpx_eq_u32_e32 0xf4240, v1
	s_cbranch_execz .LBB0_1110
; %bb.1109:                             ;   in Loop: Header=BB0_1108 Depth=2
	s_wait_loadcnt 0x0
	s_wait_storecnt 0x0
	global_load_b32 v1, v4, s[10:11] scope:SCOPE_SYS
	s_wait_loadcnt 0x0
	global_inv scope:SCOPE_SYS
	v_cmp_eq_u32_e32 vcc_lo, 0, v1
	v_mov_b32_e32 v1, 0
	s_or_not1_b32 s7, vcc_lo, exec_lo
.LBB0_1110:                             ;   in Loop: Header=BB0_1108 Depth=2
	s_wait_xcnt 0x0
	s_or_b32 exec_lo, exec_lo, s12
	s_and_saveexec_b32 s12, s7
	s_cbranch_execz .LBB0_1112
; %bb.1111:                             ;   in Loop: Header=BB0_1108 Depth=2
	s_wait_loadcnt 0x0
	v_cmp_eq_u32_e32 vcc_lo, s4, v7
	v_cmp_eq_u32_e64 s0, s4, v9
	s_and_b32 s0, vcc_lo, s0
	s_delay_alu instid0(SALU_CYCLE_1)
	s_or_not1_b32 s0, s0, exec_lo
.LBB0_1112:                             ;   in Loop: Header=BB0_1108 Depth=2
	s_or_b32 exec_lo, exec_lo, s12
	s_delay_alu instid0(SALU_CYCLE_1) | instskip(NEXT) | instid1(SALU_CYCLE_1)
	s_and_b32 s0, exec_lo, s0
	s_or_b32 s6, s0, s6
	s_delay_alu instid0(SALU_CYCLE_1)
	s_and_not1_b32 exec_lo, exec_lo, s6
	s_cbranch_execnz .LBB0_1108
; %bb.1113:                             ;   in Loop: Header=BB0_1108 Depth=2
	s_or_b32 exec_lo, exec_lo, s6
	s_wait_loadcnt 0x0
	v_dual_mov_b32 v7, v8 :: v_dual_mov_b32 v1, 0
	s_mov_b32 s6, 0
	s_delay_alu instid0(VALU_DEP_1) | instskip(SKIP_1) | instid1(SALU_CYCLE_1)
	v_cmp_eq_u64_e32 vcc_lo, s[4:5], v[6:7]
	s_or_b32 s1, vcc_lo, s1
	s_and_not1_b32 exec_lo, exec_lo, s1
	s_cbranch_execnz .LBB0_1108
; %bb.1114:                             ;   in Loop: Header=BB0_1 Depth=1
	s_or_b32 exec_lo, exec_lo, s1
	s_add_co_i32 s4, s2, 0x9f
	s_mov_b32 s1, s3
	s_bfe_u32 s0, s4, 0x100003
	v_dual_mov_b32 v2, s4 :: v_dual_mov_b32 v3, s4
	s_mulk_i32 s0, 0x20c5
	v_dual_mov_b32 v5, s4 :: v_dual_mov_b32 v1, 0
	s_lshr_b32 s0, s0, 20
	s_mov_b32 s5, s3
	s_mulk_i32 s0, 0x3e8
	s_delay_alu instid0(SALU_CYCLE_1) | instskip(NEXT) | instid1(SALU_CYCLE_1)
	s_sub_co_i32 s0, s4, s0
	s_and_b32 s0, s0, 0xffff
	s_delay_alu instid0(SALU_CYCLE_1) | instskip(NEXT) | instid1(SALU_CYCLE_1)
	s_lshl_b32 s0, s0, 12
	v_add_nc_u64_e32 v[6:7], s[0:1], v[10:11]
	v_add_nc_u64_e32 v[14:15], s[0:1], v[12:13]
	s_mov_b32 s1, 0
	global_store_b128 v[6:7], v[2:5], off th:TH_STORE_NT
.LBB0_1115:                             ;   Parent Loop BB0_1 Depth=1
                                        ; =>  This Inner Loop Header: Depth=2
	s_wait_loadcnt 0x0
	global_load_b128 v[6:9], v[14:15], off th:TH_LOAD_NT
	v_add_nc_u32_e32 v1, 1, v1
	s_mov_b32 s0, -1
	s_mov_b32 s7, -1
	s_mov_b32 s12, exec_lo
	s_wait_xcnt 0x0
	v_cmpx_eq_u32_e32 0xf4240, v1
	s_cbranch_execz .LBB0_1117
; %bb.1116:                             ;   in Loop: Header=BB0_1115 Depth=2
	s_wait_loadcnt 0x0
	s_wait_storecnt 0x0
	global_load_b32 v1, v4, s[10:11] scope:SCOPE_SYS
	s_wait_loadcnt 0x0
	global_inv scope:SCOPE_SYS
	v_cmp_eq_u32_e32 vcc_lo, 0, v1
	v_mov_b32_e32 v1, 0
	s_or_not1_b32 s7, vcc_lo, exec_lo
.LBB0_1117:                             ;   in Loop: Header=BB0_1115 Depth=2
	s_wait_xcnt 0x0
	s_or_b32 exec_lo, exec_lo, s12
	s_and_saveexec_b32 s12, s7
	s_cbranch_execz .LBB0_1119
; %bb.1118:                             ;   in Loop: Header=BB0_1115 Depth=2
	s_wait_loadcnt 0x0
	v_cmp_eq_u32_e32 vcc_lo, s4, v7
	v_cmp_eq_u32_e64 s0, s4, v9
	s_and_b32 s0, vcc_lo, s0
	s_delay_alu instid0(SALU_CYCLE_1)
	s_or_not1_b32 s0, s0, exec_lo
.LBB0_1119:                             ;   in Loop: Header=BB0_1115 Depth=2
	s_or_b32 exec_lo, exec_lo, s12
	s_delay_alu instid0(SALU_CYCLE_1) | instskip(NEXT) | instid1(SALU_CYCLE_1)
	s_and_b32 s0, exec_lo, s0
	s_or_b32 s6, s0, s6
	s_delay_alu instid0(SALU_CYCLE_1)
	s_and_not1_b32 exec_lo, exec_lo, s6
	s_cbranch_execnz .LBB0_1115
; %bb.1120:                             ;   in Loop: Header=BB0_1115 Depth=2
	s_or_b32 exec_lo, exec_lo, s6
	s_wait_loadcnt 0x0
	v_dual_mov_b32 v7, v8 :: v_dual_mov_b32 v1, 0
	s_mov_b32 s6, 0
	s_delay_alu instid0(VALU_DEP_1) | instskip(SKIP_1) | instid1(SALU_CYCLE_1)
	v_cmp_eq_u64_e32 vcc_lo, s[4:5], v[6:7]
	s_or_b32 s1, vcc_lo, s1
	s_and_not1_b32 exec_lo, exec_lo, s1
	s_cbranch_execnz .LBB0_1115
; %bb.1121:                             ;   in Loop: Header=BB0_1 Depth=1
	s_or_b32 exec_lo, exec_lo, s1
	s_add_co_i32 s4, s2, 0xa0
	s_mov_b32 s1, s3
	s_bfe_u32 s0, s4, 0x100003
	v_dual_mov_b32 v2, s4 :: v_dual_mov_b32 v3, s4
	s_mulk_i32 s0, 0x20c5
	v_dual_mov_b32 v5, s4 :: v_dual_mov_b32 v1, 0
	s_lshr_b32 s0, s0, 20
	s_mov_b32 s5, s3
	s_mulk_i32 s0, 0x3e8
	s_delay_alu instid0(SALU_CYCLE_1) | instskip(NEXT) | instid1(SALU_CYCLE_1)
	s_sub_co_i32 s0, s4, s0
	s_and_b32 s0, s0, 0xffff
	s_delay_alu instid0(SALU_CYCLE_1) | instskip(NEXT) | instid1(SALU_CYCLE_1)
	s_lshl_b32 s0, s0, 12
	v_add_nc_u64_e32 v[6:7], s[0:1], v[10:11]
	v_add_nc_u64_e32 v[14:15], s[0:1], v[12:13]
	s_mov_b32 s1, 0
	global_store_b128 v[6:7], v[2:5], off th:TH_STORE_NT
.LBB0_1122:                             ;   Parent Loop BB0_1 Depth=1
                                        ; =>  This Inner Loop Header: Depth=2
	s_wait_loadcnt 0x0
	global_load_b128 v[6:9], v[14:15], off th:TH_LOAD_NT
	v_add_nc_u32_e32 v1, 1, v1
	s_mov_b32 s0, -1
	s_mov_b32 s7, -1
	s_mov_b32 s12, exec_lo
	s_wait_xcnt 0x0
	v_cmpx_eq_u32_e32 0xf4240, v1
	s_cbranch_execz .LBB0_1124
; %bb.1123:                             ;   in Loop: Header=BB0_1122 Depth=2
	s_wait_loadcnt 0x0
	s_wait_storecnt 0x0
	global_load_b32 v1, v4, s[10:11] scope:SCOPE_SYS
	s_wait_loadcnt 0x0
	global_inv scope:SCOPE_SYS
	v_cmp_eq_u32_e32 vcc_lo, 0, v1
	v_mov_b32_e32 v1, 0
	s_or_not1_b32 s7, vcc_lo, exec_lo
.LBB0_1124:                             ;   in Loop: Header=BB0_1122 Depth=2
	s_wait_xcnt 0x0
	s_or_b32 exec_lo, exec_lo, s12
	s_and_saveexec_b32 s12, s7
	s_cbranch_execz .LBB0_1126
; %bb.1125:                             ;   in Loop: Header=BB0_1122 Depth=2
	s_wait_loadcnt 0x0
	v_cmp_eq_u32_e32 vcc_lo, s4, v7
	v_cmp_eq_u32_e64 s0, s4, v9
	s_and_b32 s0, vcc_lo, s0
	s_delay_alu instid0(SALU_CYCLE_1)
	s_or_not1_b32 s0, s0, exec_lo
.LBB0_1126:                             ;   in Loop: Header=BB0_1122 Depth=2
	s_or_b32 exec_lo, exec_lo, s12
	s_delay_alu instid0(SALU_CYCLE_1) | instskip(NEXT) | instid1(SALU_CYCLE_1)
	s_and_b32 s0, exec_lo, s0
	s_or_b32 s6, s0, s6
	s_delay_alu instid0(SALU_CYCLE_1)
	s_and_not1_b32 exec_lo, exec_lo, s6
	s_cbranch_execnz .LBB0_1122
; %bb.1127:                             ;   in Loop: Header=BB0_1122 Depth=2
	s_or_b32 exec_lo, exec_lo, s6
	s_wait_loadcnt 0x0
	v_dual_mov_b32 v7, v8 :: v_dual_mov_b32 v1, 0
	s_mov_b32 s6, 0
	s_delay_alu instid0(VALU_DEP_1) | instskip(SKIP_1) | instid1(SALU_CYCLE_1)
	v_cmp_eq_u64_e32 vcc_lo, s[4:5], v[6:7]
	s_or_b32 s1, vcc_lo, s1
	s_and_not1_b32 exec_lo, exec_lo, s1
	s_cbranch_execnz .LBB0_1122
; %bb.1128:                             ;   in Loop: Header=BB0_1 Depth=1
	s_or_b32 exec_lo, exec_lo, s1
	s_add_co_i32 s4, s2, 0xa1
	s_mov_b32 s1, s3
	s_bfe_u32 s0, s4, 0x100003
	v_dual_mov_b32 v2, s4 :: v_dual_mov_b32 v3, s4
	s_mulk_i32 s0, 0x20c5
	v_dual_mov_b32 v5, s4 :: v_dual_mov_b32 v1, 0
	s_lshr_b32 s0, s0, 20
	s_mov_b32 s5, s3
	s_mulk_i32 s0, 0x3e8
	s_delay_alu instid0(SALU_CYCLE_1) | instskip(NEXT) | instid1(SALU_CYCLE_1)
	s_sub_co_i32 s0, s4, s0
	s_and_b32 s0, s0, 0xffff
	s_delay_alu instid0(SALU_CYCLE_1) | instskip(NEXT) | instid1(SALU_CYCLE_1)
	s_lshl_b32 s0, s0, 12
	v_add_nc_u64_e32 v[6:7], s[0:1], v[10:11]
	v_add_nc_u64_e32 v[14:15], s[0:1], v[12:13]
	s_mov_b32 s1, 0
	global_store_b128 v[6:7], v[2:5], off th:TH_STORE_NT
.LBB0_1129:                             ;   Parent Loop BB0_1 Depth=1
                                        ; =>  This Inner Loop Header: Depth=2
	s_wait_loadcnt 0x0
	global_load_b128 v[6:9], v[14:15], off th:TH_LOAD_NT
	v_add_nc_u32_e32 v1, 1, v1
	s_mov_b32 s0, -1
	s_mov_b32 s7, -1
	s_mov_b32 s12, exec_lo
	s_wait_xcnt 0x0
	v_cmpx_eq_u32_e32 0xf4240, v1
	s_cbranch_execz .LBB0_1131
; %bb.1130:                             ;   in Loop: Header=BB0_1129 Depth=2
	s_wait_loadcnt 0x0
	s_wait_storecnt 0x0
	global_load_b32 v1, v4, s[10:11] scope:SCOPE_SYS
	s_wait_loadcnt 0x0
	global_inv scope:SCOPE_SYS
	v_cmp_eq_u32_e32 vcc_lo, 0, v1
	v_mov_b32_e32 v1, 0
	s_or_not1_b32 s7, vcc_lo, exec_lo
.LBB0_1131:                             ;   in Loop: Header=BB0_1129 Depth=2
	s_wait_xcnt 0x0
	s_or_b32 exec_lo, exec_lo, s12
	s_and_saveexec_b32 s12, s7
	s_cbranch_execz .LBB0_1133
; %bb.1132:                             ;   in Loop: Header=BB0_1129 Depth=2
	s_wait_loadcnt 0x0
	v_cmp_eq_u32_e32 vcc_lo, s4, v7
	v_cmp_eq_u32_e64 s0, s4, v9
	s_and_b32 s0, vcc_lo, s0
	s_delay_alu instid0(SALU_CYCLE_1)
	s_or_not1_b32 s0, s0, exec_lo
.LBB0_1133:                             ;   in Loop: Header=BB0_1129 Depth=2
	s_or_b32 exec_lo, exec_lo, s12
	s_delay_alu instid0(SALU_CYCLE_1) | instskip(NEXT) | instid1(SALU_CYCLE_1)
	s_and_b32 s0, exec_lo, s0
	s_or_b32 s6, s0, s6
	s_delay_alu instid0(SALU_CYCLE_1)
	s_and_not1_b32 exec_lo, exec_lo, s6
	s_cbranch_execnz .LBB0_1129
; %bb.1134:                             ;   in Loop: Header=BB0_1129 Depth=2
	s_or_b32 exec_lo, exec_lo, s6
	s_wait_loadcnt 0x0
	v_dual_mov_b32 v7, v8 :: v_dual_mov_b32 v1, 0
	s_mov_b32 s6, 0
	s_delay_alu instid0(VALU_DEP_1) | instskip(SKIP_1) | instid1(SALU_CYCLE_1)
	v_cmp_eq_u64_e32 vcc_lo, s[4:5], v[6:7]
	s_or_b32 s1, vcc_lo, s1
	s_and_not1_b32 exec_lo, exec_lo, s1
	s_cbranch_execnz .LBB0_1129
; %bb.1135:                             ;   in Loop: Header=BB0_1 Depth=1
	s_or_b32 exec_lo, exec_lo, s1
	s_add_co_i32 s4, s2, 0xa2
	s_mov_b32 s1, s3
	s_bfe_u32 s0, s4, 0x100003
	v_dual_mov_b32 v2, s4 :: v_dual_mov_b32 v3, s4
	s_mulk_i32 s0, 0x20c5
	v_dual_mov_b32 v5, s4 :: v_dual_mov_b32 v1, 0
	s_lshr_b32 s0, s0, 20
	s_mov_b32 s5, s3
	s_mulk_i32 s0, 0x3e8
	s_delay_alu instid0(SALU_CYCLE_1) | instskip(NEXT) | instid1(SALU_CYCLE_1)
	s_sub_co_i32 s0, s4, s0
	s_and_b32 s0, s0, 0xffff
	s_delay_alu instid0(SALU_CYCLE_1) | instskip(NEXT) | instid1(SALU_CYCLE_1)
	s_lshl_b32 s0, s0, 12
	v_add_nc_u64_e32 v[6:7], s[0:1], v[10:11]
	v_add_nc_u64_e32 v[14:15], s[0:1], v[12:13]
	s_mov_b32 s1, 0
	global_store_b128 v[6:7], v[2:5], off th:TH_STORE_NT
.LBB0_1136:                             ;   Parent Loop BB0_1 Depth=1
                                        ; =>  This Inner Loop Header: Depth=2
	s_wait_loadcnt 0x0
	global_load_b128 v[6:9], v[14:15], off th:TH_LOAD_NT
	v_add_nc_u32_e32 v1, 1, v1
	s_mov_b32 s0, -1
	s_mov_b32 s7, -1
	s_mov_b32 s12, exec_lo
	s_wait_xcnt 0x0
	v_cmpx_eq_u32_e32 0xf4240, v1
	s_cbranch_execz .LBB0_1138
; %bb.1137:                             ;   in Loop: Header=BB0_1136 Depth=2
	s_wait_loadcnt 0x0
	s_wait_storecnt 0x0
	global_load_b32 v1, v4, s[10:11] scope:SCOPE_SYS
	s_wait_loadcnt 0x0
	global_inv scope:SCOPE_SYS
	v_cmp_eq_u32_e32 vcc_lo, 0, v1
	v_mov_b32_e32 v1, 0
	s_or_not1_b32 s7, vcc_lo, exec_lo
.LBB0_1138:                             ;   in Loop: Header=BB0_1136 Depth=2
	s_wait_xcnt 0x0
	s_or_b32 exec_lo, exec_lo, s12
	s_and_saveexec_b32 s12, s7
	s_cbranch_execz .LBB0_1140
; %bb.1139:                             ;   in Loop: Header=BB0_1136 Depth=2
	s_wait_loadcnt 0x0
	v_cmp_eq_u32_e32 vcc_lo, s4, v7
	v_cmp_eq_u32_e64 s0, s4, v9
	s_and_b32 s0, vcc_lo, s0
	s_delay_alu instid0(SALU_CYCLE_1)
	s_or_not1_b32 s0, s0, exec_lo
.LBB0_1140:                             ;   in Loop: Header=BB0_1136 Depth=2
	s_or_b32 exec_lo, exec_lo, s12
	s_delay_alu instid0(SALU_CYCLE_1) | instskip(NEXT) | instid1(SALU_CYCLE_1)
	s_and_b32 s0, exec_lo, s0
	s_or_b32 s6, s0, s6
	s_delay_alu instid0(SALU_CYCLE_1)
	s_and_not1_b32 exec_lo, exec_lo, s6
	s_cbranch_execnz .LBB0_1136
; %bb.1141:                             ;   in Loop: Header=BB0_1136 Depth=2
	s_or_b32 exec_lo, exec_lo, s6
	s_wait_loadcnt 0x0
	v_dual_mov_b32 v7, v8 :: v_dual_mov_b32 v1, 0
	s_mov_b32 s6, 0
	s_delay_alu instid0(VALU_DEP_1) | instskip(SKIP_1) | instid1(SALU_CYCLE_1)
	v_cmp_eq_u64_e32 vcc_lo, s[4:5], v[6:7]
	s_or_b32 s1, vcc_lo, s1
	s_and_not1_b32 exec_lo, exec_lo, s1
	s_cbranch_execnz .LBB0_1136
; %bb.1142:                             ;   in Loop: Header=BB0_1 Depth=1
	s_or_b32 exec_lo, exec_lo, s1
	s_add_co_i32 s4, s2, 0xa3
	s_mov_b32 s1, s3
	s_bfe_u32 s0, s4, 0x100003
	v_dual_mov_b32 v2, s4 :: v_dual_mov_b32 v3, s4
	s_mulk_i32 s0, 0x20c5
	v_dual_mov_b32 v5, s4 :: v_dual_mov_b32 v1, 0
	s_lshr_b32 s0, s0, 20
	s_mov_b32 s5, s3
	s_mulk_i32 s0, 0x3e8
	s_delay_alu instid0(SALU_CYCLE_1) | instskip(NEXT) | instid1(SALU_CYCLE_1)
	s_sub_co_i32 s0, s4, s0
	s_and_b32 s0, s0, 0xffff
	s_delay_alu instid0(SALU_CYCLE_1) | instskip(NEXT) | instid1(SALU_CYCLE_1)
	s_lshl_b32 s0, s0, 12
	v_add_nc_u64_e32 v[6:7], s[0:1], v[10:11]
	v_add_nc_u64_e32 v[14:15], s[0:1], v[12:13]
	s_mov_b32 s1, 0
	global_store_b128 v[6:7], v[2:5], off th:TH_STORE_NT
.LBB0_1143:                             ;   Parent Loop BB0_1 Depth=1
                                        ; =>  This Inner Loop Header: Depth=2
	s_wait_loadcnt 0x0
	global_load_b128 v[6:9], v[14:15], off th:TH_LOAD_NT
	v_add_nc_u32_e32 v1, 1, v1
	s_mov_b32 s0, -1
	s_mov_b32 s7, -1
	s_mov_b32 s12, exec_lo
	s_wait_xcnt 0x0
	v_cmpx_eq_u32_e32 0xf4240, v1
	s_cbranch_execz .LBB0_1145
; %bb.1144:                             ;   in Loop: Header=BB0_1143 Depth=2
	s_wait_loadcnt 0x0
	s_wait_storecnt 0x0
	global_load_b32 v1, v4, s[10:11] scope:SCOPE_SYS
	s_wait_loadcnt 0x0
	global_inv scope:SCOPE_SYS
	v_cmp_eq_u32_e32 vcc_lo, 0, v1
	v_mov_b32_e32 v1, 0
	s_or_not1_b32 s7, vcc_lo, exec_lo
.LBB0_1145:                             ;   in Loop: Header=BB0_1143 Depth=2
	s_wait_xcnt 0x0
	s_or_b32 exec_lo, exec_lo, s12
	s_and_saveexec_b32 s12, s7
	s_cbranch_execz .LBB0_1147
; %bb.1146:                             ;   in Loop: Header=BB0_1143 Depth=2
	s_wait_loadcnt 0x0
	v_cmp_eq_u32_e32 vcc_lo, s4, v7
	v_cmp_eq_u32_e64 s0, s4, v9
	s_and_b32 s0, vcc_lo, s0
	s_delay_alu instid0(SALU_CYCLE_1)
	s_or_not1_b32 s0, s0, exec_lo
.LBB0_1147:                             ;   in Loop: Header=BB0_1143 Depth=2
	s_or_b32 exec_lo, exec_lo, s12
	s_delay_alu instid0(SALU_CYCLE_1) | instskip(NEXT) | instid1(SALU_CYCLE_1)
	s_and_b32 s0, exec_lo, s0
	s_or_b32 s6, s0, s6
	s_delay_alu instid0(SALU_CYCLE_1)
	s_and_not1_b32 exec_lo, exec_lo, s6
	s_cbranch_execnz .LBB0_1143
; %bb.1148:                             ;   in Loop: Header=BB0_1143 Depth=2
	s_or_b32 exec_lo, exec_lo, s6
	s_wait_loadcnt 0x0
	v_dual_mov_b32 v7, v8 :: v_dual_mov_b32 v1, 0
	s_mov_b32 s6, 0
	s_delay_alu instid0(VALU_DEP_1) | instskip(SKIP_1) | instid1(SALU_CYCLE_1)
	v_cmp_eq_u64_e32 vcc_lo, s[4:5], v[6:7]
	s_or_b32 s1, vcc_lo, s1
	s_and_not1_b32 exec_lo, exec_lo, s1
	s_cbranch_execnz .LBB0_1143
; %bb.1149:                             ;   in Loop: Header=BB0_1 Depth=1
	s_or_b32 exec_lo, exec_lo, s1
	s_add_co_i32 s4, s2, 0xa4
	s_mov_b32 s1, s3
	s_bfe_u32 s0, s4, 0x100003
	v_dual_mov_b32 v2, s4 :: v_dual_mov_b32 v3, s4
	s_mulk_i32 s0, 0x20c5
	v_dual_mov_b32 v5, s4 :: v_dual_mov_b32 v1, 0
	s_lshr_b32 s0, s0, 20
	s_mov_b32 s5, s3
	s_mulk_i32 s0, 0x3e8
	s_delay_alu instid0(SALU_CYCLE_1) | instskip(NEXT) | instid1(SALU_CYCLE_1)
	s_sub_co_i32 s0, s4, s0
	s_and_b32 s0, s0, 0xffff
	s_delay_alu instid0(SALU_CYCLE_1) | instskip(NEXT) | instid1(SALU_CYCLE_1)
	s_lshl_b32 s0, s0, 12
	v_add_nc_u64_e32 v[6:7], s[0:1], v[10:11]
	v_add_nc_u64_e32 v[14:15], s[0:1], v[12:13]
	s_mov_b32 s1, 0
	global_store_b128 v[6:7], v[2:5], off th:TH_STORE_NT
.LBB0_1150:                             ;   Parent Loop BB0_1 Depth=1
                                        ; =>  This Inner Loop Header: Depth=2
	s_wait_loadcnt 0x0
	global_load_b128 v[6:9], v[14:15], off th:TH_LOAD_NT
	v_add_nc_u32_e32 v1, 1, v1
	s_mov_b32 s0, -1
	s_mov_b32 s7, -1
	s_mov_b32 s12, exec_lo
	s_wait_xcnt 0x0
	v_cmpx_eq_u32_e32 0xf4240, v1
	s_cbranch_execz .LBB0_1152
; %bb.1151:                             ;   in Loop: Header=BB0_1150 Depth=2
	s_wait_loadcnt 0x0
	s_wait_storecnt 0x0
	global_load_b32 v1, v4, s[10:11] scope:SCOPE_SYS
	s_wait_loadcnt 0x0
	global_inv scope:SCOPE_SYS
	v_cmp_eq_u32_e32 vcc_lo, 0, v1
	v_mov_b32_e32 v1, 0
	s_or_not1_b32 s7, vcc_lo, exec_lo
.LBB0_1152:                             ;   in Loop: Header=BB0_1150 Depth=2
	s_wait_xcnt 0x0
	s_or_b32 exec_lo, exec_lo, s12
	s_and_saveexec_b32 s12, s7
	s_cbranch_execz .LBB0_1154
; %bb.1153:                             ;   in Loop: Header=BB0_1150 Depth=2
	s_wait_loadcnt 0x0
	v_cmp_eq_u32_e32 vcc_lo, s4, v7
	v_cmp_eq_u32_e64 s0, s4, v9
	s_and_b32 s0, vcc_lo, s0
	s_delay_alu instid0(SALU_CYCLE_1)
	s_or_not1_b32 s0, s0, exec_lo
.LBB0_1154:                             ;   in Loop: Header=BB0_1150 Depth=2
	s_or_b32 exec_lo, exec_lo, s12
	s_delay_alu instid0(SALU_CYCLE_1) | instskip(NEXT) | instid1(SALU_CYCLE_1)
	s_and_b32 s0, exec_lo, s0
	s_or_b32 s6, s0, s6
	s_delay_alu instid0(SALU_CYCLE_1)
	s_and_not1_b32 exec_lo, exec_lo, s6
	s_cbranch_execnz .LBB0_1150
; %bb.1155:                             ;   in Loop: Header=BB0_1150 Depth=2
	s_or_b32 exec_lo, exec_lo, s6
	s_wait_loadcnt 0x0
	v_dual_mov_b32 v7, v8 :: v_dual_mov_b32 v1, 0
	s_mov_b32 s6, 0
	s_delay_alu instid0(VALU_DEP_1) | instskip(SKIP_1) | instid1(SALU_CYCLE_1)
	v_cmp_eq_u64_e32 vcc_lo, s[4:5], v[6:7]
	s_or_b32 s1, vcc_lo, s1
	s_and_not1_b32 exec_lo, exec_lo, s1
	s_cbranch_execnz .LBB0_1150
; %bb.1156:                             ;   in Loop: Header=BB0_1 Depth=1
	s_or_b32 exec_lo, exec_lo, s1
	s_add_co_i32 s4, s2, 0xa5
	s_mov_b32 s1, s3
	s_bfe_u32 s0, s4, 0x100003
	v_dual_mov_b32 v2, s4 :: v_dual_mov_b32 v3, s4
	s_mulk_i32 s0, 0x20c5
	v_dual_mov_b32 v5, s4 :: v_dual_mov_b32 v1, 0
	s_lshr_b32 s0, s0, 20
	s_mov_b32 s5, s3
	s_mulk_i32 s0, 0x3e8
	s_delay_alu instid0(SALU_CYCLE_1) | instskip(NEXT) | instid1(SALU_CYCLE_1)
	s_sub_co_i32 s0, s4, s0
	s_and_b32 s0, s0, 0xffff
	s_delay_alu instid0(SALU_CYCLE_1) | instskip(NEXT) | instid1(SALU_CYCLE_1)
	s_lshl_b32 s0, s0, 12
	v_add_nc_u64_e32 v[6:7], s[0:1], v[10:11]
	v_add_nc_u64_e32 v[14:15], s[0:1], v[12:13]
	s_mov_b32 s1, 0
	global_store_b128 v[6:7], v[2:5], off th:TH_STORE_NT
.LBB0_1157:                             ;   Parent Loop BB0_1 Depth=1
                                        ; =>  This Inner Loop Header: Depth=2
	s_wait_loadcnt 0x0
	global_load_b128 v[6:9], v[14:15], off th:TH_LOAD_NT
	v_add_nc_u32_e32 v1, 1, v1
	s_mov_b32 s0, -1
	s_mov_b32 s7, -1
	s_mov_b32 s12, exec_lo
	s_wait_xcnt 0x0
	v_cmpx_eq_u32_e32 0xf4240, v1
	s_cbranch_execz .LBB0_1159
; %bb.1158:                             ;   in Loop: Header=BB0_1157 Depth=2
	s_wait_loadcnt 0x0
	s_wait_storecnt 0x0
	global_load_b32 v1, v4, s[10:11] scope:SCOPE_SYS
	s_wait_loadcnt 0x0
	global_inv scope:SCOPE_SYS
	v_cmp_eq_u32_e32 vcc_lo, 0, v1
	v_mov_b32_e32 v1, 0
	s_or_not1_b32 s7, vcc_lo, exec_lo
.LBB0_1159:                             ;   in Loop: Header=BB0_1157 Depth=2
	s_wait_xcnt 0x0
	s_or_b32 exec_lo, exec_lo, s12
	s_and_saveexec_b32 s12, s7
	s_cbranch_execz .LBB0_1161
; %bb.1160:                             ;   in Loop: Header=BB0_1157 Depth=2
	s_wait_loadcnt 0x0
	v_cmp_eq_u32_e32 vcc_lo, s4, v7
	v_cmp_eq_u32_e64 s0, s4, v9
	s_and_b32 s0, vcc_lo, s0
	s_delay_alu instid0(SALU_CYCLE_1)
	s_or_not1_b32 s0, s0, exec_lo
.LBB0_1161:                             ;   in Loop: Header=BB0_1157 Depth=2
	s_or_b32 exec_lo, exec_lo, s12
	s_delay_alu instid0(SALU_CYCLE_1) | instskip(NEXT) | instid1(SALU_CYCLE_1)
	s_and_b32 s0, exec_lo, s0
	s_or_b32 s6, s0, s6
	s_delay_alu instid0(SALU_CYCLE_1)
	s_and_not1_b32 exec_lo, exec_lo, s6
	s_cbranch_execnz .LBB0_1157
; %bb.1162:                             ;   in Loop: Header=BB0_1157 Depth=2
	s_or_b32 exec_lo, exec_lo, s6
	s_wait_loadcnt 0x0
	v_dual_mov_b32 v7, v8 :: v_dual_mov_b32 v1, 0
	s_mov_b32 s6, 0
	s_delay_alu instid0(VALU_DEP_1) | instskip(SKIP_1) | instid1(SALU_CYCLE_1)
	v_cmp_eq_u64_e32 vcc_lo, s[4:5], v[6:7]
	s_or_b32 s1, vcc_lo, s1
	s_and_not1_b32 exec_lo, exec_lo, s1
	s_cbranch_execnz .LBB0_1157
; %bb.1163:                             ;   in Loop: Header=BB0_1 Depth=1
	s_or_b32 exec_lo, exec_lo, s1
	s_add_co_i32 s4, s2, 0xa6
	s_mov_b32 s1, s3
	s_bfe_u32 s0, s4, 0x100003
	v_dual_mov_b32 v2, s4 :: v_dual_mov_b32 v3, s4
	s_mulk_i32 s0, 0x20c5
	v_dual_mov_b32 v5, s4 :: v_dual_mov_b32 v1, 0
	s_lshr_b32 s0, s0, 20
	s_mov_b32 s5, s3
	s_mulk_i32 s0, 0x3e8
	s_delay_alu instid0(SALU_CYCLE_1) | instskip(NEXT) | instid1(SALU_CYCLE_1)
	s_sub_co_i32 s0, s4, s0
	s_and_b32 s0, s0, 0xffff
	s_delay_alu instid0(SALU_CYCLE_1) | instskip(NEXT) | instid1(SALU_CYCLE_1)
	s_lshl_b32 s0, s0, 12
	v_add_nc_u64_e32 v[6:7], s[0:1], v[10:11]
	v_add_nc_u64_e32 v[14:15], s[0:1], v[12:13]
	s_mov_b32 s1, 0
	global_store_b128 v[6:7], v[2:5], off th:TH_STORE_NT
.LBB0_1164:                             ;   Parent Loop BB0_1 Depth=1
                                        ; =>  This Inner Loop Header: Depth=2
	s_wait_loadcnt 0x0
	global_load_b128 v[6:9], v[14:15], off th:TH_LOAD_NT
	v_add_nc_u32_e32 v1, 1, v1
	s_mov_b32 s0, -1
	s_mov_b32 s7, -1
	s_mov_b32 s12, exec_lo
	s_wait_xcnt 0x0
	v_cmpx_eq_u32_e32 0xf4240, v1
	s_cbranch_execz .LBB0_1166
; %bb.1165:                             ;   in Loop: Header=BB0_1164 Depth=2
	s_wait_loadcnt 0x0
	s_wait_storecnt 0x0
	global_load_b32 v1, v4, s[10:11] scope:SCOPE_SYS
	s_wait_loadcnt 0x0
	global_inv scope:SCOPE_SYS
	v_cmp_eq_u32_e32 vcc_lo, 0, v1
	v_mov_b32_e32 v1, 0
	s_or_not1_b32 s7, vcc_lo, exec_lo
.LBB0_1166:                             ;   in Loop: Header=BB0_1164 Depth=2
	s_wait_xcnt 0x0
	s_or_b32 exec_lo, exec_lo, s12
	s_and_saveexec_b32 s12, s7
	s_cbranch_execz .LBB0_1168
; %bb.1167:                             ;   in Loop: Header=BB0_1164 Depth=2
	s_wait_loadcnt 0x0
	v_cmp_eq_u32_e32 vcc_lo, s4, v7
	v_cmp_eq_u32_e64 s0, s4, v9
	s_and_b32 s0, vcc_lo, s0
	s_delay_alu instid0(SALU_CYCLE_1)
	s_or_not1_b32 s0, s0, exec_lo
.LBB0_1168:                             ;   in Loop: Header=BB0_1164 Depth=2
	s_or_b32 exec_lo, exec_lo, s12
	s_delay_alu instid0(SALU_CYCLE_1) | instskip(NEXT) | instid1(SALU_CYCLE_1)
	s_and_b32 s0, exec_lo, s0
	s_or_b32 s6, s0, s6
	s_delay_alu instid0(SALU_CYCLE_1)
	s_and_not1_b32 exec_lo, exec_lo, s6
	s_cbranch_execnz .LBB0_1164
; %bb.1169:                             ;   in Loop: Header=BB0_1164 Depth=2
	s_or_b32 exec_lo, exec_lo, s6
	s_wait_loadcnt 0x0
	v_dual_mov_b32 v7, v8 :: v_dual_mov_b32 v1, 0
	s_mov_b32 s6, 0
	s_delay_alu instid0(VALU_DEP_1) | instskip(SKIP_1) | instid1(SALU_CYCLE_1)
	v_cmp_eq_u64_e32 vcc_lo, s[4:5], v[6:7]
	s_or_b32 s1, vcc_lo, s1
	s_and_not1_b32 exec_lo, exec_lo, s1
	s_cbranch_execnz .LBB0_1164
; %bb.1170:                             ;   in Loop: Header=BB0_1 Depth=1
	s_or_b32 exec_lo, exec_lo, s1
	s_add_co_i32 s4, s2, 0xa7
	s_mov_b32 s1, s3
	s_bfe_u32 s0, s4, 0x100003
	v_dual_mov_b32 v2, s4 :: v_dual_mov_b32 v3, s4
	s_mulk_i32 s0, 0x20c5
	v_dual_mov_b32 v5, s4 :: v_dual_mov_b32 v1, 0
	s_lshr_b32 s0, s0, 20
	s_mov_b32 s5, s3
	s_mulk_i32 s0, 0x3e8
	s_delay_alu instid0(SALU_CYCLE_1) | instskip(NEXT) | instid1(SALU_CYCLE_1)
	s_sub_co_i32 s0, s4, s0
	s_and_b32 s0, s0, 0xffff
	s_delay_alu instid0(SALU_CYCLE_1) | instskip(NEXT) | instid1(SALU_CYCLE_1)
	s_lshl_b32 s0, s0, 12
	v_add_nc_u64_e32 v[6:7], s[0:1], v[10:11]
	v_add_nc_u64_e32 v[14:15], s[0:1], v[12:13]
	s_mov_b32 s1, 0
	global_store_b128 v[6:7], v[2:5], off th:TH_STORE_NT
.LBB0_1171:                             ;   Parent Loop BB0_1 Depth=1
                                        ; =>  This Inner Loop Header: Depth=2
	s_wait_loadcnt 0x0
	global_load_b128 v[6:9], v[14:15], off th:TH_LOAD_NT
	v_add_nc_u32_e32 v1, 1, v1
	s_mov_b32 s0, -1
	s_mov_b32 s7, -1
	s_mov_b32 s12, exec_lo
	s_wait_xcnt 0x0
	v_cmpx_eq_u32_e32 0xf4240, v1
	s_cbranch_execz .LBB0_1173
; %bb.1172:                             ;   in Loop: Header=BB0_1171 Depth=2
	s_wait_loadcnt 0x0
	s_wait_storecnt 0x0
	global_load_b32 v1, v4, s[10:11] scope:SCOPE_SYS
	s_wait_loadcnt 0x0
	global_inv scope:SCOPE_SYS
	v_cmp_eq_u32_e32 vcc_lo, 0, v1
	v_mov_b32_e32 v1, 0
	s_or_not1_b32 s7, vcc_lo, exec_lo
.LBB0_1173:                             ;   in Loop: Header=BB0_1171 Depth=2
	s_wait_xcnt 0x0
	s_or_b32 exec_lo, exec_lo, s12
	s_and_saveexec_b32 s12, s7
	s_cbranch_execz .LBB0_1175
; %bb.1174:                             ;   in Loop: Header=BB0_1171 Depth=2
	s_wait_loadcnt 0x0
	v_cmp_eq_u32_e32 vcc_lo, s4, v7
	v_cmp_eq_u32_e64 s0, s4, v9
	s_and_b32 s0, vcc_lo, s0
	s_delay_alu instid0(SALU_CYCLE_1)
	s_or_not1_b32 s0, s0, exec_lo
.LBB0_1175:                             ;   in Loop: Header=BB0_1171 Depth=2
	s_or_b32 exec_lo, exec_lo, s12
	s_delay_alu instid0(SALU_CYCLE_1) | instskip(NEXT) | instid1(SALU_CYCLE_1)
	s_and_b32 s0, exec_lo, s0
	s_or_b32 s6, s0, s6
	s_delay_alu instid0(SALU_CYCLE_1)
	s_and_not1_b32 exec_lo, exec_lo, s6
	s_cbranch_execnz .LBB0_1171
; %bb.1176:                             ;   in Loop: Header=BB0_1171 Depth=2
	s_or_b32 exec_lo, exec_lo, s6
	s_wait_loadcnt 0x0
	v_dual_mov_b32 v7, v8 :: v_dual_mov_b32 v1, 0
	s_mov_b32 s6, 0
	s_delay_alu instid0(VALU_DEP_1) | instskip(SKIP_1) | instid1(SALU_CYCLE_1)
	v_cmp_eq_u64_e32 vcc_lo, s[4:5], v[6:7]
	s_or_b32 s1, vcc_lo, s1
	s_and_not1_b32 exec_lo, exec_lo, s1
	s_cbranch_execnz .LBB0_1171
; %bb.1177:                             ;   in Loop: Header=BB0_1 Depth=1
	s_or_b32 exec_lo, exec_lo, s1
	s_add_co_i32 s4, s2, 0xa8
	s_mov_b32 s1, s3
	s_bfe_u32 s0, s4, 0x100003
	v_dual_mov_b32 v2, s4 :: v_dual_mov_b32 v3, s4
	s_mulk_i32 s0, 0x20c5
	v_dual_mov_b32 v5, s4 :: v_dual_mov_b32 v1, 0
	s_lshr_b32 s0, s0, 20
	s_mov_b32 s5, s3
	s_mulk_i32 s0, 0x3e8
	s_delay_alu instid0(SALU_CYCLE_1) | instskip(NEXT) | instid1(SALU_CYCLE_1)
	s_sub_co_i32 s0, s4, s0
	s_and_b32 s0, s0, 0xffff
	s_delay_alu instid0(SALU_CYCLE_1) | instskip(NEXT) | instid1(SALU_CYCLE_1)
	s_lshl_b32 s0, s0, 12
	v_add_nc_u64_e32 v[6:7], s[0:1], v[10:11]
	v_add_nc_u64_e32 v[14:15], s[0:1], v[12:13]
	s_mov_b32 s1, 0
	global_store_b128 v[6:7], v[2:5], off th:TH_STORE_NT
.LBB0_1178:                             ;   Parent Loop BB0_1 Depth=1
                                        ; =>  This Inner Loop Header: Depth=2
	s_wait_loadcnt 0x0
	global_load_b128 v[6:9], v[14:15], off th:TH_LOAD_NT
	v_add_nc_u32_e32 v1, 1, v1
	s_mov_b32 s0, -1
	s_mov_b32 s7, -1
	s_mov_b32 s12, exec_lo
	s_wait_xcnt 0x0
	v_cmpx_eq_u32_e32 0xf4240, v1
	s_cbranch_execz .LBB0_1180
; %bb.1179:                             ;   in Loop: Header=BB0_1178 Depth=2
	s_wait_loadcnt 0x0
	s_wait_storecnt 0x0
	global_load_b32 v1, v4, s[10:11] scope:SCOPE_SYS
	s_wait_loadcnt 0x0
	global_inv scope:SCOPE_SYS
	v_cmp_eq_u32_e32 vcc_lo, 0, v1
	v_mov_b32_e32 v1, 0
	s_or_not1_b32 s7, vcc_lo, exec_lo
.LBB0_1180:                             ;   in Loop: Header=BB0_1178 Depth=2
	s_wait_xcnt 0x0
	s_or_b32 exec_lo, exec_lo, s12
	s_and_saveexec_b32 s12, s7
	s_cbranch_execz .LBB0_1182
; %bb.1181:                             ;   in Loop: Header=BB0_1178 Depth=2
	s_wait_loadcnt 0x0
	v_cmp_eq_u32_e32 vcc_lo, s4, v7
	v_cmp_eq_u32_e64 s0, s4, v9
	s_and_b32 s0, vcc_lo, s0
	s_delay_alu instid0(SALU_CYCLE_1)
	s_or_not1_b32 s0, s0, exec_lo
.LBB0_1182:                             ;   in Loop: Header=BB0_1178 Depth=2
	s_or_b32 exec_lo, exec_lo, s12
	s_delay_alu instid0(SALU_CYCLE_1) | instskip(NEXT) | instid1(SALU_CYCLE_1)
	s_and_b32 s0, exec_lo, s0
	s_or_b32 s6, s0, s6
	s_delay_alu instid0(SALU_CYCLE_1)
	s_and_not1_b32 exec_lo, exec_lo, s6
	s_cbranch_execnz .LBB0_1178
; %bb.1183:                             ;   in Loop: Header=BB0_1178 Depth=2
	s_or_b32 exec_lo, exec_lo, s6
	s_wait_loadcnt 0x0
	v_dual_mov_b32 v7, v8 :: v_dual_mov_b32 v1, 0
	s_mov_b32 s6, 0
	s_delay_alu instid0(VALU_DEP_1) | instskip(SKIP_1) | instid1(SALU_CYCLE_1)
	v_cmp_eq_u64_e32 vcc_lo, s[4:5], v[6:7]
	s_or_b32 s1, vcc_lo, s1
	s_and_not1_b32 exec_lo, exec_lo, s1
	s_cbranch_execnz .LBB0_1178
; %bb.1184:                             ;   in Loop: Header=BB0_1 Depth=1
	s_or_b32 exec_lo, exec_lo, s1
	s_add_co_i32 s4, s2, 0xa9
	s_mov_b32 s1, s3
	s_bfe_u32 s0, s4, 0x100003
	v_dual_mov_b32 v2, s4 :: v_dual_mov_b32 v3, s4
	s_mulk_i32 s0, 0x20c5
	v_dual_mov_b32 v5, s4 :: v_dual_mov_b32 v1, 0
	s_lshr_b32 s0, s0, 20
	s_mov_b32 s5, s3
	s_mulk_i32 s0, 0x3e8
	s_delay_alu instid0(SALU_CYCLE_1) | instskip(NEXT) | instid1(SALU_CYCLE_1)
	s_sub_co_i32 s0, s4, s0
	s_and_b32 s0, s0, 0xffff
	s_delay_alu instid0(SALU_CYCLE_1) | instskip(NEXT) | instid1(SALU_CYCLE_1)
	s_lshl_b32 s0, s0, 12
	v_add_nc_u64_e32 v[6:7], s[0:1], v[10:11]
	v_add_nc_u64_e32 v[14:15], s[0:1], v[12:13]
	s_mov_b32 s1, 0
	global_store_b128 v[6:7], v[2:5], off th:TH_STORE_NT
.LBB0_1185:                             ;   Parent Loop BB0_1 Depth=1
                                        ; =>  This Inner Loop Header: Depth=2
	s_wait_loadcnt 0x0
	global_load_b128 v[6:9], v[14:15], off th:TH_LOAD_NT
	v_add_nc_u32_e32 v1, 1, v1
	s_mov_b32 s0, -1
	s_mov_b32 s7, -1
	s_mov_b32 s12, exec_lo
	s_wait_xcnt 0x0
	v_cmpx_eq_u32_e32 0xf4240, v1
	s_cbranch_execz .LBB0_1187
; %bb.1186:                             ;   in Loop: Header=BB0_1185 Depth=2
	s_wait_loadcnt 0x0
	s_wait_storecnt 0x0
	global_load_b32 v1, v4, s[10:11] scope:SCOPE_SYS
	s_wait_loadcnt 0x0
	global_inv scope:SCOPE_SYS
	v_cmp_eq_u32_e32 vcc_lo, 0, v1
	v_mov_b32_e32 v1, 0
	s_or_not1_b32 s7, vcc_lo, exec_lo
.LBB0_1187:                             ;   in Loop: Header=BB0_1185 Depth=2
	s_wait_xcnt 0x0
	s_or_b32 exec_lo, exec_lo, s12
	s_and_saveexec_b32 s12, s7
	s_cbranch_execz .LBB0_1189
; %bb.1188:                             ;   in Loop: Header=BB0_1185 Depth=2
	s_wait_loadcnt 0x0
	v_cmp_eq_u32_e32 vcc_lo, s4, v7
	v_cmp_eq_u32_e64 s0, s4, v9
	s_and_b32 s0, vcc_lo, s0
	s_delay_alu instid0(SALU_CYCLE_1)
	s_or_not1_b32 s0, s0, exec_lo
.LBB0_1189:                             ;   in Loop: Header=BB0_1185 Depth=2
	s_or_b32 exec_lo, exec_lo, s12
	s_delay_alu instid0(SALU_CYCLE_1) | instskip(NEXT) | instid1(SALU_CYCLE_1)
	s_and_b32 s0, exec_lo, s0
	s_or_b32 s6, s0, s6
	s_delay_alu instid0(SALU_CYCLE_1)
	s_and_not1_b32 exec_lo, exec_lo, s6
	s_cbranch_execnz .LBB0_1185
; %bb.1190:                             ;   in Loop: Header=BB0_1185 Depth=2
	s_or_b32 exec_lo, exec_lo, s6
	s_wait_loadcnt 0x0
	v_dual_mov_b32 v7, v8 :: v_dual_mov_b32 v1, 0
	s_mov_b32 s6, 0
	s_delay_alu instid0(VALU_DEP_1) | instskip(SKIP_1) | instid1(SALU_CYCLE_1)
	v_cmp_eq_u64_e32 vcc_lo, s[4:5], v[6:7]
	s_or_b32 s1, vcc_lo, s1
	s_and_not1_b32 exec_lo, exec_lo, s1
	s_cbranch_execnz .LBB0_1185
; %bb.1191:                             ;   in Loop: Header=BB0_1 Depth=1
	s_or_b32 exec_lo, exec_lo, s1
	s_add_co_i32 s4, s2, 0xaa
	s_mov_b32 s1, s3
	s_bfe_u32 s0, s4, 0x100003
	v_dual_mov_b32 v2, s4 :: v_dual_mov_b32 v3, s4
	s_mulk_i32 s0, 0x20c5
	v_dual_mov_b32 v5, s4 :: v_dual_mov_b32 v1, 0
	s_lshr_b32 s0, s0, 20
	s_mov_b32 s5, s3
	s_mulk_i32 s0, 0x3e8
	s_delay_alu instid0(SALU_CYCLE_1) | instskip(NEXT) | instid1(SALU_CYCLE_1)
	s_sub_co_i32 s0, s4, s0
	s_and_b32 s0, s0, 0xffff
	s_delay_alu instid0(SALU_CYCLE_1) | instskip(NEXT) | instid1(SALU_CYCLE_1)
	s_lshl_b32 s0, s0, 12
	v_add_nc_u64_e32 v[6:7], s[0:1], v[10:11]
	v_add_nc_u64_e32 v[14:15], s[0:1], v[12:13]
	s_mov_b32 s1, 0
	global_store_b128 v[6:7], v[2:5], off th:TH_STORE_NT
.LBB0_1192:                             ;   Parent Loop BB0_1 Depth=1
                                        ; =>  This Inner Loop Header: Depth=2
	s_wait_loadcnt 0x0
	global_load_b128 v[6:9], v[14:15], off th:TH_LOAD_NT
	v_add_nc_u32_e32 v1, 1, v1
	s_mov_b32 s0, -1
	s_mov_b32 s7, -1
	s_mov_b32 s12, exec_lo
	s_wait_xcnt 0x0
	v_cmpx_eq_u32_e32 0xf4240, v1
	s_cbranch_execz .LBB0_1194
; %bb.1193:                             ;   in Loop: Header=BB0_1192 Depth=2
	s_wait_loadcnt 0x0
	s_wait_storecnt 0x0
	global_load_b32 v1, v4, s[10:11] scope:SCOPE_SYS
	s_wait_loadcnt 0x0
	global_inv scope:SCOPE_SYS
	v_cmp_eq_u32_e32 vcc_lo, 0, v1
	v_mov_b32_e32 v1, 0
	s_or_not1_b32 s7, vcc_lo, exec_lo
.LBB0_1194:                             ;   in Loop: Header=BB0_1192 Depth=2
	s_wait_xcnt 0x0
	s_or_b32 exec_lo, exec_lo, s12
	s_and_saveexec_b32 s12, s7
	s_cbranch_execz .LBB0_1196
; %bb.1195:                             ;   in Loop: Header=BB0_1192 Depth=2
	s_wait_loadcnt 0x0
	v_cmp_eq_u32_e32 vcc_lo, s4, v7
	v_cmp_eq_u32_e64 s0, s4, v9
	s_and_b32 s0, vcc_lo, s0
	s_delay_alu instid0(SALU_CYCLE_1)
	s_or_not1_b32 s0, s0, exec_lo
.LBB0_1196:                             ;   in Loop: Header=BB0_1192 Depth=2
	s_or_b32 exec_lo, exec_lo, s12
	s_delay_alu instid0(SALU_CYCLE_1) | instskip(NEXT) | instid1(SALU_CYCLE_1)
	s_and_b32 s0, exec_lo, s0
	s_or_b32 s6, s0, s6
	s_delay_alu instid0(SALU_CYCLE_1)
	s_and_not1_b32 exec_lo, exec_lo, s6
	s_cbranch_execnz .LBB0_1192
; %bb.1197:                             ;   in Loop: Header=BB0_1192 Depth=2
	s_or_b32 exec_lo, exec_lo, s6
	s_wait_loadcnt 0x0
	v_dual_mov_b32 v7, v8 :: v_dual_mov_b32 v1, 0
	s_mov_b32 s6, 0
	s_delay_alu instid0(VALU_DEP_1) | instskip(SKIP_1) | instid1(SALU_CYCLE_1)
	v_cmp_eq_u64_e32 vcc_lo, s[4:5], v[6:7]
	s_or_b32 s1, vcc_lo, s1
	s_and_not1_b32 exec_lo, exec_lo, s1
	s_cbranch_execnz .LBB0_1192
; %bb.1198:                             ;   in Loop: Header=BB0_1 Depth=1
	s_or_b32 exec_lo, exec_lo, s1
	s_add_co_i32 s4, s2, 0xab
	s_mov_b32 s1, s3
	s_bfe_u32 s0, s4, 0x100003
	v_dual_mov_b32 v2, s4 :: v_dual_mov_b32 v3, s4
	s_mulk_i32 s0, 0x20c5
	v_dual_mov_b32 v5, s4 :: v_dual_mov_b32 v1, 0
	s_lshr_b32 s0, s0, 20
	s_mov_b32 s5, s3
	s_mulk_i32 s0, 0x3e8
	s_delay_alu instid0(SALU_CYCLE_1) | instskip(NEXT) | instid1(SALU_CYCLE_1)
	s_sub_co_i32 s0, s4, s0
	s_and_b32 s0, s0, 0xffff
	s_delay_alu instid0(SALU_CYCLE_1) | instskip(NEXT) | instid1(SALU_CYCLE_1)
	s_lshl_b32 s0, s0, 12
	v_add_nc_u64_e32 v[6:7], s[0:1], v[10:11]
	v_add_nc_u64_e32 v[14:15], s[0:1], v[12:13]
	s_mov_b32 s1, 0
	global_store_b128 v[6:7], v[2:5], off th:TH_STORE_NT
.LBB0_1199:                             ;   Parent Loop BB0_1 Depth=1
                                        ; =>  This Inner Loop Header: Depth=2
	s_wait_loadcnt 0x0
	global_load_b128 v[6:9], v[14:15], off th:TH_LOAD_NT
	v_add_nc_u32_e32 v1, 1, v1
	s_mov_b32 s0, -1
	s_mov_b32 s7, -1
	s_mov_b32 s12, exec_lo
	s_wait_xcnt 0x0
	v_cmpx_eq_u32_e32 0xf4240, v1
	s_cbranch_execz .LBB0_1201
; %bb.1200:                             ;   in Loop: Header=BB0_1199 Depth=2
	s_wait_loadcnt 0x0
	s_wait_storecnt 0x0
	global_load_b32 v1, v4, s[10:11] scope:SCOPE_SYS
	s_wait_loadcnt 0x0
	global_inv scope:SCOPE_SYS
	v_cmp_eq_u32_e32 vcc_lo, 0, v1
	v_mov_b32_e32 v1, 0
	s_or_not1_b32 s7, vcc_lo, exec_lo
.LBB0_1201:                             ;   in Loop: Header=BB0_1199 Depth=2
	s_wait_xcnt 0x0
	s_or_b32 exec_lo, exec_lo, s12
	s_and_saveexec_b32 s12, s7
	s_cbranch_execz .LBB0_1203
; %bb.1202:                             ;   in Loop: Header=BB0_1199 Depth=2
	s_wait_loadcnt 0x0
	v_cmp_eq_u32_e32 vcc_lo, s4, v7
	v_cmp_eq_u32_e64 s0, s4, v9
	s_and_b32 s0, vcc_lo, s0
	s_delay_alu instid0(SALU_CYCLE_1)
	s_or_not1_b32 s0, s0, exec_lo
.LBB0_1203:                             ;   in Loop: Header=BB0_1199 Depth=2
	s_or_b32 exec_lo, exec_lo, s12
	s_delay_alu instid0(SALU_CYCLE_1) | instskip(NEXT) | instid1(SALU_CYCLE_1)
	s_and_b32 s0, exec_lo, s0
	s_or_b32 s6, s0, s6
	s_delay_alu instid0(SALU_CYCLE_1)
	s_and_not1_b32 exec_lo, exec_lo, s6
	s_cbranch_execnz .LBB0_1199
; %bb.1204:                             ;   in Loop: Header=BB0_1199 Depth=2
	s_or_b32 exec_lo, exec_lo, s6
	s_wait_loadcnt 0x0
	v_dual_mov_b32 v7, v8 :: v_dual_mov_b32 v1, 0
	s_mov_b32 s6, 0
	s_delay_alu instid0(VALU_DEP_1) | instskip(SKIP_1) | instid1(SALU_CYCLE_1)
	v_cmp_eq_u64_e32 vcc_lo, s[4:5], v[6:7]
	s_or_b32 s1, vcc_lo, s1
	s_and_not1_b32 exec_lo, exec_lo, s1
	s_cbranch_execnz .LBB0_1199
; %bb.1205:                             ;   in Loop: Header=BB0_1 Depth=1
	s_or_b32 exec_lo, exec_lo, s1
	s_add_co_i32 s4, s2, 0xac
	s_mov_b32 s1, s3
	s_bfe_u32 s0, s4, 0x100003
	v_dual_mov_b32 v2, s4 :: v_dual_mov_b32 v3, s4
	s_mulk_i32 s0, 0x20c5
	v_dual_mov_b32 v5, s4 :: v_dual_mov_b32 v1, 0
	s_lshr_b32 s0, s0, 20
	s_mov_b32 s5, s3
	s_mulk_i32 s0, 0x3e8
	s_delay_alu instid0(SALU_CYCLE_1) | instskip(NEXT) | instid1(SALU_CYCLE_1)
	s_sub_co_i32 s0, s4, s0
	s_and_b32 s0, s0, 0xffff
	s_delay_alu instid0(SALU_CYCLE_1) | instskip(NEXT) | instid1(SALU_CYCLE_1)
	s_lshl_b32 s0, s0, 12
	v_add_nc_u64_e32 v[6:7], s[0:1], v[10:11]
	v_add_nc_u64_e32 v[14:15], s[0:1], v[12:13]
	s_mov_b32 s1, 0
	global_store_b128 v[6:7], v[2:5], off th:TH_STORE_NT
.LBB0_1206:                             ;   Parent Loop BB0_1 Depth=1
                                        ; =>  This Inner Loop Header: Depth=2
	s_wait_loadcnt 0x0
	global_load_b128 v[6:9], v[14:15], off th:TH_LOAD_NT
	v_add_nc_u32_e32 v1, 1, v1
	s_mov_b32 s0, -1
	s_mov_b32 s7, -1
	s_mov_b32 s12, exec_lo
	s_wait_xcnt 0x0
	v_cmpx_eq_u32_e32 0xf4240, v1
	s_cbranch_execz .LBB0_1208
; %bb.1207:                             ;   in Loop: Header=BB0_1206 Depth=2
	s_wait_loadcnt 0x0
	s_wait_storecnt 0x0
	global_load_b32 v1, v4, s[10:11] scope:SCOPE_SYS
	s_wait_loadcnt 0x0
	global_inv scope:SCOPE_SYS
	v_cmp_eq_u32_e32 vcc_lo, 0, v1
	v_mov_b32_e32 v1, 0
	s_or_not1_b32 s7, vcc_lo, exec_lo
.LBB0_1208:                             ;   in Loop: Header=BB0_1206 Depth=2
	s_wait_xcnt 0x0
	s_or_b32 exec_lo, exec_lo, s12
	s_and_saveexec_b32 s12, s7
	s_cbranch_execz .LBB0_1210
; %bb.1209:                             ;   in Loop: Header=BB0_1206 Depth=2
	s_wait_loadcnt 0x0
	v_cmp_eq_u32_e32 vcc_lo, s4, v7
	v_cmp_eq_u32_e64 s0, s4, v9
	s_and_b32 s0, vcc_lo, s0
	s_delay_alu instid0(SALU_CYCLE_1)
	s_or_not1_b32 s0, s0, exec_lo
.LBB0_1210:                             ;   in Loop: Header=BB0_1206 Depth=2
	s_or_b32 exec_lo, exec_lo, s12
	s_delay_alu instid0(SALU_CYCLE_1) | instskip(NEXT) | instid1(SALU_CYCLE_1)
	s_and_b32 s0, exec_lo, s0
	s_or_b32 s6, s0, s6
	s_delay_alu instid0(SALU_CYCLE_1)
	s_and_not1_b32 exec_lo, exec_lo, s6
	s_cbranch_execnz .LBB0_1206
; %bb.1211:                             ;   in Loop: Header=BB0_1206 Depth=2
	s_or_b32 exec_lo, exec_lo, s6
	s_wait_loadcnt 0x0
	v_dual_mov_b32 v7, v8 :: v_dual_mov_b32 v1, 0
	s_mov_b32 s6, 0
	s_delay_alu instid0(VALU_DEP_1) | instskip(SKIP_1) | instid1(SALU_CYCLE_1)
	v_cmp_eq_u64_e32 vcc_lo, s[4:5], v[6:7]
	s_or_b32 s1, vcc_lo, s1
	s_and_not1_b32 exec_lo, exec_lo, s1
	s_cbranch_execnz .LBB0_1206
; %bb.1212:                             ;   in Loop: Header=BB0_1 Depth=1
	s_or_b32 exec_lo, exec_lo, s1
	s_add_co_i32 s4, s2, 0xad
	s_mov_b32 s1, s3
	s_bfe_u32 s0, s4, 0x100003
	v_dual_mov_b32 v2, s4 :: v_dual_mov_b32 v3, s4
	s_mulk_i32 s0, 0x20c5
	v_dual_mov_b32 v5, s4 :: v_dual_mov_b32 v1, 0
	s_lshr_b32 s0, s0, 20
	s_mov_b32 s5, s3
	s_mulk_i32 s0, 0x3e8
	s_delay_alu instid0(SALU_CYCLE_1) | instskip(NEXT) | instid1(SALU_CYCLE_1)
	s_sub_co_i32 s0, s4, s0
	s_and_b32 s0, s0, 0xffff
	s_delay_alu instid0(SALU_CYCLE_1) | instskip(NEXT) | instid1(SALU_CYCLE_1)
	s_lshl_b32 s0, s0, 12
	v_add_nc_u64_e32 v[6:7], s[0:1], v[10:11]
	v_add_nc_u64_e32 v[14:15], s[0:1], v[12:13]
	s_mov_b32 s1, 0
	global_store_b128 v[6:7], v[2:5], off th:TH_STORE_NT
.LBB0_1213:                             ;   Parent Loop BB0_1 Depth=1
                                        ; =>  This Inner Loop Header: Depth=2
	s_wait_loadcnt 0x0
	global_load_b128 v[6:9], v[14:15], off th:TH_LOAD_NT
	v_add_nc_u32_e32 v1, 1, v1
	s_mov_b32 s0, -1
	s_mov_b32 s7, -1
	s_mov_b32 s12, exec_lo
	s_wait_xcnt 0x0
	v_cmpx_eq_u32_e32 0xf4240, v1
	s_cbranch_execz .LBB0_1215
; %bb.1214:                             ;   in Loop: Header=BB0_1213 Depth=2
	s_wait_loadcnt 0x0
	s_wait_storecnt 0x0
	global_load_b32 v1, v4, s[10:11] scope:SCOPE_SYS
	s_wait_loadcnt 0x0
	global_inv scope:SCOPE_SYS
	v_cmp_eq_u32_e32 vcc_lo, 0, v1
	v_mov_b32_e32 v1, 0
	s_or_not1_b32 s7, vcc_lo, exec_lo
.LBB0_1215:                             ;   in Loop: Header=BB0_1213 Depth=2
	s_wait_xcnt 0x0
	s_or_b32 exec_lo, exec_lo, s12
	s_and_saveexec_b32 s12, s7
	s_cbranch_execz .LBB0_1217
; %bb.1216:                             ;   in Loop: Header=BB0_1213 Depth=2
	s_wait_loadcnt 0x0
	v_cmp_eq_u32_e32 vcc_lo, s4, v7
	v_cmp_eq_u32_e64 s0, s4, v9
	s_and_b32 s0, vcc_lo, s0
	s_delay_alu instid0(SALU_CYCLE_1)
	s_or_not1_b32 s0, s0, exec_lo
.LBB0_1217:                             ;   in Loop: Header=BB0_1213 Depth=2
	s_or_b32 exec_lo, exec_lo, s12
	s_delay_alu instid0(SALU_CYCLE_1) | instskip(NEXT) | instid1(SALU_CYCLE_1)
	s_and_b32 s0, exec_lo, s0
	s_or_b32 s6, s0, s6
	s_delay_alu instid0(SALU_CYCLE_1)
	s_and_not1_b32 exec_lo, exec_lo, s6
	s_cbranch_execnz .LBB0_1213
; %bb.1218:                             ;   in Loop: Header=BB0_1213 Depth=2
	s_or_b32 exec_lo, exec_lo, s6
	s_wait_loadcnt 0x0
	v_dual_mov_b32 v7, v8 :: v_dual_mov_b32 v1, 0
	s_mov_b32 s6, 0
	s_delay_alu instid0(VALU_DEP_1) | instskip(SKIP_1) | instid1(SALU_CYCLE_1)
	v_cmp_eq_u64_e32 vcc_lo, s[4:5], v[6:7]
	s_or_b32 s1, vcc_lo, s1
	s_and_not1_b32 exec_lo, exec_lo, s1
	s_cbranch_execnz .LBB0_1213
; %bb.1219:                             ;   in Loop: Header=BB0_1 Depth=1
	s_or_b32 exec_lo, exec_lo, s1
	s_add_co_i32 s4, s2, 0xae
	s_mov_b32 s1, s3
	s_bfe_u32 s0, s4, 0x100003
	v_dual_mov_b32 v2, s4 :: v_dual_mov_b32 v3, s4
	s_mulk_i32 s0, 0x20c5
	v_dual_mov_b32 v5, s4 :: v_dual_mov_b32 v1, 0
	s_lshr_b32 s0, s0, 20
	s_mov_b32 s5, s3
	s_mulk_i32 s0, 0x3e8
	s_delay_alu instid0(SALU_CYCLE_1) | instskip(NEXT) | instid1(SALU_CYCLE_1)
	s_sub_co_i32 s0, s4, s0
	s_and_b32 s0, s0, 0xffff
	s_delay_alu instid0(SALU_CYCLE_1) | instskip(NEXT) | instid1(SALU_CYCLE_1)
	s_lshl_b32 s0, s0, 12
	v_add_nc_u64_e32 v[6:7], s[0:1], v[10:11]
	v_add_nc_u64_e32 v[14:15], s[0:1], v[12:13]
	s_mov_b32 s1, 0
	global_store_b128 v[6:7], v[2:5], off th:TH_STORE_NT
.LBB0_1220:                             ;   Parent Loop BB0_1 Depth=1
                                        ; =>  This Inner Loop Header: Depth=2
	s_wait_loadcnt 0x0
	global_load_b128 v[6:9], v[14:15], off th:TH_LOAD_NT
	v_add_nc_u32_e32 v1, 1, v1
	s_mov_b32 s0, -1
	s_mov_b32 s7, -1
	s_mov_b32 s12, exec_lo
	s_wait_xcnt 0x0
	v_cmpx_eq_u32_e32 0xf4240, v1
	s_cbranch_execz .LBB0_1222
; %bb.1221:                             ;   in Loop: Header=BB0_1220 Depth=2
	s_wait_loadcnt 0x0
	s_wait_storecnt 0x0
	global_load_b32 v1, v4, s[10:11] scope:SCOPE_SYS
	s_wait_loadcnt 0x0
	global_inv scope:SCOPE_SYS
	v_cmp_eq_u32_e32 vcc_lo, 0, v1
	v_mov_b32_e32 v1, 0
	s_or_not1_b32 s7, vcc_lo, exec_lo
.LBB0_1222:                             ;   in Loop: Header=BB0_1220 Depth=2
	s_wait_xcnt 0x0
	s_or_b32 exec_lo, exec_lo, s12
	s_and_saveexec_b32 s12, s7
	s_cbranch_execz .LBB0_1224
; %bb.1223:                             ;   in Loop: Header=BB0_1220 Depth=2
	s_wait_loadcnt 0x0
	v_cmp_eq_u32_e32 vcc_lo, s4, v7
	v_cmp_eq_u32_e64 s0, s4, v9
	s_and_b32 s0, vcc_lo, s0
	s_delay_alu instid0(SALU_CYCLE_1)
	s_or_not1_b32 s0, s0, exec_lo
.LBB0_1224:                             ;   in Loop: Header=BB0_1220 Depth=2
	s_or_b32 exec_lo, exec_lo, s12
	s_delay_alu instid0(SALU_CYCLE_1) | instskip(NEXT) | instid1(SALU_CYCLE_1)
	s_and_b32 s0, exec_lo, s0
	s_or_b32 s6, s0, s6
	s_delay_alu instid0(SALU_CYCLE_1)
	s_and_not1_b32 exec_lo, exec_lo, s6
	s_cbranch_execnz .LBB0_1220
; %bb.1225:                             ;   in Loop: Header=BB0_1220 Depth=2
	s_or_b32 exec_lo, exec_lo, s6
	s_wait_loadcnt 0x0
	v_dual_mov_b32 v7, v8 :: v_dual_mov_b32 v1, 0
	s_mov_b32 s6, 0
	s_delay_alu instid0(VALU_DEP_1) | instskip(SKIP_1) | instid1(SALU_CYCLE_1)
	v_cmp_eq_u64_e32 vcc_lo, s[4:5], v[6:7]
	s_or_b32 s1, vcc_lo, s1
	s_and_not1_b32 exec_lo, exec_lo, s1
	s_cbranch_execnz .LBB0_1220
; %bb.1226:                             ;   in Loop: Header=BB0_1 Depth=1
	s_or_b32 exec_lo, exec_lo, s1
	s_add_co_i32 s4, s2, 0xaf
	s_mov_b32 s1, s3
	s_bfe_u32 s0, s4, 0x100003
	v_dual_mov_b32 v2, s4 :: v_dual_mov_b32 v3, s4
	s_mulk_i32 s0, 0x20c5
	v_dual_mov_b32 v5, s4 :: v_dual_mov_b32 v1, 0
	s_lshr_b32 s0, s0, 20
	s_mov_b32 s5, s3
	s_mulk_i32 s0, 0x3e8
	s_delay_alu instid0(SALU_CYCLE_1) | instskip(NEXT) | instid1(SALU_CYCLE_1)
	s_sub_co_i32 s0, s4, s0
	s_and_b32 s0, s0, 0xffff
	s_delay_alu instid0(SALU_CYCLE_1) | instskip(NEXT) | instid1(SALU_CYCLE_1)
	s_lshl_b32 s0, s0, 12
	v_add_nc_u64_e32 v[6:7], s[0:1], v[10:11]
	v_add_nc_u64_e32 v[14:15], s[0:1], v[12:13]
	s_mov_b32 s1, 0
	global_store_b128 v[6:7], v[2:5], off th:TH_STORE_NT
.LBB0_1227:                             ;   Parent Loop BB0_1 Depth=1
                                        ; =>  This Inner Loop Header: Depth=2
	s_wait_loadcnt 0x0
	global_load_b128 v[6:9], v[14:15], off th:TH_LOAD_NT
	v_add_nc_u32_e32 v1, 1, v1
	s_mov_b32 s0, -1
	s_mov_b32 s7, -1
	s_mov_b32 s12, exec_lo
	s_wait_xcnt 0x0
	v_cmpx_eq_u32_e32 0xf4240, v1
	s_cbranch_execz .LBB0_1229
; %bb.1228:                             ;   in Loop: Header=BB0_1227 Depth=2
	s_wait_loadcnt 0x0
	s_wait_storecnt 0x0
	global_load_b32 v1, v4, s[10:11] scope:SCOPE_SYS
	s_wait_loadcnt 0x0
	global_inv scope:SCOPE_SYS
	v_cmp_eq_u32_e32 vcc_lo, 0, v1
	v_mov_b32_e32 v1, 0
	s_or_not1_b32 s7, vcc_lo, exec_lo
.LBB0_1229:                             ;   in Loop: Header=BB0_1227 Depth=2
	s_wait_xcnt 0x0
	s_or_b32 exec_lo, exec_lo, s12
	s_and_saveexec_b32 s12, s7
	s_cbranch_execz .LBB0_1231
; %bb.1230:                             ;   in Loop: Header=BB0_1227 Depth=2
	s_wait_loadcnt 0x0
	v_cmp_eq_u32_e32 vcc_lo, s4, v7
	v_cmp_eq_u32_e64 s0, s4, v9
	s_and_b32 s0, vcc_lo, s0
	s_delay_alu instid0(SALU_CYCLE_1)
	s_or_not1_b32 s0, s0, exec_lo
.LBB0_1231:                             ;   in Loop: Header=BB0_1227 Depth=2
	s_or_b32 exec_lo, exec_lo, s12
	s_delay_alu instid0(SALU_CYCLE_1) | instskip(NEXT) | instid1(SALU_CYCLE_1)
	s_and_b32 s0, exec_lo, s0
	s_or_b32 s6, s0, s6
	s_delay_alu instid0(SALU_CYCLE_1)
	s_and_not1_b32 exec_lo, exec_lo, s6
	s_cbranch_execnz .LBB0_1227
; %bb.1232:                             ;   in Loop: Header=BB0_1227 Depth=2
	s_or_b32 exec_lo, exec_lo, s6
	s_wait_loadcnt 0x0
	v_dual_mov_b32 v7, v8 :: v_dual_mov_b32 v1, 0
	s_mov_b32 s6, 0
	s_delay_alu instid0(VALU_DEP_1) | instskip(SKIP_1) | instid1(SALU_CYCLE_1)
	v_cmp_eq_u64_e32 vcc_lo, s[4:5], v[6:7]
	s_or_b32 s1, vcc_lo, s1
	s_and_not1_b32 exec_lo, exec_lo, s1
	s_cbranch_execnz .LBB0_1227
; %bb.1233:                             ;   in Loop: Header=BB0_1 Depth=1
	s_or_b32 exec_lo, exec_lo, s1
	s_add_co_i32 s4, s2, 0xb0
	s_mov_b32 s1, s3
	s_bfe_u32 s0, s4, 0x100003
	v_dual_mov_b32 v2, s4 :: v_dual_mov_b32 v3, s4
	s_mulk_i32 s0, 0x20c5
	v_dual_mov_b32 v5, s4 :: v_dual_mov_b32 v1, 0
	s_lshr_b32 s0, s0, 20
	s_mov_b32 s5, s3
	s_mulk_i32 s0, 0x3e8
	s_delay_alu instid0(SALU_CYCLE_1) | instskip(NEXT) | instid1(SALU_CYCLE_1)
	s_sub_co_i32 s0, s4, s0
	s_and_b32 s0, s0, 0xffff
	s_delay_alu instid0(SALU_CYCLE_1) | instskip(NEXT) | instid1(SALU_CYCLE_1)
	s_lshl_b32 s0, s0, 12
	v_add_nc_u64_e32 v[6:7], s[0:1], v[10:11]
	v_add_nc_u64_e32 v[14:15], s[0:1], v[12:13]
	s_mov_b32 s1, 0
	global_store_b128 v[6:7], v[2:5], off th:TH_STORE_NT
.LBB0_1234:                             ;   Parent Loop BB0_1 Depth=1
                                        ; =>  This Inner Loop Header: Depth=2
	s_wait_loadcnt 0x0
	global_load_b128 v[6:9], v[14:15], off th:TH_LOAD_NT
	v_add_nc_u32_e32 v1, 1, v1
	s_mov_b32 s0, -1
	s_mov_b32 s7, -1
	s_mov_b32 s12, exec_lo
	s_wait_xcnt 0x0
	v_cmpx_eq_u32_e32 0xf4240, v1
	s_cbranch_execz .LBB0_1236
; %bb.1235:                             ;   in Loop: Header=BB0_1234 Depth=2
	s_wait_loadcnt 0x0
	s_wait_storecnt 0x0
	global_load_b32 v1, v4, s[10:11] scope:SCOPE_SYS
	s_wait_loadcnt 0x0
	global_inv scope:SCOPE_SYS
	v_cmp_eq_u32_e32 vcc_lo, 0, v1
	v_mov_b32_e32 v1, 0
	s_or_not1_b32 s7, vcc_lo, exec_lo
.LBB0_1236:                             ;   in Loop: Header=BB0_1234 Depth=2
	s_wait_xcnt 0x0
	s_or_b32 exec_lo, exec_lo, s12
	s_and_saveexec_b32 s12, s7
	s_cbranch_execz .LBB0_1238
; %bb.1237:                             ;   in Loop: Header=BB0_1234 Depth=2
	s_wait_loadcnt 0x0
	v_cmp_eq_u32_e32 vcc_lo, s4, v7
	v_cmp_eq_u32_e64 s0, s4, v9
	s_and_b32 s0, vcc_lo, s0
	s_delay_alu instid0(SALU_CYCLE_1)
	s_or_not1_b32 s0, s0, exec_lo
.LBB0_1238:                             ;   in Loop: Header=BB0_1234 Depth=2
	s_or_b32 exec_lo, exec_lo, s12
	s_delay_alu instid0(SALU_CYCLE_1) | instskip(NEXT) | instid1(SALU_CYCLE_1)
	s_and_b32 s0, exec_lo, s0
	s_or_b32 s6, s0, s6
	s_delay_alu instid0(SALU_CYCLE_1)
	s_and_not1_b32 exec_lo, exec_lo, s6
	s_cbranch_execnz .LBB0_1234
; %bb.1239:                             ;   in Loop: Header=BB0_1234 Depth=2
	s_or_b32 exec_lo, exec_lo, s6
	s_wait_loadcnt 0x0
	v_dual_mov_b32 v7, v8 :: v_dual_mov_b32 v1, 0
	s_mov_b32 s6, 0
	s_delay_alu instid0(VALU_DEP_1) | instskip(SKIP_1) | instid1(SALU_CYCLE_1)
	v_cmp_eq_u64_e32 vcc_lo, s[4:5], v[6:7]
	s_or_b32 s1, vcc_lo, s1
	s_and_not1_b32 exec_lo, exec_lo, s1
	s_cbranch_execnz .LBB0_1234
; %bb.1240:                             ;   in Loop: Header=BB0_1 Depth=1
	s_or_b32 exec_lo, exec_lo, s1
	s_add_co_i32 s4, s2, 0xb1
	s_mov_b32 s1, s3
	s_bfe_u32 s0, s4, 0x100003
	v_dual_mov_b32 v2, s4 :: v_dual_mov_b32 v3, s4
	s_mulk_i32 s0, 0x20c5
	v_dual_mov_b32 v5, s4 :: v_dual_mov_b32 v1, 0
	s_lshr_b32 s0, s0, 20
	s_mov_b32 s5, s3
	s_mulk_i32 s0, 0x3e8
	s_delay_alu instid0(SALU_CYCLE_1) | instskip(NEXT) | instid1(SALU_CYCLE_1)
	s_sub_co_i32 s0, s4, s0
	s_and_b32 s0, s0, 0xffff
	s_delay_alu instid0(SALU_CYCLE_1) | instskip(NEXT) | instid1(SALU_CYCLE_1)
	s_lshl_b32 s0, s0, 12
	v_add_nc_u64_e32 v[6:7], s[0:1], v[10:11]
	v_add_nc_u64_e32 v[14:15], s[0:1], v[12:13]
	s_mov_b32 s1, 0
	global_store_b128 v[6:7], v[2:5], off th:TH_STORE_NT
.LBB0_1241:                             ;   Parent Loop BB0_1 Depth=1
                                        ; =>  This Inner Loop Header: Depth=2
	s_wait_loadcnt 0x0
	global_load_b128 v[6:9], v[14:15], off th:TH_LOAD_NT
	v_add_nc_u32_e32 v1, 1, v1
	s_mov_b32 s0, -1
	s_mov_b32 s7, -1
	s_mov_b32 s12, exec_lo
	s_wait_xcnt 0x0
	v_cmpx_eq_u32_e32 0xf4240, v1
	s_cbranch_execz .LBB0_1243
; %bb.1242:                             ;   in Loop: Header=BB0_1241 Depth=2
	s_wait_loadcnt 0x0
	s_wait_storecnt 0x0
	global_load_b32 v1, v4, s[10:11] scope:SCOPE_SYS
	s_wait_loadcnt 0x0
	global_inv scope:SCOPE_SYS
	v_cmp_eq_u32_e32 vcc_lo, 0, v1
	v_mov_b32_e32 v1, 0
	s_or_not1_b32 s7, vcc_lo, exec_lo
.LBB0_1243:                             ;   in Loop: Header=BB0_1241 Depth=2
	s_wait_xcnt 0x0
	s_or_b32 exec_lo, exec_lo, s12
	s_and_saveexec_b32 s12, s7
	s_cbranch_execz .LBB0_1245
; %bb.1244:                             ;   in Loop: Header=BB0_1241 Depth=2
	s_wait_loadcnt 0x0
	v_cmp_eq_u32_e32 vcc_lo, s4, v7
	v_cmp_eq_u32_e64 s0, s4, v9
	s_and_b32 s0, vcc_lo, s0
	s_delay_alu instid0(SALU_CYCLE_1)
	s_or_not1_b32 s0, s0, exec_lo
.LBB0_1245:                             ;   in Loop: Header=BB0_1241 Depth=2
	s_or_b32 exec_lo, exec_lo, s12
	s_delay_alu instid0(SALU_CYCLE_1) | instskip(NEXT) | instid1(SALU_CYCLE_1)
	s_and_b32 s0, exec_lo, s0
	s_or_b32 s6, s0, s6
	s_delay_alu instid0(SALU_CYCLE_1)
	s_and_not1_b32 exec_lo, exec_lo, s6
	s_cbranch_execnz .LBB0_1241
; %bb.1246:                             ;   in Loop: Header=BB0_1241 Depth=2
	s_or_b32 exec_lo, exec_lo, s6
	s_wait_loadcnt 0x0
	v_dual_mov_b32 v7, v8 :: v_dual_mov_b32 v1, 0
	s_mov_b32 s6, 0
	s_delay_alu instid0(VALU_DEP_1) | instskip(SKIP_1) | instid1(SALU_CYCLE_1)
	v_cmp_eq_u64_e32 vcc_lo, s[4:5], v[6:7]
	s_or_b32 s1, vcc_lo, s1
	s_and_not1_b32 exec_lo, exec_lo, s1
	s_cbranch_execnz .LBB0_1241
; %bb.1247:                             ;   in Loop: Header=BB0_1 Depth=1
	s_or_b32 exec_lo, exec_lo, s1
	s_add_co_i32 s4, s2, 0xb2
	s_mov_b32 s1, s3
	s_bfe_u32 s0, s4, 0x100003
	v_dual_mov_b32 v2, s4 :: v_dual_mov_b32 v3, s4
	s_mulk_i32 s0, 0x20c5
	v_dual_mov_b32 v5, s4 :: v_dual_mov_b32 v1, 0
	s_lshr_b32 s0, s0, 20
	s_mov_b32 s5, s3
	s_mulk_i32 s0, 0x3e8
	s_delay_alu instid0(SALU_CYCLE_1) | instskip(NEXT) | instid1(SALU_CYCLE_1)
	s_sub_co_i32 s0, s4, s0
	s_and_b32 s0, s0, 0xffff
	s_delay_alu instid0(SALU_CYCLE_1) | instskip(NEXT) | instid1(SALU_CYCLE_1)
	s_lshl_b32 s0, s0, 12
	v_add_nc_u64_e32 v[6:7], s[0:1], v[10:11]
	v_add_nc_u64_e32 v[14:15], s[0:1], v[12:13]
	s_mov_b32 s1, 0
	global_store_b128 v[6:7], v[2:5], off th:TH_STORE_NT
.LBB0_1248:                             ;   Parent Loop BB0_1 Depth=1
                                        ; =>  This Inner Loop Header: Depth=2
	s_wait_loadcnt 0x0
	global_load_b128 v[6:9], v[14:15], off th:TH_LOAD_NT
	v_add_nc_u32_e32 v1, 1, v1
	s_mov_b32 s0, -1
	s_mov_b32 s7, -1
	s_mov_b32 s12, exec_lo
	s_wait_xcnt 0x0
	v_cmpx_eq_u32_e32 0xf4240, v1
	s_cbranch_execz .LBB0_1250
; %bb.1249:                             ;   in Loop: Header=BB0_1248 Depth=2
	s_wait_loadcnt 0x0
	s_wait_storecnt 0x0
	global_load_b32 v1, v4, s[10:11] scope:SCOPE_SYS
	s_wait_loadcnt 0x0
	global_inv scope:SCOPE_SYS
	v_cmp_eq_u32_e32 vcc_lo, 0, v1
	v_mov_b32_e32 v1, 0
	s_or_not1_b32 s7, vcc_lo, exec_lo
.LBB0_1250:                             ;   in Loop: Header=BB0_1248 Depth=2
	s_wait_xcnt 0x0
	s_or_b32 exec_lo, exec_lo, s12
	s_and_saveexec_b32 s12, s7
	s_cbranch_execz .LBB0_1252
; %bb.1251:                             ;   in Loop: Header=BB0_1248 Depth=2
	s_wait_loadcnt 0x0
	v_cmp_eq_u32_e32 vcc_lo, s4, v7
	v_cmp_eq_u32_e64 s0, s4, v9
	s_and_b32 s0, vcc_lo, s0
	s_delay_alu instid0(SALU_CYCLE_1)
	s_or_not1_b32 s0, s0, exec_lo
.LBB0_1252:                             ;   in Loop: Header=BB0_1248 Depth=2
	s_or_b32 exec_lo, exec_lo, s12
	s_delay_alu instid0(SALU_CYCLE_1) | instskip(NEXT) | instid1(SALU_CYCLE_1)
	s_and_b32 s0, exec_lo, s0
	s_or_b32 s6, s0, s6
	s_delay_alu instid0(SALU_CYCLE_1)
	s_and_not1_b32 exec_lo, exec_lo, s6
	s_cbranch_execnz .LBB0_1248
; %bb.1253:                             ;   in Loop: Header=BB0_1248 Depth=2
	s_or_b32 exec_lo, exec_lo, s6
	s_wait_loadcnt 0x0
	v_dual_mov_b32 v7, v8 :: v_dual_mov_b32 v1, 0
	s_mov_b32 s6, 0
	s_delay_alu instid0(VALU_DEP_1) | instskip(SKIP_1) | instid1(SALU_CYCLE_1)
	v_cmp_eq_u64_e32 vcc_lo, s[4:5], v[6:7]
	s_or_b32 s1, vcc_lo, s1
	s_and_not1_b32 exec_lo, exec_lo, s1
	s_cbranch_execnz .LBB0_1248
; %bb.1254:                             ;   in Loop: Header=BB0_1 Depth=1
	s_or_b32 exec_lo, exec_lo, s1
	s_add_co_i32 s4, s2, 0xb3
	s_mov_b32 s1, s3
	s_bfe_u32 s0, s4, 0x100003
	v_dual_mov_b32 v2, s4 :: v_dual_mov_b32 v3, s4
	s_mulk_i32 s0, 0x20c5
	v_dual_mov_b32 v5, s4 :: v_dual_mov_b32 v1, 0
	s_lshr_b32 s0, s0, 20
	s_mov_b32 s5, s3
	s_mulk_i32 s0, 0x3e8
	s_delay_alu instid0(SALU_CYCLE_1) | instskip(NEXT) | instid1(SALU_CYCLE_1)
	s_sub_co_i32 s0, s4, s0
	s_and_b32 s0, s0, 0xffff
	s_delay_alu instid0(SALU_CYCLE_1) | instskip(NEXT) | instid1(SALU_CYCLE_1)
	s_lshl_b32 s0, s0, 12
	v_add_nc_u64_e32 v[6:7], s[0:1], v[10:11]
	v_add_nc_u64_e32 v[14:15], s[0:1], v[12:13]
	s_mov_b32 s1, 0
	global_store_b128 v[6:7], v[2:5], off th:TH_STORE_NT
.LBB0_1255:                             ;   Parent Loop BB0_1 Depth=1
                                        ; =>  This Inner Loop Header: Depth=2
	s_wait_loadcnt 0x0
	global_load_b128 v[6:9], v[14:15], off th:TH_LOAD_NT
	v_add_nc_u32_e32 v1, 1, v1
	s_mov_b32 s0, -1
	s_mov_b32 s7, -1
	s_mov_b32 s12, exec_lo
	s_wait_xcnt 0x0
	v_cmpx_eq_u32_e32 0xf4240, v1
	s_cbranch_execz .LBB0_1257
; %bb.1256:                             ;   in Loop: Header=BB0_1255 Depth=2
	s_wait_loadcnt 0x0
	s_wait_storecnt 0x0
	global_load_b32 v1, v4, s[10:11] scope:SCOPE_SYS
	s_wait_loadcnt 0x0
	global_inv scope:SCOPE_SYS
	v_cmp_eq_u32_e32 vcc_lo, 0, v1
	v_mov_b32_e32 v1, 0
	s_or_not1_b32 s7, vcc_lo, exec_lo
.LBB0_1257:                             ;   in Loop: Header=BB0_1255 Depth=2
	s_wait_xcnt 0x0
	s_or_b32 exec_lo, exec_lo, s12
	s_and_saveexec_b32 s12, s7
	s_cbranch_execz .LBB0_1259
; %bb.1258:                             ;   in Loop: Header=BB0_1255 Depth=2
	s_wait_loadcnt 0x0
	v_cmp_eq_u32_e32 vcc_lo, s4, v7
	v_cmp_eq_u32_e64 s0, s4, v9
	s_and_b32 s0, vcc_lo, s0
	s_delay_alu instid0(SALU_CYCLE_1)
	s_or_not1_b32 s0, s0, exec_lo
.LBB0_1259:                             ;   in Loop: Header=BB0_1255 Depth=2
	s_or_b32 exec_lo, exec_lo, s12
	s_delay_alu instid0(SALU_CYCLE_1) | instskip(NEXT) | instid1(SALU_CYCLE_1)
	s_and_b32 s0, exec_lo, s0
	s_or_b32 s6, s0, s6
	s_delay_alu instid0(SALU_CYCLE_1)
	s_and_not1_b32 exec_lo, exec_lo, s6
	s_cbranch_execnz .LBB0_1255
; %bb.1260:                             ;   in Loop: Header=BB0_1255 Depth=2
	s_or_b32 exec_lo, exec_lo, s6
	s_wait_loadcnt 0x0
	v_dual_mov_b32 v7, v8 :: v_dual_mov_b32 v1, 0
	s_mov_b32 s6, 0
	s_delay_alu instid0(VALU_DEP_1) | instskip(SKIP_1) | instid1(SALU_CYCLE_1)
	v_cmp_eq_u64_e32 vcc_lo, s[4:5], v[6:7]
	s_or_b32 s1, vcc_lo, s1
	s_and_not1_b32 exec_lo, exec_lo, s1
	s_cbranch_execnz .LBB0_1255
; %bb.1261:                             ;   in Loop: Header=BB0_1 Depth=1
	s_or_b32 exec_lo, exec_lo, s1
	s_add_co_i32 s4, s2, 0xb4
	s_mov_b32 s1, s3
	s_bfe_u32 s0, s4, 0x100003
	v_dual_mov_b32 v2, s4 :: v_dual_mov_b32 v3, s4
	s_mulk_i32 s0, 0x20c5
	v_dual_mov_b32 v5, s4 :: v_dual_mov_b32 v1, 0
	s_lshr_b32 s0, s0, 20
	s_mov_b32 s5, s3
	s_mulk_i32 s0, 0x3e8
	s_delay_alu instid0(SALU_CYCLE_1) | instskip(NEXT) | instid1(SALU_CYCLE_1)
	s_sub_co_i32 s0, s4, s0
	s_and_b32 s0, s0, 0xffff
	s_delay_alu instid0(SALU_CYCLE_1) | instskip(NEXT) | instid1(SALU_CYCLE_1)
	s_lshl_b32 s0, s0, 12
	v_add_nc_u64_e32 v[6:7], s[0:1], v[10:11]
	v_add_nc_u64_e32 v[14:15], s[0:1], v[12:13]
	s_mov_b32 s1, 0
	global_store_b128 v[6:7], v[2:5], off th:TH_STORE_NT
.LBB0_1262:                             ;   Parent Loop BB0_1 Depth=1
                                        ; =>  This Inner Loop Header: Depth=2
	s_wait_loadcnt 0x0
	global_load_b128 v[6:9], v[14:15], off th:TH_LOAD_NT
	v_add_nc_u32_e32 v1, 1, v1
	s_mov_b32 s0, -1
	s_mov_b32 s7, -1
	s_mov_b32 s12, exec_lo
	s_wait_xcnt 0x0
	v_cmpx_eq_u32_e32 0xf4240, v1
	s_cbranch_execz .LBB0_1264
; %bb.1263:                             ;   in Loop: Header=BB0_1262 Depth=2
	s_wait_loadcnt 0x0
	s_wait_storecnt 0x0
	global_load_b32 v1, v4, s[10:11] scope:SCOPE_SYS
	s_wait_loadcnt 0x0
	global_inv scope:SCOPE_SYS
	v_cmp_eq_u32_e32 vcc_lo, 0, v1
	v_mov_b32_e32 v1, 0
	s_or_not1_b32 s7, vcc_lo, exec_lo
.LBB0_1264:                             ;   in Loop: Header=BB0_1262 Depth=2
	s_wait_xcnt 0x0
	s_or_b32 exec_lo, exec_lo, s12
	s_and_saveexec_b32 s12, s7
	s_cbranch_execz .LBB0_1266
; %bb.1265:                             ;   in Loop: Header=BB0_1262 Depth=2
	s_wait_loadcnt 0x0
	v_cmp_eq_u32_e32 vcc_lo, s4, v7
	v_cmp_eq_u32_e64 s0, s4, v9
	s_and_b32 s0, vcc_lo, s0
	s_delay_alu instid0(SALU_CYCLE_1)
	s_or_not1_b32 s0, s0, exec_lo
.LBB0_1266:                             ;   in Loop: Header=BB0_1262 Depth=2
	s_or_b32 exec_lo, exec_lo, s12
	s_delay_alu instid0(SALU_CYCLE_1) | instskip(NEXT) | instid1(SALU_CYCLE_1)
	s_and_b32 s0, exec_lo, s0
	s_or_b32 s6, s0, s6
	s_delay_alu instid0(SALU_CYCLE_1)
	s_and_not1_b32 exec_lo, exec_lo, s6
	s_cbranch_execnz .LBB0_1262
; %bb.1267:                             ;   in Loop: Header=BB0_1262 Depth=2
	s_or_b32 exec_lo, exec_lo, s6
	s_wait_loadcnt 0x0
	v_dual_mov_b32 v7, v8 :: v_dual_mov_b32 v1, 0
	s_mov_b32 s6, 0
	s_delay_alu instid0(VALU_DEP_1) | instskip(SKIP_1) | instid1(SALU_CYCLE_1)
	v_cmp_eq_u64_e32 vcc_lo, s[4:5], v[6:7]
	s_or_b32 s1, vcc_lo, s1
	s_and_not1_b32 exec_lo, exec_lo, s1
	s_cbranch_execnz .LBB0_1262
; %bb.1268:                             ;   in Loop: Header=BB0_1 Depth=1
	s_or_b32 exec_lo, exec_lo, s1
	s_add_co_i32 s4, s2, 0xb5
	s_mov_b32 s1, s3
	s_bfe_u32 s0, s4, 0x100003
	v_dual_mov_b32 v2, s4 :: v_dual_mov_b32 v3, s4
	s_mulk_i32 s0, 0x20c5
	v_dual_mov_b32 v5, s4 :: v_dual_mov_b32 v1, 0
	s_lshr_b32 s0, s0, 20
	s_mov_b32 s5, s3
	s_mulk_i32 s0, 0x3e8
	s_delay_alu instid0(SALU_CYCLE_1) | instskip(NEXT) | instid1(SALU_CYCLE_1)
	s_sub_co_i32 s0, s4, s0
	s_and_b32 s0, s0, 0xffff
	s_delay_alu instid0(SALU_CYCLE_1) | instskip(NEXT) | instid1(SALU_CYCLE_1)
	s_lshl_b32 s0, s0, 12
	v_add_nc_u64_e32 v[6:7], s[0:1], v[10:11]
	v_add_nc_u64_e32 v[14:15], s[0:1], v[12:13]
	s_mov_b32 s1, 0
	global_store_b128 v[6:7], v[2:5], off th:TH_STORE_NT
.LBB0_1269:                             ;   Parent Loop BB0_1 Depth=1
                                        ; =>  This Inner Loop Header: Depth=2
	s_wait_loadcnt 0x0
	global_load_b128 v[6:9], v[14:15], off th:TH_LOAD_NT
	v_add_nc_u32_e32 v1, 1, v1
	s_mov_b32 s0, -1
	s_mov_b32 s7, -1
	s_mov_b32 s12, exec_lo
	s_wait_xcnt 0x0
	v_cmpx_eq_u32_e32 0xf4240, v1
	s_cbranch_execz .LBB0_1271
; %bb.1270:                             ;   in Loop: Header=BB0_1269 Depth=2
	s_wait_loadcnt 0x0
	s_wait_storecnt 0x0
	global_load_b32 v1, v4, s[10:11] scope:SCOPE_SYS
	s_wait_loadcnt 0x0
	global_inv scope:SCOPE_SYS
	v_cmp_eq_u32_e32 vcc_lo, 0, v1
	v_mov_b32_e32 v1, 0
	s_or_not1_b32 s7, vcc_lo, exec_lo
.LBB0_1271:                             ;   in Loop: Header=BB0_1269 Depth=2
	s_wait_xcnt 0x0
	s_or_b32 exec_lo, exec_lo, s12
	s_and_saveexec_b32 s12, s7
	s_cbranch_execz .LBB0_1273
; %bb.1272:                             ;   in Loop: Header=BB0_1269 Depth=2
	s_wait_loadcnt 0x0
	v_cmp_eq_u32_e32 vcc_lo, s4, v7
	v_cmp_eq_u32_e64 s0, s4, v9
	s_and_b32 s0, vcc_lo, s0
	s_delay_alu instid0(SALU_CYCLE_1)
	s_or_not1_b32 s0, s0, exec_lo
.LBB0_1273:                             ;   in Loop: Header=BB0_1269 Depth=2
	s_or_b32 exec_lo, exec_lo, s12
	s_delay_alu instid0(SALU_CYCLE_1) | instskip(NEXT) | instid1(SALU_CYCLE_1)
	s_and_b32 s0, exec_lo, s0
	s_or_b32 s6, s0, s6
	s_delay_alu instid0(SALU_CYCLE_1)
	s_and_not1_b32 exec_lo, exec_lo, s6
	s_cbranch_execnz .LBB0_1269
; %bb.1274:                             ;   in Loop: Header=BB0_1269 Depth=2
	s_or_b32 exec_lo, exec_lo, s6
	s_wait_loadcnt 0x0
	v_dual_mov_b32 v7, v8 :: v_dual_mov_b32 v1, 0
	s_mov_b32 s6, 0
	s_delay_alu instid0(VALU_DEP_1) | instskip(SKIP_1) | instid1(SALU_CYCLE_1)
	v_cmp_eq_u64_e32 vcc_lo, s[4:5], v[6:7]
	s_or_b32 s1, vcc_lo, s1
	s_and_not1_b32 exec_lo, exec_lo, s1
	s_cbranch_execnz .LBB0_1269
; %bb.1275:                             ;   in Loop: Header=BB0_1 Depth=1
	s_or_b32 exec_lo, exec_lo, s1
	s_add_co_i32 s4, s2, 0xb6
	s_mov_b32 s1, s3
	s_bfe_u32 s0, s4, 0x100003
	v_dual_mov_b32 v2, s4 :: v_dual_mov_b32 v3, s4
	s_mulk_i32 s0, 0x20c5
	v_dual_mov_b32 v5, s4 :: v_dual_mov_b32 v1, 0
	s_lshr_b32 s0, s0, 20
	s_mov_b32 s5, s3
	s_mulk_i32 s0, 0x3e8
	s_delay_alu instid0(SALU_CYCLE_1) | instskip(NEXT) | instid1(SALU_CYCLE_1)
	s_sub_co_i32 s0, s4, s0
	s_and_b32 s0, s0, 0xffff
	s_delay_alu instid0(SALU_CYCLE_1) | instskip(NEXT) | instid1(SALU_CYCLE_1)
	s_lshl_b32 s0, s0, 12
	v_add_nc_u64_e32 v[6:7], s[0:1], v[10:11]
	v_add_nc_u64_e32 v[14:15], s[0:1], v[12:13]
	s_mov_b32 s1, 0
	global_store_b128 v[6:7], v[2:5], off th:TH_STORE_NT
.LBB0_1276:                             ;   Parent Loop BB0_1 Depth=1
                                        ; =>  This Inner Loop Header: Depth=2
	s_wait_loadcnt 0x0
	global_load_b128 v[6:9], v[14:15], off th:TH_LOAD_NT
	v_add_nc_u32_e32 v1, 1, v1
	s_mov_b32 s0, -1
	s_mov_b32 s7, -1
	s_mov_b32 s12, exec_lo
	s_wait_xcnt 0x0
	v_cmpx_eq_u32_e32 0xf4240, v1
	s_cbranch_execz .LBB0_1278
; %bb.1277:                             ;   in Loop: Header=BB0_1276 Depth=2
	s_wait_loadcnt 0x0
	s_wait_storecnt 0x0
	global_load_b32 v1, v4, s[10:11] scope:SCOPE_SYS
	s_wait_loadcnt 0x0
	global_inv scope:SCOPE_SYS
	v_cmp_eq_u32_e32 vcc_lo, 0, v1
	v_mov_b32_e32 v1, 0
	s_or_not1_b32 s7, vcc_lo, exec_lo
.LBB0_1278:                             ;   in Loop: Header=BB0_1276 Depth=2
	s_wait_xcnt 0x0
	s_or_b32 exec_lo, exec_lo, s12
	s_and_saveexec_b32 s12, s7
	s_cbranch_execz .LBB0_1280
; %bb.1279:                             ;   in Loop: Header=BB0_1276 Depth=2
	s_wait_loadcnt 0x0
	v_cmp_eq_u32_e32 vcc_lo, s4, v7
	v_cmp_eq_u32_e64 s0, s4, v9
	s_and_b32 s0, vcc_lo, s0
	s_delay_alu instid0(SALU_CYCLE_1)
	s_or_not1_b32 s0, s0, exec_lo
.LBB0_1280:                             ;   in Loop: Header=BB0_1276 Depth=2
	s_or_b32 exec_lo, exec_lo, s12
	s_delay_alu instid0(SALU_CYCLE_1) | instskip(NEXT) | instid1(SALU_CYCLE_1)
	s_and_b32 s0, exec_lo, s0
	s_or_b32 s6, s0, s6
	s_delay_alu instid0(SALU_CYCLE_1)
	s_and_not1_b32 exec_lo, exec_lo, s6
	s_cbranch_execnz .LBB0_1276
; %bb.1281:                             ;   in Loop: Header=BB0_1276 Depth=2
	s_or_b32 exec_lo, exec_lo, s6
	s_wait_loadcnt 0x0
	v_dual_mov_b32 v7, v8 :: v_dual_mov_b32 v1, 0
	s_mov_b32 s6, 0
	s_delay_alu instid0(VALU_DEP_1) | instskip(SKIP_1) | instid1(SALU_CYCLE_1)
	v_cmp_eq_u64_e32 vcc_lo, s[4:5], v[6:7]
	s_or_b32 s1, vcc_lo, s1
	s_and_not1_b32 exec_lo, exec_lo, s1
	s_cbranch_execnz .LBB0_1276
; %bb.1282:                             ;   in Loop: Header=BB0_1 Depth=1
	s_or_b32 exec_lo, exec_lo, s1
	s_add_co_i32 s4, s2, 0xb7
	s_mov_b32 s1, s3
	s_bfe_u32 s0, s4, 0x100003
	v_dual_mov_b32 v2, s4 :: v_dual_mov_b32 v3, s4
	s_mulk_i32 s0, 0x20c5
	v_dual_mov_b32 v5, s4 :: v_dual_mov_b32 v1, 0
	s_lshr_b32 s0, s0, 20
	s_mov_b32 s5, s3
	s_mulk_i32 s0, 0x3e8
	s_delay_alu instid0(SALU_CYCLE_1) | instskip(NEXT) | instid1(SALU_CYCLE_1)
	s_sub_co_i32 s0, s4, s0
	s_and_b32 s0, s0, 0xffff
	s_delay_alu instid0(SALU_CYCLE_1) | instskip(NEXT) | instid1(SALU_CYCLE_1)
	s_lshl_b32 s0, s0, 12
	v_add_nc_u64_e32 v[6:7], s[0:1], v[10:11]
	v_add_nc_u64_e32 v[14:15], s[0:1], v[12:13]
	s_mov_b32 s1, 0
	global_store_b128 v[6:7], v[2:5], off th:TH_STORE_NT
.LBB0_1283:                             ;   Parent Loop BB0_1 Depth=1
                                        ; =>  This Inner Loop Header: Depth=2
	s_wait_loadcnt 0x0
	global_load_b128 v[6:9], v[14:15], off th:TH_LOAD_NT
	v_add_nc_u32_e32 v1, 1, v1
	s_mov_b32 s0, -1
	s_mov_b32 s7, -1
	s_mov_b32 s12, exec_lo
	s_wait_xcnt 0x0
	v_cmpx_eq_u32_e32 0xf4240, v1
	s_cbranch_execz .LBB0_1285
; %bb.1284:                             ;   in Loop: Header=BB0_1283 Depth=2
	s_wait_loadcnt 0x0
	s_wait_storecnt 0x0
	global_load_b32 v1, v4, s[10:11] scope:SCOPE_SYS
	s_wait_loadcnt 0x0
	global_inv scope:SCOPE_SYS
	v_cmp_eq_u32_e32 vcc_lo, 0, v1
	v_mov_b32_e32 v1, 0
	s_or_not1_b32 s7, vcc_lo, exec_lo
.LBB0_1285:                             ;   in Loop: Header=BB0_1283 Depth=2
	s_wait_xcnt 0x0
	s_or_b32 exec_lo, exec_lo, s12
	s_and_saveexec_b32 s12, s7
	s_cbranch_execz .LBB0_1287
; %bb.1286:                             ;   in Loop: Header=BB0_1283 Depth=2
	s_wait_loadcnt 0x0
	v_cmp_eq_u32_e32 vcc_lo, s4, v7
	v_cmp_eq_u32_e64 s0, s4, v9
	s_and_b32 s0, vcc_lo, s0
	s_delay_alu instid0(SALU_CYCLE_1)
	s_or_not1_b32 s0, s0, exec_lo
.LBB0_1287:                             ;   in Loop: Header=BB0_1283 Depth=2
	s_or_b32 exec_lo, exec_lo, s12
	s_delay_alu instid0(SALU_CYCLE_1) | instskip(NEXT) | instid1(SALU_CYCLE_1)
	s_and_b32 s0, exec_lo, s0
	s_or_b32 s6, s0, s6
	s_delay_alu instid0(SALU_CYCLE_1)
	s_and_not1_b32 exec_lo, exec_lo, s6
	s_cbranch_execnz .LBB0_1283
; %bb.1288:                             ;   in Loop: Header=BB0_1283 Depth=2
	s_or_b32 exec_lo, exec_lo, s6
	s_wait_loadcnt 0x0
	v_dual_mov_b32 v7, v8 :: v_dual_mov_b32 v1, 0
	s_mov_b32 s6, 0
	s_delay_alu instid0(VALU_DEP_1) | instskip(SKIP_1) | instid1(SALU_CYCLE_1)
	v_cmp_eq_u64_e32 vcc_lo, s[4:5], v[6:7]
	s_or_b32 s1, vcc_lo, s1
	s_and_not1_b32 exec_lo, exec_lo, s1
	s_cbranch_execnz .LBB0_1283
; %bb.1289:                             ;   in Loop: Header=BB0_1 Depth=1
	s_or_b32 exec_lo, exec_lo, s1
	s_add_co_i32 s4, s2, 0xb8
	s_mov_b32 s1, s3
	s_bfe_u32 s0, s4, 0x100003
	v_dual_mov_b32 v2, s4 :: v_dual_mov_b32 v3, s4
	s_mulk_i32 s0, 0x20c5
	v_dual_mov_b32 v5, s4 :: v_dual_mov_b32 v1, 0
	s_lshr_b32 s0, s0, 20
	s_mov_b32 s5, s3
	s_mulk_i32 s0, 0x3e8
	s_delay_alu instid0(SALU_CYCLE_1) | instskip(NEXT) | instid1(SALU_CYCLE_1)
	s_sub_co_i32 s0, s4, s0
	s_and_b32 s0, s0, 0xffff
	s_delay_alu instid0(SALU_CYCLE_1) | instskip(NEXT) | instid1(SALU_CYCLE_1)
	s_lshl_b32 s0, s0, 12
	v_add_nc_u64_e32 v[6:7], s[0:1], v[10:11]
	v_add_nc_u64_e32 v[14:15], s[0:1], v[12:13]
	s_mov_b32 s1, 0
	global_store_b128 v[6:7], v[2:5], off th:TH_STORE_NT
.LBB0_1290:                             ;   Parent Loop BB0_1 Depth=1
                                        ; =>  This Inner Loop Header: Depth=2
	s_wait_loadcnt 0x0
	global_load_b128 v[6:9], v[14:15], off th:TH_LOAD_NT
	v_add_nc_u32_e32 v1, 1, v1
	s_mov_b32 s0, -1
	s_mov_b32 s7, -1
	s_mov_b32 s12, exec_lo
	s_wait_xcnt 0x0
	v_cmpx_eq_u32_e32 0xf4240, v1
	s_cbranch_execz .LBB0_1292
; %bb.1291:                             ;   in Loop: Header=BB0_1290 Depth=2
	s_wait_loadcnt 0x0
	s_wait_storecnt 0x0
	global_load_b32 v1, v4, s[10:11] scope:SCOPE_SYS
	s_wait_loadcnt 0x0
	global_inv scope:SCOPE_SYS
	v_cmp_eq_u32_e32 vcc_lo, 0, v1
	v_mov_b32_e32 v1, 0
	s_or_not1_b32 s7, vcc_lo, exec_lo
.LBB0_1292:                             ;   in Loop: Header=BB0_1290 Depth=2
	s_wait_xcnt 0x0
	s_or_b32 exec_lo, exec_lo, s12
	s_and_saveexec_b32 s12, s7
	s_cbranch_execz .LBB0_1294
; %bb.1293:                             ;   in Loop: Header=BB0_1290 Depth=2
	s_wait_loadcnt 0x0
	v_cmp_eq_u32_e32 vcc_lo, s4, v7
	v_cmp_eq_u32_e64 s0, s4, v9
	s_and_b32 s0, vcc_lo, s0
	s_delay_alu instid0(SALU_CYCLE_1)
	s_or_not1_b32 s0, s0, exec_lo
.LBB0_1294:                             ;   in Loop: Header=BB0_1290 Depth=2
	s_or_b32 exec_lo, exec_lo, s12
	s_delay_alu instid0(SALU_CYCLE_1) | instskip(NEXT) | instid1(SALU_CYCLE_1)
	s_and_b32 s0, exec_lo, s0
	s_or_b32 s6, s0, s6
	s_delay_alu instid0(SALU_CYCLE_1)
	s_and_not1_b32 exec_lo, exec_lo, s6
	s_cbranch_execnz .LBB0_1290
; %bb.1295:                             ;   in Loop: Header=BB0_1290 Depth=2
	s_or_b32 exec_lo, exec_lo, s6
	s_wait_loadcnt 0x0
	v_dual_mov_b32 v7, v8 :: v_dual_mov_b32 v1, 0
	s_mov_b32 s6, 0
	s_delay_alu instid0(VALU_DEP_1) | instskip(SKIP_1) | instid1(SALU_CYCLE_1)
	v_cmp_eq_u64_e32 vcc_lo, s[4:5], v[6:7]
	s_or_b32 s1, vcc_lo, s1
	s_and_not1_b32 exec_lo, exec_lo, s1
	s_cbranch_execnz .LBB0_1290
; %bb.1296:                             ;   in Loop: Header=BB0_1 Depth=1
	s_or_b32 exec_lo, exec_lo, s1
	s_add_co_i32 s4, s2, 0xb9
	s_mov_b32 s1, s3
	s_bfe_u32 s0, s4, 0x100003
	v_dual_mov_b32 v2, s4 :: v_dual_mov_b32 v3, s4
	s_mulk_i32 s0, 0x20c5
	v_dual_mov_b32 v5, s4 :: v_dual_mov_b32 v1, 0
	s_lshr_b32 s0, s0, 20
	s_mov_b32 s5, s3
	s_mulk_i32 s0, 0x3e8
	s_delay_alu instid0(SALU_CYCLE_1) | instskip(NEXT) | instid1(SALU_CYCLE_1)
	s_sub_co_i32 s0, s4, s0
	s_and_b32 s0, s0, 0xffff
	s_delay_alu instid0(SALU_CYCLE_1) | instskip(NEXT) | instid1(SALU_CYCLE_1)
	s_lshl_b32 s0, s0, 12
	v_add_nc_u64_e32 v[6:7], s[0:1], v[10:11]
	v_add_nc_u64_e32 v[14:15], s[0:1], v[12:13]
	s_mov_b32 s1, 0
	global_store_b128 v[6:7], v[2:5], off th:TH_STORE_NT
.LBB0_1297:                             ;   Parent Loop BB0_1 Depth=1
                                        ; =>  This Inner Loop Header: Depth=2
	s_wait_loadcnt 0x0
	global_load_b128 v[6:9], v[14:15], off th:TH_LOAD_NT
	v_add_nc_u32_e32 v1, 1, v1
	s_mov_b32 s0, -1
	s_mov_b32 s7, -1
	s_mov_b32 s12, exec_lo
	s_wait_xcnt 0x0
	v_cmpx_eq_u32_e32 0xf4240, v1
	s_cbranch_execz .LBB0_1299
; %bb.1298:                             ;   in Loop: Header=BB0_1297 Depth=2
	s_wait_loadcnt 0x0
	s_wait_storecnt 0x0
	global_load_b32 v1, v4, s[10:11] scope:SCOPE_SYS
	s_wait_loadcnt 0x0
	global_inv scope:SCOPE_SYS
	v_cmp_eq_u32_e32 vcc_lo, 0, v1
	v_mov_b32_e32 v1, 0
	s_or_not1_b32 s7, vcc_lo, exec_lo
.LBB0_1299:                             ;   in Loop: Header=BB0_1297 Depth=2
	s_wait_xcnt 0x0
	s_or_b32 exec_lo, exec_lo, s12
	s_and_saveexec_b32 s12, s7
	s_cbranch_execz .LBB0_1301
; %bb.1300:                             ;   in Loop: Header=BB0_1297 Depth=2
	s_wait_loadcnt 0x0
	v_cmp_eq_u32_e32 vcc_lo, s4, v7
	v_cmp_eq_u32_e64 s0, s4, v9
	s_and_b32 s0, vcc_lo, s0
	s_delay_alu instid0(SALU_CYCLE_1)
	s_or_not1_b32 s0, s0, exec_lo
.LBB0_1301:                             ;   in Loop: Header=BB0_1297 Depth=2
	s_or_b32 exec_lo, exec_lo, s12
	s_delay_alu instid0(SALU_CYCLE_1) | instskip(NEXT) | instid1(SALU_CYCLE_1)
	s_and_b32 s0, exec_lo, s0
	s_or_b32 s6, s0, s6
	s_delay_alu instid0(SALU_CYCLE_1)
	s_and_not1_b32 exec_lo, exec_lo, s6
	s_cbranch_execnz .LBB0_1297
; %bb.1302:                             ;   in Loop: Header=BB0_1297 Depth=2
	s_or_b32 exec_lo, exec_lo, s6
	s_wait_loadcnt 0x0
	v_dual_mov_b32 v7, v8 :: v_dual_mov_b32 v1, 0
	s_mov_b32 s6, 0
	s_delay_alu instid0(VALU_DEP_1) | instskip(SKIP_1) | instid1(SALU_CYCLE_1)
	v_cmp_eq_u64_e32 vcc_lo, s[4:5], v[6:7]
	s_or_b32 s1, vcc_lo, s1
	s_and_not1_b32 exec_lo, exec_lo, s1
	s_cbranch_execnz .LBB0_1297
; %bb.1303:                             ;   in Loop: Header=BB0_1 Depth=1
	s_or_b32 exec_lo, exec_lo, s1
	s_add_co_i32 s4, s2, 0xba
	s_mov_b32 s1, s3
	s_bfe_u32 s0, s4, 0x100003
	v_dual_mov_b32 v2, s4 :: v_dual_mov_b32 v3, s4
	s_mulk_i32 s0, 0x20c5
	v_dual_mov_b32 v5, s4 :: v_dual_mov_b32 v1, 0
	s_lshr_b32 s0, s0, 20
	s_mov_b32 s5, s3
	s_mulk_i32 s0, 0x3e8
	s_delay_alu instid0(SALU_CYCLE_1) | instskip(NEXT) | instid1(SALU_CYCLE_1)
	s_sub_co_i32 s0, s4, s0
	s_and_b32 s0, s0, 0xffff
	s_delay_alu instid0(SALU_CYCLE_1) | instskip(NEXT) | instid1(SALU_CYCLE_1)
	s_lshl_b32 s0, s0, 12
	v_add_nc_u64_e32 v[6:7], s[0:1], v[10:11]
	v_add_nc_u64_e32 v[14:15], s[0:1], v[12:13]
	s_mov_b32 s1, 0
	global_store_b128 v[6:7], v[2:5], off th:TH_STORE_NT
.LBB0_1304:                             ;   Parent Loop BB0_1 Depth=1
                                        ; =>  This Inner Loop Header: Depth=2
	s_wait_loadcnt 0x0
	global_load_b128 v[6:9], v[14:15], off th:TH_LOAD_NT
	v_add_nc_u32_e32 v1, 1, v1
	s_mov_b32 s0, -1
	s_mov_b32 s7, -1
	s_mov_b32 s12, exec_lo
	s_wait_xcnt 0x0
	v_cmpx_eq_u32_e32 0xf4240, v1
	s_cbranch_execz .LBB0_1306
; %bb.1305:                             ;   in Loop: Header=BB0_1304 Depth=2
	s_wait_loadcnt 0x0
	s_wait_storecnt 0x0
	global_load_b32 v1, v4, s[10:11] scope:SCOPE_SYS
	s_wait_loadcnt 0x0
	global_inv scope:SCOPE_SYS
	v_cmp_eq_u32_e32 vcc_lo, 0, v1
	v_mov_b32_e32 v1, 0
	s_or_not1_b32 s7, vcc_lo, exec_lo
.LBB0_1306:                             ;   in Loop: Header=BB0_1304 Depth=2
	s_wait_xcnt 0x0
	s_or_b32 exec_lo, exec_lo, s12
	s_and_saveexec_b32 s12, s7
	s_cbranch_execz .LBB0_1308
; %bb.1307:                             ;   in Loop: Header=BB0_1304 Depth=2
	s_wait_loadcnt 0x0
	v_cmp_eq_u32_e32 vcc_lo, s4, v7
	v_cmp_eq_u32_e64 s0, s4, v9
	s_and_b32 s0, vcc_lo, s0
	s_delay_alu instid0(SALU_CYCLE_1)
	s_or_not1_b32 s0, s0, exec_lo
.LBB0_1308:                             ;   in Loop: Header=BB0_1304 Depth=2
	s_or_b32 exec_lo, exec_lo, s12
	s_delay_alu instid0(SALU_CYCLE_1) | instskip(NEXT) | instid1(SALU_CYCLE_1)
	s_and_b32 s0, exec_lo, s0
	s_or_b32 s6, s0, s6
	s_delay_alu instid0(SALU_CYCLE_1)
	s_and_not1_b32 exec_lo, exec_lo, s6
	s_cbranch_execnz .LBB0_1304
; %bb.1309:                             ;   in Loop: Header=BB0_1304 Depth=2
	s_or_b32 exec_lo, exec_lo, s6
	s_wait_loadcnt 0x0
	v_dual_mov_b32 v7, v8 :: v_dual_mov_b32 v1, 0
	s_mov_b32 s6, 0
	s_delay_alu instid0(VALU_DEP_1) | instskip(SKIP_1) | instid1(SALU_CYCLE_1)
	v_cmp_eq_u64_e32 vcc_lo, s[4:5], v[6:7]
	s_or_b32 s1, vcc_lo, s1
	s_and_not1_b32 exec_lo, exec_lo, s1
	s_cbranch_execnz .LBB0_1304
; %bb.1310:                             ;   in Loop: Header=BB0_1 Depth=1
	s_or_b32 exec_lo, exec_lo, s1
	s_add_co_i32 s4, s2, 0xbb
	s_mov_b32 s1, s3
	s_bfe_u32 s0, s4, 0x100003
	v_dual_mov_b32 v2, s4 :: v_dual_mov_b32 v3, s4
	s_mulk_i32 s0, 0x20c5
	v_dual_mov_b32 v5, s4 :: v_dual_mov_b32 v1, 0
	s_lshr_b32 s0, s0, 20
	s_mov_b32 s5, s3
	s_mulk_i32 s0, 0x3e8
	s_delay_alu instid0(SALU_CYCLE_1) | instskip(NEXT) | instid1(SALU_CYCLE_1)
	s_sub_co_i32 s0, s4, s0
	s_and_b32 s0, s0, 0xffff
	s_delay_alu instid0(SALU_CYCLE_1) | instskip(NEXT) | instid1(SALU_CYCLE_1)
	s_lshl_b32 s0, s0, 12
	v_add_nc_u64_e32 v[6:7], s[0:1], v[10:11]
	v_add_nc_u64_e32 v[14:15], s[0:1], v[12:13]
	s_mov_b32 s1, 0
	global_store_b128 v[6:7], v[2:5], off th:TH_STORE_NT
.LBB0_1311:                             ;   Parent Loop BB0_1 Depth=1
                                        ; =>  This Inner Loop Header: Depth=2
	s_wait_loadcnt 0x0
	global_load_b128 v[6:9], v[14:15], off th:TH_LOAD_NT
	v_add_nc_u32_e32 v1, 1, v1
	s_mov_b32 s0, -1
	s_mov_b32 s7, -1
	s_mov_b32 s12, exec_lo
	s_wait_xcnt 0x0
	v_cmpx_eq_u32_e32 0xf4240, v1
	s_cbranch_execz .LBB0_1313
; %bb.1312:                             ;   in Loop: Header=BB0_1311 Depth=2
	s_wait_loadcnt 0x0
	s_wait_storecnt 0x0
	global_load_b32 v1, v4, s[10:11] scope:SCOPE_SYS
	s_wait_loadcnt 0x0
	global_inv scope:SCOPE_SYS
	v_cmp_eq_u32_e32 vcc_lo, 0, v1
	v_mov_b32_e32 v1, 0
	s_or_not1_b32 s7, vcc_lo, exec_lo
.LBB0_1313:                             ;   in Loop: Header=BB0_1311 Depth=2
	s_wait_xcnt 0x0
	s_or_b32 exec_lo, exec_lo, s12
	s_and_saveexec_b32 s12, s7
	s_cbranch_execz .LBB0_1315
; %bb.1314:                             ;   in Loop: Header=BB0_1311 Depth=2
	s_wait_loadcnt 0x0
	v_cmp_eq_u32_e32 vcc_lo, s4, v7
	v_cmp_eq_u32_e64 s0, s4, v9
	s_and_b32 s0, vcc_lo, s0
	s_delay_alu instid0(SALU_CYCLE_1)
	s_or_not1_b32 s0, s0, exec_lo
.LBB0_1315:                             ;   in Loop: Header=BB0_1311 Depth=2
	s_or_b32 exec_lo, exec_lo, s12
	s_delay_alu instid0(SALU_CYCLE_1) | instskip(NEXT) | instid1(SALU_CYCLE_1)
	s_and_b32 s0, exec_lo, s0
	s_or_b32 s6, s0, s6
	s_delay_alu instid0(SALU_CYCLE_1)
	s_and_not1_b32 exec_lo, exec_lo, s6
	s_cbranch_execnz .LBB0_1311
; %bb.1316:                             ;   in Loop: Header=BB0_1311 Depth=2
	s_or_b32 exec_lo, exec_lo, s6
	s_wait_loadcnt 0x0
	v_dual_mov_b32 v7, v8 :: v_dual_mov_b32 v1, 0
	s_mov_b32 s6, 0
	s_delay_alu instid0(VALU_DEP_1) | instskip(SKIP_1) | instid1(SALU_CYCLE_1)
	v_cmp_eq_u64_e32 vcc_lo, s[4:5], v[6:7]
	s_or_b32 s1, vcc_lo, s1
	s_and_not1_b32 exec_lo, exec_lo, s1
	s_cbranch_execnz .LBB0_1311
; %bb.1317:                             ;   in Loop: Header=BB0_1 Depth=1
	s_or_b32 exec_lo, exec_lo, s1
	s_add_co_i32 s4, s2, 0xbc
	s_mov_b32 s1, s3
	s_bfe_u32 s0, s4, 0x100003
	v_dual_mov_b32 v2, s4 :: v_dual_mov_b32 v3, s4
	s_mulk_i32 s0, 0x20c5
	v_dual_mov_b32 v5, s4 :: v_dual_mov_b32 v1, 0
	s_lshr_b32 s0, s0, 20
	s_mov_b32 s5, s3
	s_mulk_i32 s0, 0x3e8
	s_delay_alu instid0(SALU_CYCLE_1) | instskip(NEXT) | instid1(SALU_CYCLE_1)
	s_sub_co_i32 s0, s4, s0
	s_and_b32 s0, s0, 0xffff
	s_delay_alu instid0(SALU_CYCLE_1) | instskip(NEXT) | instid1(SALU_CYCLE_1)
	s_lshl_b32 s0, s0, 12
	v_add_nc_u64_e32 v[6:7], s[0:1], v[10:11]
	v_add_nc_u64_e32 v[14:15], s[0:1], v[12:13]
	s_mov_b32 s1, 0
	global_store_b128 v[6:7], v[2:5], off th:TH_STORE_NT
.LBB0_1318:                             ;   Parent Loop BB0_1 Depth=1
                                        ; =>  This Inner Loop Header: Depth=2
	s_wait_loadcnt 0x0
	global_load_b128 v[6:9], v[14:15], off th:TH_LOAD_NT
	v_add_nc_u32_e32 v1, 1, v1
	s_mov_b32 s0, -1
	s_mov_b32 s7, -1
	s_mov_b32 s12, exec_lo
	s_wait_xcnt 0x0
	v_cmpx_eq_u32_e32 0xf4240, v1
	s_cbranch_execz .LBB0_1320
; %bb.1319:                             ;   in Loop: Header=BB0_1318 Depth=2
	s_wait_loadcnt 0x0
	s_wait_storecnt 0x0
	global_load_b32 v1, v4, s[10:11] scope:SCOPE_SYS
	s_wait_loadcnt 0x0
	global_inv scope:SCOPE_SYS
	v_cmp_eq_u32_e32 vcc_lo, 0, v1
	v_mov_b32_e32 v1, 0
	s_or_not1_b32 s7, vcc_lo, exec_lo
.LBB0_1320:                             ;   in Loop: Header=BB0_1318 Depth=2
	s_wait_xcnt 0x0
	s_or_b32 exec_lo, exec_lo, s12
	s_and_saveexec_b32 s12, s7
	s_cbranch_execz .LBB0_1322
; %bb.1321:                             ;   in Loop: Header=BB0_1318 Depth=2
	s_wait_loadcnt 0x0
	v_cmp_eq_u32_e32 vcc_lo, s4, v7
	v_cmp_eq_u32_e64 s0, s4, v9
	s_and_b32 s0, vcc_lo, s0
	s_delay_alu instid0(SALU_CYCLE_1)
	s_or_not1_b32 s0, s0, exec_lo
.LBB0_1322:                             ;   in Loop: Header=BB0_1318 Depth=2
	s_or_b32 exec_lo, exec_lo, s12
	s_delay_alu instid0(SALU_CYCLE_1) | instskip(NEXT) | instid1(SALU_CYCLE_1)
	s_and_b32 s0, exec_lo, s0
	s_or_b32 s6, s0, s6
	s_delay_alu instid0(SALU_CYCLE_1)
	s_and_not1_b32 exec_lo, exec_lo, s6
	s_cbranch_execnz .LBB0_1318
; %bb.1323:                             ;   in Loop: Header=BB0_1318 Depth=2
	s_or_b32 exec_lo, exec_lo, s6
	s_wait_loadcnt 0x0
	v_dual_mov_b32 v7, v8 :: v_dual_mov_b32 v1, 0
	s_mov_b32 s6, 0
	s_delay_alu instid0(VALU_DEP_1) | instskip(SKIP_1) | instid1(SALU_CYCLE_1)
	v_cmp_eq_u64_e32 vcc_lo, s[4:5], v[6:7]
	s_or_b32 s1, vcc_lo, s1
	s_and_not1_b32 exec_lo, exec_lo, s1
	s_cbranch_execnz .LBB0_1318
; %bb.1324:                             ;   in Loop: Header=BB0_1 Depth=1
	s_or_b32 exec_lo, exec_lo, s1
	s_add_co_i32 s4, s2, 0xbd
	s_mov_b32 s1, s3
	s_bfe_u32 s0, s4, 0x100003
	v_dual_mov_b32 v2, s4 :: v_dual_mov_b32 v3, s4
	s_mulk_i32 s0, 0x20c5
	v_dual_mov_b32 v5, s4 :: v_dual_mov_b32 v1, 0
	s_lshr_b32 s0, s0, 20
	s_mov_b32 s5, s3
	s_mulk_i32 s0, 0x3e8
	s_delay_alu instid0(SALU_CYCLE_1) | instskip(NEXT) | instid1(SALU_CYCLE_1)
	s_sub_co_i32 s0, s4, s0
	s_and_b32 s0, s0, 0xffff
	s_delay_alu instid0(SALU_CYCLE_1) | instskip(NEXT) | instid1(SALU_CYCLE_1)
	s_lshl_b32 s0, s0, 12
	v_add_nc_u64_e32 v[6:7], s[0:1], v[10:11]
	v_add_nc_u64_e32 v[14:15], s[0:1], v[12:13]
	s_mov_b32 s1, 0
	global_store_b128 v[6:7], v[2:5], off th:TH_STORE_NT
.LBB0_1325:                             ;   Parent Loop BB0_1 Depth=1
                                        ; =>  This Inner Loop Header: Depth=2
	s_wait_loadcnt 0x0
	global_load_b128 v[6:9], v[14:15], off th:TH_LOAD_NT
	v_add_nc_u32_e32 v1, 1, v1
	s_mov_b32 s0, -1
	s_mov_b32 s7, -1
	s_mov_b32 s12, exec_lo
	s_wait_xcnt 0x0
	v_cmpx_eq_u32_e32 0xf4240, v1
	s_cbranch_execz .LBB0_1327
; %bb.1326:                             ;   in Loop: Header=BB0_1325 Depth=2
	s_wait_loadcnt 0x0
	s_wait_storecnt 0x0
	global_load_b32 v1, v4, s[10:11] scope:SCOPE_SYS
	s_wait_loadcnt 0x0
	global_inv scope:SCOPE_SYS
	v_cmp_eq_u32_e32 vcc_lo, 0, v1
	v_mov_b32_e32 v1, 0
	s_or_not1_b32 s7, vcc_lo, exec_lo
.LBB0_1327:                             ;   in Loop: Header=BB0_1325 Depth=2
	s_wait_xcnt 0x0
	s_or_b32 exec_lo, exec_lo, s12
	s_and_saveexec_b32 s12, s7
	s_cbranch_execz .LBB0_1329
; %bb.1328:                             ;   in Loop: Header=BB0_1325 Depth=2
	s_wait_loadcnt 0x0
	v_cmp_eq_u32_e32 vcc_lo, s4, v7
	v_cmp_eq_u32_e64 s0, s4, v9
	s_and_b32 s0, vcc_lo, s0
	s_delay_alu instid0(SALU_CYCLE_1)
	s_or_not1_b32 s0, s0, exec_lo
.LBB0_1329:                             ;   in Loop: Header=BB0_1325 Depth=2
	s_or_b32 exec_lo, exec_lo, s12
	s_delay_alu instid0(SALU_CYCLE_1) | instskip(NEXT) | instid1(SALU_CYCLE_1)
	s_and_b32 s0, exec_lo, s0
	s_or_b32 s6, s0, s6
	s_delay_alu instid0(SALU_CYCLE_1)
	s_and_not1_b32 exec_lo, exec_lo, s6
	s_cbranch_execnz .LBB0_1325
; %bb.1330:                             ;   in Loop: Header=BB0_1325 Depth=2
	s_or_b32 exec_lo, exec_lo, s6
	s_wait_loadcnt 0x0
	v_dual_mov_b32 v7, v8 :: v_dual_mov_b32 v1, 0
	s_mov_b32 s6, 0
	s_delay_alu instid0(VALU_DEP_1) | instskip(SKIP_1) | instid1(SALU_CYCLE_1)
	v_cmp_eq_u64_e32 vcc_lo, s[4:5], v[6:7]
	s_or_b32 s1, vcc_lo, s1
	s_and_not1_b32 exec_lo, exec_lo, s1
	s_cbranch_execnz .LBB0_1325
; %bb.1331:                             ;   in Loop: Header=BB0_1 Depth=1
	s_or_b32 exec_lo, exec_lo, s1
	s_add_co_i32 s4, s2, 0xbe
	s_mov_b32 s1, s3
	s_bfe_u32 s0, s4, 0x100003
	v_dual_mov_b32 v2, s4 :: v_dual_mov_b32 v3, s4
	s_mulk_i32 s0, 0x20c5
	v_dual_mov_b32 v5, s4 :: v_dual_mov_b32 v1, 0
	s_lshr_b32 s0, s0, 20
	s_mov_b32 s5, s3
	s_mulk_i32 s0, 0x3e8
	s_delay_alu instid0(SALU_CYCLE_1) | instskip(NEXT) | instid1(SALU_CYCLE_1)
	s_sub_co_i32 s0, s4, s0
	s_and_b32 s0, s0, 0xffff
	s_delay_alu instid0(SALU_CYCLE_1) | instskip(NEXT) | instid1(SALU_CYCLE_1)
	s_lshl_b32 s0, s0, 12
	v_add_nc_u64_e32 v[6:7], s[0:1], v[10:11]
	v_add_nc_u64_e32 v[14:15], s[0:1], v[12:13]
	s_mov_b32 s1, 0
	global_store_b128 v[6:7], v[2:5], off th:TH_STORE_NT
.LBB0_1332:                             ;   Parent Loop BB0_1 Depth=1
                                        ; =>  This Inner Loop Header: Depth=2
	s_wait_loadcnt 0x0
	global_load_b128 v[6:9], v[14:15], off th:TH_LOAD_NT
	v_add_nc_u32_e32 v1, 1, v1
	s_mov_b32 s0, -1
	s_mov_b32 s7, -1
	s_mov_b32 s12, exec_lo
	s_wait_xcnt 0x0
	v_cmpx_eq_u32_e32 0xf4240, v1
	s_cbranch_execz .LBB0_1334
; %bb.1333:                             ;   in Loop: Header=BB0_1332 Depth=2
	s_wait_loadcnt 0x0
	s_wait_storecnt 0x0
	global_load_b32 v1, v4, s[10:11] scope:SCOPE_SYS
	s_wait_loadcnt 0x0
	global_inv scope:SCOPE_SYS
	v_cmp_eq_u32_e32 vcc_lo, 0, v1
	v_mov_b32_e32 v1, 0
	s_or_not1_b32 s7, vcc_lo, exec_lo
.LBB0_1334:                             ;   in Loop: Header=BB0_1332 Depth=2
	s_wait_xcnt 0x0
	s_or_b32 exec_lo, exec_lo, s12
	s_and_saveexec_b32 s12, s7
	s_cbranch_execz .LBB0_1336
; %bb.1335:                             ;   in Loop: Header=BB0_1332 Depth=2
	s_wait_loadcnt 0x0
	v_cmp_eq_u32_e32 vcc_lo, s4, v7
	v_cmp_eq_u32_e64 s0, s4, v9
	s_and_b32 s0, vcc_lo, s0
	s_delay_alu instid0(SALU_CYCLE_1)
	s_or_not1_b32 s0, s0, exec_lo
.LBB0_1336:                             ;   in Loop: Header=BB0_1332 Depth=2
	s_or_b32 exec_lo, exec_lo, s12
	s_delay_alu instid0(SALU_CYCLE_1) | instskip(NEXT) | instid1(SALU_CYCLE_1)
	s_and_b32 s0, exec_lo, s0
	s_or_b32 s6, s0, s6
	s_delay_alu instid0(SALU_CYCLE_1)
	s_and_not1_b32 exec_lo, exec_lo, s6
	s_cbranch_execnz .LBB0_1332
; %bb.1337:                             ;   in Loop: Header=BB0_1332 Depth=2
	s_or_b32 exec_lo, exec_lo, s6
	s_wait_loadcnt 0x0
	v_dual_mov_b32 v7, v8 :: v_dual_mov_b32 v1, 0
	s_mov_b32 s6, 0
	s_delay_alu instid0(VALU_DEP_1) | instskip(SKIP_1) | instid1(SALU_CYCLE_1)
	v_cmp_eq_u64_e32 vcc_lo, s[4:5], v[6:7]
	s_or_b32 s1, vcc_lo, s1
	s_and_not1_b32 exec_lo, exec_lo, s1
	s_cbranch_execnz .LBB0_1332
; %bb.1338:                             ;   in Loop: Header=BB0_1 Depth=1
	s_or_b32 exec_lo, exec_lo, s1
	s_add_co_i32 s4, s2, 0xbf
	s_mov_b32 s1, s3
	s_bfe_u32 s0, s4, 0x100003
	v_dual_mov_b32 v2, s4 :: v_dual_mov_b32 v3, s4
	s_mulk_i32 s0, 0x20c5
	v_dual_mov_b32 v5, s4 :: v_dual_mov_b32 v1, 0
	s_lshr_b32 s0, s0, 20
	s_mov_b32 s5, s3
	s_mulk_i32 s0, 0x3e8
	s_delay_alu instid0(SALU_CYCLE_1) | instskip(NEXT) | instid1(SALU_CYCLE_1)
	s_sub_co_i32 s0, s4, s0
	s_and_b32 s0, s0, 0xffff
	s_delay_alu instid0(SALU_CYCLE_1) | instskip(NEXT) | instid1(SALU_CYCLE_1)
	s_lshl_b32 s0, s0, 12
	v_add_nc_u64_e32 v[6:7], s[0:1], v[10:11]
	v_add_nc_u64_e32 v[14:15], s[0:1], v[12:13]
	s_mov_b32 s1, 0
	global_store_b128 v[6:7], v[2:5], off th:TH_STORE_NT
.LBB0_1339:                             ;   Parent Loop BB0_1 Depth=1
                                        ; =>  This Inner Loop Header: Depth=2
	s_wait_loadcnt 0x0
	global_load_b128 v[6:9], v[14:15], off th:TH_LOAD_NT
	v_add_nc_u32_e32 v1, 1, v1
	s_mov_b32 s0, -1
	s_mov_b32 s7, -1
	s_mov_b32 s12, exec_lo
	s_wait_xcnt 0x0
	v_cmpx_eq_u32_e32 0xf4240, v1
	s_cbranch_execz .LBB0_1341
; %bb.1340:                             ;   in Loop: Header=BB0_1339 Depth=2
	s_wait_loadcnt 0x0
	s_wait_storecnt 0x0
	global_load_b32 v1, v4, s[10:11] scope:SCOPE_SYS
	s_wait_loadcnt 0x0
	global_inv scope:SCOPE_SYS
	v_cmp_eq_u32_e32 vcc_lo, 0, v1
	v_mov_b32_e32 v1, 0
	s_or_not1_b32 s7, vcc_lo, exec_lo
.LBB0_1341:                             ;   in Loop: Header=BB0_1339 Depth=2
	s_wait_xcnt 0x0
	s_or_b32 exec_lo, exec_lo, s12
	s_and_saveexec_b32 s12, s7
	s_cbranch_execz .LBB0_1343
; %bb.1342:                             ;   in Loop: Header=BB0_1339 Depth=2
	s_wait_loadcnt 0x0
	v_cmp_eq_u32_e32 vcc_lo, s4, v7
	v_cmp_eq_u32_e64 s0, s4, v9
	s_and_b32 s0, vcc_lo, s0
	s_delay_alu instid0(SALU_CYCLE_1)
	s_or_not1_b32 s0, s0, exec_lo
.LBB0_1343:                             ;   in Loop: Header=BB0_1339 Depth=2
	s_or_b32 exec_lo, exec_lo, s12
	s_delay_alu instid0(SALU_CYCLE_1) | instskip(NEXT) | instid1(SALU_CYCLE_1)
	s_and_b32 s0, exec_lo, s0
	s_or_b32 s6, s0, s6
	s_delay_alu instid0(SALU_CYCLE_1)
	s_and_not1_b32 exec_lo, exec_lo, s6
	s_cbranch_execnz .LBB0_1339
; %bb.1344:                             ;   in Loop: Header=BB0_1339 Depth=2
	s_or_b32 exec_lo, exec_lo, s6
	s_wait_loadcnt 0x0
	v_dual_mov_b32 v7, v8 :: v_dual_mov_b32 v1, 0
	s_mov_b32 s6, 0
	s_delay_alu instid0(VALU_DEP_1) | instskip(SKIP_1) | instid1(SALU_CYCLE_1)
	v_cmp_eq_u64_e32 vcc_lo, s[4:5], v[6:7]
	s_or_b32 s1, vcc_lo, s1
	s_and_not1_b32 exec_lo, exec_lo, s1
	s_cbranch_execnz .LBB0_1339
; %bb.1345:                             ;   in Loop: Header=BB0_1 Depth=1
	s_or_b32 exec_lo, exec_lo, s1
	s_add_co_i32 s4, s2, 0xc0
	s_mov_b32 s1, s3
	s_bfe_u32 s0, s4, 0x100003
	v_dual_mov_b32 v2, s4 :: v_dual_mov_b32 v3, s4
	s_mulk_i32 s0, 0x20c5
	v_dual_mov_b32 v5, s4 :: v_dual_mov_b32 v1, 0
	s_lshr_b32 s0, s0, 20
	s_mov_b32 s5, s3
	s_mulk_i32 s0, 0x3e8
	s_delay_alu instid0(SALU_CYCLE_1) | instskip(NEXT) | instid1(SALU_CYCLE_1)
	s_sub_co_i32 s0, s4, s0
	s_and_b32 s0, s0, 0xffff
	s_delay_alu instid0(SALU_CYCLE_1) | instskip(NEXT) | instid1(SALU_CYCLE_1)
	s_lshl_b32 s0, s0, 12
	v_add_nc_u64_e32 v[6:7], s[0:1], v[10:11]
	v_add_nc_u64_e32 v[14:15], s[0:1], v[12:13]
	s_mov_b32 s1, 0
	global_store_b128 v[6:7], v[2:5], off th:TH_STORE_NT
.LBB0_1346:                             ;   Parent Loop BB0_1 Depth=1
                                        ; =>  This Inner Loop Header: Depth=2
	s_wait_loadcnt 0x0
	global_load_b128 v[6:9], v[14:15], off th:TH_LOAD_NT
	v_add_nc_u32_e32 v1, 1, v1
	s_mov_b32 s0, -1
	s_mov_b32 s7, -1
	s_mov_b32 s12, exec_lo
	s_wait_xcnt 0x0
	v_cmpx_eq_u32_e32 0xf4240, v1
	s_cbranch_execz .LBB0_1348
; %bb.1347:                             ;   in Loop: Header=BB0_1346 Depth=2
	s_wait_loadcnt 0x0
	s_wait_storecnt 0x0
	global_load_b32 v1, v4, s[10:11] scope:SCOPE_SYS
	s_wait_loadcnt 0x0
	global_inv scope:SCOPE_SYS
	v_cmp_eq_u32_e32 vcc_lo, 0, v1
	v_mov_b32_e32 v1, 0
	s_or_not1_b32 s7, vcc_lo, exec_lo
.LBB0_1348:                             ;   in Loop: Header=BB0_1346 Depth=2
	s_wait_xcnt 0x0
	s_or_b32 exec_lo, exec_lo, s12
	s_and_saveexec_b32 s12, s7
	s_cbranch_execz .LBB0_1350
; %bb.1349:                             ;   in Loop: Header=BB0_1346 Depth=2
	s_wait_loadcnt 0x0
	v_cmp_eq_u32_e32 vcc_lo, s4, v7
	v_cmp_eq_u32_e64 s0, s4, v9
	s_and_b32 s0, vcc_lo, s0
	s_delay_alu instid0(SALU_CYCLE_1)
	s_or_not1_b32 s0, s0, exec_lo
.LBB0_1350:                             ;   in Loop: Header=BB0_1346 Depth=2
	s_or_b32 exec_lo, exec_lo, s12
	s_delay_alu instid0(SALU_CYCLE_1) | instskip(NEXT) | instid1(SALU_CYCLE_1)
	s_and_b32 s0, exec_lo, s0
	s_or_b32 s6, s0, s6
	s_delay_alu instid0(SALU_CYCLE_1)
	s_and_not1_b32 exec_lo, exec_lo, s6
	s_cbranch_execnz .LBB0_1346
; %bb.1351:                             ;   in Loop: Header=BB0_1346 Depth=2
	s_or_b32 exec_lo, exec_lo, s6
	s_wait_loadcnt 0x0
	v_dual_mov_b32 v7, v8 :: v_dual_mov_b32 v1, 0
	s_mov_b32 s6, 0
	s_delay_alu instid0(VALU_DEP_1) | instskip(SKIP_1) | instid1(SALU_CYCLE_1)
	v_cmp_eq_u64_e32 vcc_lo, s[4:5], v[6:7]
	s_or_b32 s1, vcc_lo, s1
	s_and_not1_b32 exec_lo, exec_lo, s1
	s_cbranch_execnz .LBB0_1346
; %bb.1352:                             ;   in Loop: Header=BB0_1 Depth=1
	s_or_b32 exec_lo, exec_lo, s1
	s_add_co_i32 s4, s2, 0xc1
	s_mov_b32 s1, s3
	s_bfe_u32 s0, s4, 0x100003
	v_dual_mov_b32 v2, s4 :: v_dual_mov_b32 v3, s4
	s_mulk_i32 s0, 0x20c5
	v_dual_mov_b32 v5, s4 :: v_dual_mov_b32 v1, 0
	s_lshr_b32 s0, s0, 20
	s_mov_b32 s5, s3
	s_mulk_i32 s0, 0x3e8
	s_delay_alu instid0(SALU_CYCLE_1) | instskip(NEXT) | instid1(SALU_CYCLE_1)
	s_sub_co_i32 s0, s4, s0
	s_and_b32 s0, s0, 0xffff
	s_delay_alu instid0(SALU_CYCLE_1) | instskip(NEXT) | instid1(SALU_CYCLE_1)
	s_lshl_b32 s0, s0, 12
	v_add_nc_u64_e32 v[6:7], s[0:1], v[10:11]
	v_add_nc_u64_e32 v[14:15], s[0:1], v[12:13]
	s_mov_b32 s1, 0
	global_store_b128 v[6:7], v[2:5], off th:TH_STORE_NT
.LBB0_1353:                             ;   Parent Loop BB0_1 Depth=1
                                        ; =>  This Inner Loop Header: Depth=2
	s_wait_loadcnt 0x0
	global_load_b128 v[6:9], v[14:15], off th:TH_LOAD_NT
	v_add_nc_u32_e32 v1, 1, v1
	s_mov_b32 s0, -1
	s_mov_b32 s7, -1
	s_mov_b32 s12, exec_lo
	s_wait_xcnt 0x0
	v_cmpx_eq_u32_e32 0xf4240, v1
	s_cbranch_execz .LBB0_1355
; %bb.1354:                             ;   in Loop: Header=BB0_1353 Depth=2
	s_wait_loadcnt 0x0
	s_wait_storecnt 0x0
	global_load_b32 v1, v4, s[10:11] scope:SCOPE_SYS
	s_wait_loadcnt 0x0
	global_inv scope:SCOPE_SYS
	v_cmp_eq_u32_e32 vcc_lo, 0, v1
	v_mov_b32_e32 v1, 0
	s_or_not1_b32 s7, vcc_lo, exec_lo
.LBB0_1355:                             ;   in Loop: Header=BB0_1353 Depth=2
	s_wait_xcnt 0x0
	s_or_b32 exec_lo, exec_lo, s12
	s_and_saveexec_b32 s12, s7
	s_cbranch_execz .LBB0_1357
; %bb.1356:                             ;   in Loop: Header=BB0_1353 Depth=2
	s_wait_loadcnt 0x0
	v_cmp_eq_u32_e32 vcc_lo, s4, v7
	v_cmp_eq_u32_e64 s0, s4, v9
	s_and_b32 s0, vcc_lo, s0
	s_delay_alu instid0(SALU_CYCLE_1)
	s_or_not1_b32 s0, s0, exec_lo
.LBB0_1357:                             ;   in Loop: Header=BB0_1353 Depth=2
	s_or_b32 exec_lo, exec_lo, s12
	s_delay_alu instid0(SALU_CYCLE_1) | instskip(NEXT) | instid1(SALU_CYCLE_1)
	s_and_b32 s0, exec_lo, s0
	s_or_b32 s6, s0, s6
	s_delay_alu instid0(SALU_CYCLE_1)
	s_and_not1_b32 exec_lo, exec_lo, s6
	s_cbranch_execnz .LBB0_1353
; %bb.1358:                             ;   in Loop: Header=BB0_1353 Depth=2
	s_or_b32 exec_lo, exec_lo, s6
	s_wait_loadcnt 0x0
	v_dual_mov_b32 v7, v8 :: v_dual_mov_b32 v1, 0
	s_mov_b32 s6, 0
	s_delay_alu instid0(VALU_DEP_1) | instskip(SKIP_1) | instid1(SALU_CYCLE_1)
	v_cmp_eq_u64_e32 vcc_lo, s[4:5], v[6:7]
	s_or_b32 s1, vcc_lo, s1
	s_and_not1_b32 exec_lo, exec_lo, s1
	s_cbranch_execnz .LBB0_1353
; %bb.1359:                             ;   in Loop: Header=BB0_1 Depth=1
	s_or_b32 exec_lo, exec_lo, s1
	s_add_co_i32 s4, s2, 0xc2
	s_mov_b32 s1, s3
	s_bfe_u32 s0, s4, 0x100003
	v_dual_mov_b32 v2, s4 :: v_dual_mov_b32 v3, s4
	s_mulk_i32 s0, 0x20c5
	v_dual_mov_b32 v5, s4 :: v_dual_mov_b32 v1, 0
	s_lshr_b32 s0, s0, 20
	s_mov_b32 s5, s3
	s_mulk_i32 s0, 0x3e8
	s_delay_alu instid0(SALU_CYCLE_1) | instskip(NEXT) | instid1(SALU_CYCLE_1)
	s_sub_co_i32 s0, s4, s0
	s_and_b32 s0, s0, 0xffff
	s_delay_alu instid0(SALU_CYCLE_1) | instskip(NEXT) | instid1(SALU_CYCLE_1)
	s_lshl_b32 s0, s0, 12
	v_add_nc_u64_e32 v[6:7], s[0:1], v[10:11]
	v_add_nc_u64_e32 v[14:15], s[0:1], v[12:13]
	s_mov_b32 s1, 0
	global_store_b128 v[6:7], v[2:5], off th:TH_STORE_NT
.LBB0_1360:                             ;   Parent Loop BB0_1 Depth=1
                                        ; =>  This Inner Loop Header: Depth=2
	s_wait_loadcnt 0x0
	global_load_b128 v[6:9], v[14:15], off th:TH_LOAD_NT
	v_add_nc_u32_e32 v1, 1, v1
	s_mov_b32 s0, -1
	s_mov_b32 s7, -1
	s_mov_b32 s12, exec_lo
	s_wait_xcnt 0x0
	v_cmpx_eq_u32_e32 0xf4240, v1
	s_cbranch_execz .LBB0_1362
; %bb.1361:                             ;   in Loop: Header=BB0_1360 Depth=2
	s_wait_loadcnt 0x0
	s_wait_storecnt 0x0
	global_load_b32 v1, v4, s[10:11] scope:SCOPE_SYS
	s_wait_loadcnt 0x0
	global_inv scope:SCOPE_SYS
	v_cmp_eq_u32_e32 vcc_lo, 0, v1
	v_mov_b32_e32 v1, 0
	s_or_not1_b32 s7, vcc_lo, exec_lo
.LBB0_1362:                             ;   in Loop: Header=BB0_1360 Depth=2
	s_wait_xcnt 0x0
	s_or_b32 exec_lo, exec_lo, s12
	s_and_saveexec_b32 s12, s7
	s_cbranch_execz .LBB0_1364
; %bb.1363:                             ;   in Loop: Header=BB0_1360 Depth=2
	s_wait_loadcnt 0x0
	v_cmp_eq_u32_e32 vcc_lo, s4, v7
	v_cmp_eq_u32_e64 s0, s4, v9
	s_and_b32 s0, vcc_lo, s0
	s_delay_alu instid0(SALU_CYCLE_1)
	s_or_not1_b32 s0, s0, exec_lo
.LBB0_1364:                             ;   in Loop: Header=BB0_1360 Depth=2
	s_or_b32 exec_lo, exec_lo, s12
	s_delay_alu instid0(SALU_CYCLE_1) | instskip(NEXT) | instid1(SALU_CYCLE_1)
	s_and_b32 s0, exec_lo, s0
	s_or_b32 s6, s0, s6
	s_delay_alu instid0(SALU_CYCLE_1)
	s_and_not1_b32 exec_lo, exec_lo, s6
	s_cbranch_execnz .LBB0_1360
; %bb.1365:                             ;   in Loop: Header=BB0_1360 Depth=2
	s_or_b32 exec_lo, exec_lo, s6
	s_wait_loadcnt 0x0
	v_dual_mov_b32 v7, v8 :: v_dual_mov_b32 v1, 0
	s_mov_b32 s6, 0
	s_delay_alu instid0(VALU_DEP_1) | instskip(SKIP_1) | instid1(SALU_CYCLE_1)
	v_cmp_eq_u64_e32 vcc_lo, s[4:5], v[6:7]
	s_or_b32 s1, vcc_lo, s1
	s_and_not1_b32 exec_lo, exec_lo, s1
	s_cbranch_execnz .LBB0_1360
; %bb.1366:                             ;   in Loop: Header=BB0_1 Depth=1
	s_or_b32 exec_lo, exec_lo, s1
	s_add_co_i32 s4, s2, 0xc3
	s_mov_b32 s1, s3
	s_bfe_u32 s0, s4, 0x100003
	v_dual_mov_b32 v2, s4 :: v_dual_mov_b32 v3, s4
	s_mulk_i32 s0, 0x20c5
	v_dual_mov_b32 v5, s4 :: v_dual_mov_b32 v1, 0
	s_lshr_b32 s0, s0, 20
	s_mov_b32 s5, s3
	s_mulk_i32 s0, 0x3e8
	s_delay_alu instid0(SALU_CYCLE_1) | instskip(NEXT) | instid1(SALU_CYCLE_1)
	s_sub_co_i32 s0, s4, s0
	s_and_b32 s0, s0, 0xffff
	s_delay_alu instid0(SALU_CYCLE_1) | instskip(NEXT) | instid1(SALU_CYCLE_1)
	s_lshl_b32 s0, s0, 12
	v_add_nc_u64_e32 v[6:7], s[0:1], v[10:11]
	v_add_nc_u64_e32 v[14:15], s[0:1], v[12:13]
	s_mov_b32 s1, 0
	global_store_b128 v[6:7], v[2:5], off th:TH_STORE_NT
.LBB0_1367:                             ;   Parent Loop BB0_1 Depth=1
                                        ; =>  This Inner Loop Header: Depth=2
	s_wait_loadcnt 0x0
	global_load_b128 v[6:9], v[14:15], off th:TH_LOAD_NT
	v_add_nc_u32_e32 v1, 1, v1
	s_mov_b32 s0, -1
	s_mov_b32 s7, -1
	s_mov_b32 s12, exec_lo
	s_wait_xcnt 0x0
	v_cmpx_eq_u32_e32 0xf4240, v1
	s_cbranch_execz .LBB0_1369
; %bb.1368:                             ;   in Loop: Header=BB0_1367 Depth=2
	s_wait_loadcnt 0x0
	s_wait_storecnt 0x0
	global_load_b32 v1, v4, s[10:11] scope:SCOPE_SYS
	s_wait_loadcnt 0x0
	global_inv scope:SCOPE_SYS
	v_cmp_eq_u32_e32 vcc_lo, 0, v1
	v_mov_b32_e32 v1, 0
	s_or_not1_b32 s7, vcc_lo, exec_lo
.LBB0_1369:                             ;   in Loop: Header=BB0_1367 Depth=2
	s_wait_xcnt 0x0
	s_or_b32 exec_lo, exec_lo, s12
	s_and_saveexec_b32 s12, s7
	s_cbranch_execz .LBB0_1371
; %bb.1370:                             ;   in Loop: Header=BB0_1367 Depth=2
	s_wait_loadcnt 0x0
	v_cmp_eq_u32_e32 vcc_lo, s4, v7
	v_cmp_eq_u32_e64 s0, s4, v9
	s_and_b32 s0, vcc_lo, s0
	s_delay_alu instid0(SALU_CYCLE_1)
	s_or_not1_b32 s0, s0, exec_lo
.LBB0_1371:                             ;   in Loop: Header=BB0_1367 Depth=2
	s_or_b32 exec_lo, exec_lo, s12
	s_delay_alu instid0(SALU_CYCLE_1) | instskip(NEXT) | instid1(SALU_CYCLE_1)
	s_and_b32 s0, exec_lo, s0
	s_or_b32 s6, s0, s6
	s_delay_alu instid0(SALU_CYCLE_1)
	s_and_not1_b32 exec_lo, exec_lo, s6
	s_cbranch_execnz .LBB0_1367
; %bb.1372:                             ;   in Loop: Header=BB0_1367 Depth=2
	s_or_b32 exec_lo, exec_lo, s6
	s_wait_loadcnt 0x0
	v_dual_mov_b32 v7, v8 :: v_dual_mov_b32 v1, 0
	s_mov_b32 s6, 0
	s_delay_alu instid0(VALU_DEP_1) | instskip(SKIP_1) | instid1(SALU_CYCLE_1)
	v_cmp_eq_u64_e32 vcc_lo, s[4:5], v[6:7]
	s_or_b32 s1, vcc_lo, s1
	s_and_not1_b32 exec_lo, exec_lo, s1
	s_cbranch_execnz .LBB0_1367
; %bb.1373:                             ;   in Loop: Header=BB0_1 Depth=1
	s_or_b32 exec_lo, exec_lo, s1
	s_add_co_i32 s4, s2, 0xc4
	s_mov_b32 s1, s3
	s_bfe_u32 s0, s4, 0x100003
	v_dual_mov_b32 v2, s4 :: v_dual_mov_b32 v3, s4
	s_mulk_i32 s0, 0x20c5
	v_dual_mov_b32 v5, s4 :: v_dual_mov_b32 v1, 0
	s_lshr_b32 s0, s0, 20
	s_mov_b32 s5, s3
	s_mulk_i32 s0, 0x3e8
	s_delay_alu instid0(SALU_CYCLE_1) | instskip(NEXT) | instid1(SALU_CYCLE_1)
	s_sub_co_i32 s0, s4, s0
	s_and_b32 s0, s0, 0xffff
	s_delay_alu instid0(SALU_CYCLE_1) | instskip(NEXT) | instid1(SALU_CYCLE_1)
	s_lshl_b32 s0, s0, 12
	v_add_nc_u64_e32 v[6:7], s[0:1], v[10:11]
	v_add_nc_u64_e32 v[14:15], s[0:1], v[12:13]
	s_mov_b32 s1, 0
	global_store_b128 v[6:7], v[2:5], off th:TH_STORE_NT
.LBB0_1374:                             ;   Parent Loop BB0_1 Depth=1
                                        ; =>  This Inner Loop Header: Depth=2
	s_wait_loadcnt 0x0
	global_load_b128 v[6:9], v[14:15], off th:TH_LOAD_NT
	v_add_nc_u32_e32 v1, 1, v1
	s_mov_b32 s0, -1
	s_mov_b32 s7, -1
	s_mov_b32 s12, exec_lo
	s_wait_xcnt 0x0
	v_cmpx_eq_u32_e32 0xf4240, v1
	s_cbranch_execz .LBB0_1376
; %bb.1375:                             ;   in Loop: Header=BB0_1374 Depth=2
	s_wait_loadcnt 0x0
	s_wait_storecnt 0x0
	global_load_b32 v1, v4, s[10:11] scope:SCOPE_SYS
	s_wait_loadcnt 0x0
	global_inv scope:SCOPE_SYS
	v_cmp_eq_u32_e32 vcc_lo, 0, v1
	v_mov_b32_e32 v1, 0
	s_or_not1_b32 s7, vcc_lo, exec_lo
.LBB0_1376:                             ;   in Loop: Header=BB0_1374 Depth=2
	s_wait_xcnt 0x0
	s_or_b32 exec_lo, exec_lo, s12
	s_and_saveexec_b32 s12, s7
	s_cbranch_execz .LBB0_1378
; %bb.1377:                             ;   in Loop: Header=BB0_1374 Depth=2
	s_wait_loadcnt 0x0
	v_cmp_eq_u32_e32 vcc_lo, s4, v7
	v_cmp_eq_u32_e64 s0, s4, v9
	s_and_b32 s0, vcc_lo, s0
	s_delay_alu instid0(SALU_CYCLE_1)
	s_or_not1_b32 s0, s0, exec_lo
.LBB0_1378:                             ;   in Loop: Header=BB0_1374 Depth=2
	s_or_b32 exec_lo, exec_lo, s12
	s_delay_alu instid0(SALU_CYCLE_1) | instskip(NEXT) | instid1(SALU_CYCLE_1)
	s_and_b32 s0, exec_lo, s0
	s_or_b32 s6, s0, s6
	s_delay_alu instid0(SALU_CYCLE_1)
	s_and_not1_b32 exec_lo, exec_lo, s6
	s_cbranch_execnz .LBB0_1374
; %bb.1379:                             ;   in Loop: Header=BB0_1374 Depth=2
	s_or_b32 exec_lo, exec_lo, s6
	s_wait_loadcnt 0x0
	v_dual_mov_b32 v7, v8 :: v_dual_mov_b32 v1, 0
	s_mov_b32 s6, 0
	s_delay_alu instid0(VALU_DEP_1) | instskip(SKIP_1) | instid1(SALU_CYCLE_1)
	v_cmp_eq_u64_e32 vcc_lo, s[4:5], v[6:7]
	s_or_b32 s1, vcc_lo, s1
	s_and_not1_b32 exec_lo, exec_lo, s1
	s_cbranch_execnz .LBB0_1374
; %bb.1380:                             ;   in Loop: Header=BB0_1 Depth=1
	s_or_b32 exec_lo, exec_lo, s1
	s_add_co_i32 s4, s2, 0xc5
	s_mov_b32 s1, s3
	s_bfe_u32 s0, s4, 0x100003
	v_dual_mov_b32 v2, s4 :: v_dual_mov_b32 v3, s4
	s_mulk_i32 s0, 0x20c5
	v_dual_mov_b32 v5, s4 :: v_dual_mov_b32 v1, 0
	s_lshr_b32 s0, s0, 20
	s_mov_b32 s5, s3
	s_mulk_i32 s0, 0x3e8
	s_delay_alu instid0(SALU_CYCLE_1) | instskip(NEXT) | instid1(SALU_CYCLE_1)
	s_sub_co_i32 s0, s4, s0
	s_and_b32 s0, s0, 0xffff
	s_delay_alu instid0(SALU_CYCLE_1) | instskip(NEXT) | instid1(SALU_CYCLE_1)
	s_lshl_b32 s0, s0, 12
	v_add_nc_u64_e32 v[6:7], s[0:1], v[10:11]
	v_add_nc_u64_e32 v[14:15], s[0:1], v[12:13]
	s_mov_b32 s1, 0
	global_store_b128 v[6:7], v[2:5], off th:TH_STORE_NT
.LBB0_1381:                             ;   Parent Loop BB0_1 Depth=1
                                        ; =>  This Inner Loop Header: Depth=2
	s_wait_loadcnt 0x0
	global_load_b128 v[6:9], v[14:15], off th:TH_LOAD_NT
	v_add_nc_u32_e32 v1, 1, v1
	s_mov_b32 s0, -1
	s_mov_b32 s7, -1
	s_mov_b32 s12, exec_lo
	s_wait_xcnt 0x0
	v_cmpx_eq_u32_e32 0xf4240, v1
	s_cbranch_execz .LBB0_1383
; %bb.1382:                             ;   in Loop: Header=BB0_1381 Depth=2
	s_wait_loadcnt 0x0
	s_wait_storecnt 0x0
	global_load_b32 v1, v4, s[10:11] scope:SCOPE_SYS
	s_wait_loadcnt 0x0
	global_inv scope:SCOPE_SYS
	v_cmp_eq_u32_e32 vcc_lo, 0, v1
	v_mov_b32_e32 v1, 0
	s_or_not1_b32 s7, vcc_lo, exec_lo
.LBB0_1383:                             ;   in Loop: Header=BB0_1381 Depth=2
	s_wait_xcnt 0x0
	s_or_b32 exec_lo, exec_lo, s12
	s_and_saveexec_b32 s12, s7
	s_cbranch_execz .LBB0_1385
; %bb.1384:                             ;   in Loop: Header=BB0_1381 Depth=2
	s_wait_loadcnt 0x0
	v_cmp_eq_u32_e32 vcc_lo, s4, v7
	v_cmp_eq_u32_e64 s0, s4, v9
	s_and_b32 s0, vcc_lo, s0
	s_delay_alu instid0(SALU_CYCLE_1)
	s_or_not1_b32 s0, s0, exec_lo
.LBB0_1385:                             ;   in Loop: Header=BB0_1381 Depth=2
	s_or_b32 exec_lo, exec_lo, s12
	s_delay_alu instid0(SALU_CYCLE_1) | instskip(NEXT) | instid1(SALU_CYCLE_1)
	s_and_b32 s0, exec_lo, s0
	s_or_b32 s6, s0, s6
	s_delay_alu instid0(SALU_CYCLE_1)
	s_and_not1_b32 exec_lo, exec_lo, s6
	s_cbranch_execnz .LBB0_1381
; %bb.1386:                             ;   in Loop: Header=BB0_1381 Depth=2
	s_or_b32 exec_lo, exec_lo, s6
	s_wait_loadcnt 0x0
	v_dual_mov_b32 v7, v8 :: v_dual_mov_b32 v1, 0
	s_mov_b32 s6, 0
	s_delay_alu instid0(VALU_DEP_1) | instskip(SKIP_1) | instid1(SALU_CYCLE_1)
	v_cmp_eq_u64_e32 vcc_lo, s[4:5], v[6:7]
	s_or_b32 s1, vcc_lo, s1
	s_and_not1_b32 exec_lo, exec_lo, s1
	s_cbranch_execnz .LBB0_1381
; %bb.1387:                             ;   in Loop: Header=BB0_1 Depth=1
	s_or_b32 exec_lo, exec_lo, s1
	s_add_co_i32 s4, s2, 0xc6
	s_mov_b32 s1, s3
	s_bfe_u32 s0, s4, 0x100003
	v_dual_mov_b32 v2, s4 :: v_dual_mov_b32 v3, s4
	s_mulk_i32 s0, 0x20c5
	v_dual_mov_b32 v5, s4 :: v_dual_mov_b32 v1, 0
	s_lshr_b32 s0, s0, 20
	s_mov_b32 s5, s3
	s_mulk_i32 s0, 0x3e8
	s_delay_alu instid0(SALU_CYCLE_1) | instskip(NEXT) | instid1(SALU_CYCLE_1)
	s_sub_co_i32 s0, s4, s0
	s_and_b32 s0, s0, 0xffff
	s_delay_alu instid0(SALU_CYCLE_1) | instskip(NEXT) | instid1(SALU_CYCLE_1)
	s_lshl_b32 s0, s0, 12
	v_add_nc_u64_e32 v[6:7], s[0:1], v[10:11]
	v_add_nc_u64_e32 v[14:15], s[0:1], v[12:13]
	s_mov_b32 s1, 0
	global_store_b128 v[6:7], v[2:5], off th:TH_STORE_NT
.LBB0_1388:                             ;   Parent Loop BB0_1 Depth=1
                                        ; =>  This Inner Loop Header: Depth=2
	s_wait_loadcnt 0x0
	global_load_b128 v[6:9], v[14:15], off th:TH_LOAD_NT
	v_add_nc_u32_e32 v1, 1, v1
	s_mov_b32 s0, -1
	s_mov_b32 s7, -1
	s_mov_b32 s12, exec_lo
	s_wait_xcnt 0x0
	v_cmpx_eq_u32_e32 0xf4240, v1
	s_cbranch_execz .LBB0_1390
; %bb.1389:                             ;   in Loop: Header=BB0_1388 Depth=2
	s_wait_loadcnt 0x0
	s_wait_storecnt 0x0
	global_load_b32 v1, v4, s[10:11] scope:SCOPE_SYS
	s_wait_loadcnt 0x0
	global_inv scope:SCOPE_SYS
	v_cmp_eq_u32_e32 vcc_lo, 0, v1
	v_mov_b32_e32 v1, 0
	s_or_not1_b32 s7, vcc_lo, exec_lo
.LBB0_1390:                             ;   in Loop: Header=BB0_1388 Depth=2
	s_wait_xcnt 0x0
	s_or_b32 exec_lo, exec_lo, s12
	s_and_saveexec_b32 s12, s7
	s_cbranch_execz .LBB0_1392
; %bb.1391:                             ;   in Loop: Header=BB0_1388 Depth=2
	s_wait_loadcnt 0x0
	v_cmp_eq_u32_e32 vcc_lo, s4, v7
	v_cmp_eq_u32_e64 s0, s4, v9
	s_and_b32 s0, vcc_lo, s0
	s_delay_alu instid0(SALU_CYCLE_1)
	s_or_not1_b32 s0, s0, exec_lo
.LBB0_1392:                             ;   in Loop: Header=BB0_1388 Depth=2
	s_or_b32 exec_lo, exec_lo, s12
	s_delay_alu instid0(SALU_CYCLE_1) | instskip(NEXT) | instid1(SALU_CYCLE_1)
	s_and_b32 s0, exec_lo, s0
	s_or_b32 s6, s0, s6
	s_delay_alu instid0(SALU_CYCLE_1)
	s_and_not1_b32 exec_lo, exec_lo, s6
	s_cbranch_execnz .LBB0_1388
; %bb.1393:                             ;   in Loop: Header=BB0_1388 Depth=2
	s_or_b32 exec_lo, exec_lo, s6
	s_wait_loadcnt 0x0
	v_dual_mov_b32 v7, v8 :: v_dual_mov_b32 v1, 0
	s_mov_b32 s6, 0
	s_delay_alu instid0(VALU_DEP_1) | instskip(SKIP_1) | instid1(SALU_CYCLE_1)
	v_cmp_eq_u64_e32 vcc_lo, s[4:5], v[6:7]
	s_or_b32 s1, vcc_lo, s1
	s_and_not1_b32 exec_lo, exec_lo, s1
	s_cbranch_execnz .LBB0_1388
; %bb.1394:                             ;   in Loop: Header=BB0_1 Depth=1
	s_or_b32 exec_lo, exec_lo, s1
	s_add_co_i32 s4, s2, 0xc7
	s_mov_b32 s1, s3
	s_bfe_u32 s0, s4, 0x100003
	v_dual_mov_b32 v2, s4 :: v_dual_mov_b32 v3, s4
	s_mulk_i32 s0, 0x20c5
	v_dual_mov_b32 v5, s4 :: v_dual_mov_b32 v1, 0
	s_lshr_b32 s0, s0, 20
	s_mov_b32 s5, s3
	s_mulk_i32 s0, 0x3e8
	s_delay_alu instid0(SALU_CYCLE_1) | instskip(NEXT) | instid1(SALU_CYCLE_1)
	s_sub_co_i32 s0, s4, s0
	s_and_b32 s0, s0, 0xffff
	s_delay_alu instid0(SALU_CYCLE_1) | instskip(NEXT) | instid1(SALU_CYCLE_1)
	s_lshl_b32 s0, s0, 12
	v_add_nc_u64_e32 v[6:7], s[0:1], v[10:11]
	v_add_nc_u64_e32 v[14:15], s[0:1], v[12:13]
	s_mov_b32 s1, 0
	global_store_b128 v[6:7], v[2:5], off th:TH_STORE_NT
.LBB0_1395:                             ;   Parent Loop BB0_1 Depth=1
                                        ; =>  This Inner Loop Header: Depth=2
	s_wait_loadcnt 0x0
	global_load_b128 v[6:9], v[14:15], off th:TH_LOAD_NT
	v_add_nc_u32_e32 v1, 1, v1
	s_mov_b32 s0, -1
	s_mov_b32 s7, -1
	s_mov_b32 s12, exec_lo
	s_wait_xcnt 0x0
	v_cmpx_eq_u32_e32 0xf4240, v1
	s_cbranch_execz .LBB0_1397
; %bb.1396:                             ;   in Loop: Header=BB0_1395 Depth=2
	s_wait_loadcnt 0x0
	s_wait_storecnt 0x0
	global_load_b32 v1, v4, s[10:11] scope:SCOPE_SYS
	s_wait_loadcnt 0x0
	global_inv scope:SCOPE_SYS
	v_cmp_eq_u32_e32 vcc_lo, 0, v1
	v_mov_b32_e32 v1, 0
	s_or_not1_b32 s7, vcc_lo, exec_lo
.LBB0_1397:                             ;   in Loop: Header=BB0_1395 Depth=2
	s_wait_xcnt 0x0
	s_or_b32 exec_lo, exec_lo, s12
	s_and_saveexec_b32 s12, s7
	s_cbranch_execz .LBB0_1399
; %bb.1398:                             ;   in Loop: Header=BB0_1395 Depth=2
	s_wait_loadcnt 0x0
	v_cmp_eq_u32_e32 vcc_lo, s4, v7
	v_cmp_eq_u32_e64 s0, s4, v9
	s_and_b32 s0, vcc_lo, s0
	s_delay_alu instid0(SALU_CYCLE_1)
	s_or_not1_b32 s0, s0, exec_lo
.LBB0_1399:                             ;   in Loop: Header=BB0_1395 Depth=2
	s_or_b32 exec_lo, exec_lo, s12
	s_delay_alu instid0(SALU_CYCLE_1) | instskip(NEXT) | instid1(SALU_CYCLE_1)
	s_and_b32 s0, exec_lo, s0
	s_or_b32 s6, s0, s6
	s_delay_alu instid0(SALU_CYCLE_1)
	s_and_not1_b32 exec_lo, exec_lo, s6
	s_cbranch_execnz .LBB0_1395
; %bb.1400:                             ;   in Loop: Header=BB0_1395 Depth=2
	s_or_b32 exec_lo, exec_lo, s6
	s_wait_loadcnt 0x0
	v_dual_mov_b32 v7, v8 :: v_dual_mov_b32 v1, 0
	s_mov_b32 s6, 0
	s_delay_alu instid0(VALU_DEP_1) | instskip(SKIP_1) | instid1(SALU_CYCLE_1)
	v_cmp_eq_u64_e32 vcc_lo, s[4:5], v[6:7]
	s_or_b32 s1, vcc_lo, s1
	s_and_not1_b32 exec_lo, exec_lo, s1
	s_cbranch_execnz .LBB0_1395
; %bb.1401:                             ;   in Loop: Header=BB0_1 Depth=1
	s_or_b32 exec_lo, exec_lo, s1
	s_add_co_i32 s4, s2, 0xc8
	s_mov_b32 s1, s3
	s_bfe_u32 s0, s4, 0x100003
	v_dual_mov_b32 v2, s4 :: v_dual_mov_b32 v3, s4
	s_mulk_i32 s0, 0x20c5
	v_dual_mov_b32 v5, s4 :: v_dual_mov_b32 v1, 0
	s_lshr_b32 s0, s0, 20
	s_mov_b32 s5, s3
	s_mulk_i32 s0, 0x3e8
	s_delay_alu instid0(SALU_CYCLE_1) | instskip(NEXT) | instid1(SALU_CYCLE_1)
	s_sub_co_i32 s0, s4, s0
	s_and_b32 s0, s0, 0xffff
	s_delay_alu instid0(SALU_CYCLE_1) | instskip(NEXT) | instid1(SALU_CYCLE_1)
	s_lshl_b32 s0, s0, 12
	v_add_nc_u64_e32 v[6:7], s[0:1], v[10:11]
	v_add_nc_u64_e32 v[14:15], s[0:1], v[12:13]
	s_mov_b32 s1, 0
	global_store_b128 v[6:7], v[2:5], off th:TH_STORE_NT
.LBB0_1402:                             ;   Parent Loop BB0_1 Depth=1
                                        ; =>  This Inner Loop Header: Depth=2
	s_wait_loadcnt 0x0
	global_load_b128 v[6:9], v[14:15], off th:TH_LOAD_NT
	v_add_nc_u32_e32 v1, 1, v1
	s_mov_b32 s0, -1
	s_mov_b32 s7, -1
	s_mov_b32 s12, exec_lo
	s_wait_xcnt 0x0
	v_cmpx_eq_u32_e32 0xf4240, v1
	s_cbranch_execz .LBB0_1404
; %bb.1403:                             ;   in Loop: Header=BB0_1402 Depth=2
	s_wait_loadcnt 0x0
	s_wait_storecnt 0x0
	global_load_b32 v1, v4, s[10:11] scope:SCOPE_SYS
	s_wait_loadcnt 0x0
	global_inv scope:SCOPE_SYS
	v_cmp_eq_u32_e32 vcc_lo, 0, v1
	v_mov_b32_e32 v1, 0
	s_or_not1_b32 s7, vcc_lo, exec_lo
.LBB0_1404:                             ;   in Loop: Header=BB0_1402 Depth=2
	s_wait_xcnt 0x0
	s_or_b32 exec_lo, exec_lo, s12
	s_and_saveexec_b32 s12, s7
	s_cbranch_execz .LBB0_1406
; %bb.1405:                             ;   in Loop: Header=BB0_1402 Depth=2
	s_wait_loadcnt 0x0
	v_cmp_eq_u32_e32 vcc_lo, s4, v7
	v_cmp_eq_u32_e64 s0, s4, v9
	s_and_b32 s0, vcc_lo, s0
	s_delay_alu instid0(SALU_CYCLE_1)
	s_or_not1_b32 s0, s0, exec_lo
.LBB0_1406:                             ;   in Loop: Header=BB0_1402 Depth=2
	s_or_b32 exec_lo, exec_lo, s12
	s_delay_alu instid0(SALU_CYCLE_1) | instskip(NEXT) | instid1(SALU_CYCLE_1)
	s_and_b32 s0, exec_lo, s0
	s_or_b32 s6, s0, s6
	s_delay_alu instid0(SALU_CYCLE_1)
	s_and_not1_b32 exec_lo, exec_lo, s6
	s_cbranch_execnz .LBB0_1402
; %bb.1407:                             ;   in Loop: Header=BB0_1402 Depth=2
	s_or_b32 exec_lo, exec_lo, s6
	s_wait_loadcnt 0x0
	v_dual_mov_b32 v7, v8 :: v_dual_mov_b32 v1, 0
	s_mov_b32 s6, 0
	s_delay_alu instid0(VALU_DEP_1) | instskip(SKIP_1) | instid1(SALU_CYCLE_1)
	v_cmp_eq_u64_e32 vcc_lo, s[4:5], v[6:7]
	s_or_b32 s1, vcc_lo, s1
	s_and_not1_b32 exec_lo, exec_lo, s1
	s_cbranch_execnz .LBB0_1402
; %bb.1408:                             ;   in Loop: Header=BB0_1 Depth=1
	s_or_b32 exec_lo, exec_lo, s1
	s_add_co_i32 s4, s2, 0xc9
	s_mov_b32 s1, s3
	s_bfe_u32 s0, s4, 0x100003
	v_dual_mov_b32 v2, s4 :: v_dual_mov_b32 v3, s4
	s_mulk_i32 s0, 0x20c5
	v_dual_mov_b32 v5, s4 :: v_dual_mov_b32 v1, 0
	s_lshr_b32 s0, s0, 20
	s_mov_b32 s5, s3
	s_mulk_i32 s0, 0x3e8
	s_delay_alu instid0(SALU_CYCLE_1) | instskip(NEXT) | instid1(SALU_CYCLE_1)
	s_sub_co_i32 s0, s4, s0
	s_and_b32 s0, s0, 0xffff
	s_delay_alu instid0(SALU_CYCLE_1) | instskip(NEXT) | instid1(SALU_CYCLE_1)
	s_lshl_b32 s0, s0, 12
	v_add_nc_u64_e32 v[6:7], s[0:1], v[10:11]
	v_add_nc_u64_e32 v[14:15], s[0:1], v[12:13]
	s_mov_b32 s1, 0
	global_store_b128 v[6:7], v[2:5], off th:TH_STORE_NT
.LBB0_1409:                             ;   Parent Loop BB0_1 Depth=1
                                        ; =>  This Inner Loop Header: Depth=2
	s_wait_loadcnt 0x0
	global_load_b128 v[6:9], v[14:15], off th:TH_LOAD_NT
	v_add_nc_u32_e32 v1, 1, v1
	s_mov_b32 s0, -1
	s_mov_b32 s7, -1
	s_mov_b32 s12, exec_lo
	s_wait_xcnt 0x0
	v_cmpx_eq_u32_e32 0xf4240, v1
	s_cbranch_execz .LBB0_1411
; %bb.1410:                             ;   in Loop: Header=BB0_1409 Depth=2
	s_wait_loadcnt 0x0
	s_wait_storecnt 0x0
	global_load_b32 v1, v4, s[10:11] scope:SCOPE_SYS
	s_wait_loadcnt 0x0
	global_inv scope:SCOPE_SYS
	v_cmp_eq_u32_e32 vcc_lo, 0, v1
	v_mov_b32_e32 v1, 0
	s_or_not1_b32 s7, vcc_lo, exec_lo
.LBB0_1411:                             ;   in Loop: Header=BB0_1409 Depth=2
	s_wait_xcnt 0x0
	s_or_b32 exec_lo, exec_lo, s12
	s_and_saveexec_b32 s12, s7
	s_cbranch_execz .LBB0_1413
; %bb.1412:                             ;   in Loop: Header=BB0_1409 Depth=2
	s_wait_loadcnt 0x0
	v_cmp_eq_u32_e32 vcc_lo, s4, v7
	v_cmp_eq_u32_e64 s0, s4, v9
	s_and_b32 s0, vcc_lo, s0
	s_delay_alu instid0(SALU_CYCLE_1)
	s_or_not1_b32 s0, s0, exec_lo
.LBB0_1413:                             ;   in Loop: Header=BB0_1409 Depth=2
	s_or_b32 exec_lo, exec_lo, s12
	s_delay_alu instid0(SALU_CYCLE_1) | instskip(NEXT) | instid1(SALU_CYCLE_1)
	s_and_b32 s0, exec_lo, s0
	s_or_b32 s6, s0, s6
	s_delay_alu instid0(SALU_CYCLE_1)
	s_and_not1_b32 exec_lo, exec_lo, s6
	s_cbranch_execnz .LBB0_1409
; %bb.1414:                             ;   in Loop: Header=BB0_1409 Depth=2
	s_or_b32 exec_lo, exec_lo, s6
	s_wait_loadcnt 0x0
	v_dual_mov_b32 v7, v8 :: v_dual_mov_b32 v1, 0
	s_mov_b32 s6, 0
	s_delay_alu instid0(VALU_DEP_1) | instskip(SKIP_1) | instid1(SALU_CYCLE_1)
	v_cmp_eq_u64_e32 vcc_lo, s[4:5], v[6:7]
	s_or_b32 s1, vcc_lo, s1
	s_and_not1_b32 exec_lo, exec_lo, s1
	s_cbranch_execnz .LBB0_1409
; %bb.1415:                             ;   in Loop: Header=BB0_1 Depth=1
	s_or_b32 exec_lo, exec_lo, s1
	s_add_co_i32 s4, s2, 0xca
	s_mov_b32 s1, s3
	s_bfe_u32 s0, s4, 0x100003
	v_dual_mov_b32 v2, s4 :: v_dual_mov_b32 v3, s4
	s_mulk_i32 s0, 0x20c5
	v_dual_mov_b32 v5, s4 :: v_dual_mov_b32 v1, 0
	s_lshr_b32 s0, s0, 20
	s_mov_b32 s5, s3
	s_mulk_i32 s0, 0x3e8
	s_delay_alu instid0(SALU_CYCLE_1) | instskip(NEXT) | instid1(SALU_CYCLE_1)
	s_sub_co_i32 s0, s4, s0
	s_and_b32 s0, s0, 0xffff
	s_delay_alu instid0(SALU_CYCLE_1) | instskip(NEXT) | instid1(SALU_CYCLE_1)
	s_lshl_b32 s0, s0, 12
	v_add_nc_u64_e32 v[6:7], s[0:1], v[10:11]
	v_add_nc_u64_e32 v[14:15], s[0:1], v[12:13]
	s_mov_b32 s1, 0
	global_store_b128 v[6:7], v[2:5], off th:TH_STORE_NT
.LBB0_1416:                             ;   Parent Loop BB0_1 Depth=1
                                        ; =>  This Inner Loop Header: Depth=2
	s_wait_loadcnt 0x0
	global_load_b128 v[6:9], v[14:15], off th:TH_LOAD_NT
	v_add_nc_u32_e32 v1, 1, v1
	s_mov_b32 s0, -1
	s_mov_b32 s7, -1
	s_mov_b32 s12, exec_lo
	s_wait_xcnt 0x0
	v_cmpx_eq_u32_e32 0xf4240, v1
	s_cbranch_execz .LBB0_1418
; %bb.1417:                             ;   in Loop: Header=BB0_1416 Depth=2
	s_wait_loadcnt 0x0
	s_wait_storecnt 0x0
	global_load_b32 v1, v4, s[10:11] scope:SCOPE_SYS
	s_wait_loadcnt 0x0
	global_inv scope:SCOPE_SYS
	v_cmp_eq_u32_e32 vcc_lo, 0, v1
	v_mov_b32_e32 v1, 0
	s_or_not1_b32 s7, vcc_lo, exec_lo
.LBB0_1418:                             ;   in Loop: Header=BB0_1416 Depth=2
	s_wait_xcnt 0x0
	s_or_b32 exec_lo, exec_lo, s12
	s_and_saveexec_b32 s12, s7
	s_cbranch_execz .LBB0_1420
; %bb.1419:                             ;   in Loop: Header=BB0_1416 Depth=2
	s_wait_loadcnt 0x0
	v_cmp_eq_u32_e32 vcc_lo, s4, v7
	v_cmp_eq_u32_e64 s0, s4, v9
	s_and_b32 s0, vcc_lo, s0
	s_delay_alu instid0(SALU_CYCLE_1)
	s_or_not1_b32 s0, s0, exec_lo
.LBB0_1420:                             ;   in Loop: Header=BB0_1416 Depth=2
	s_or_b32 exec_lo, exec_lo, s12
	s_delay_alu instid0(SALU_CYCLE_1) | instskip(NEXT) | instid1(SALU_CYCLE_1)
	s_and_b32 s0, exec_lo, s0
	s_or_b32 s6, s0, s6
	s_delay_alu instid0(SALU_CYCLE_1)
	s_and_not1_b32 exec_lo, exec_lo, s6
	s_cbranch_execnz .LBB0_1416
; %bb.1421:                             ;   in Loop: Header=BB0_1416 Depth=2
	s_or_b32 exec_lo, exec_lo, s6
	s_wait_loadcnt 0x0
	v_dual_mov_b32 v7, v8 :: v_dual_mov_b32 v1, 0
	s_mov_b32 s6, 0
	s_delay_alu instid0(VALU_DEP_1) | instskip(SKIP_1) | instid1(SALU_CYCLE_1)
	v_cmp_eq_u64_e32 vcc_lo, s[4:5], v[6:7]
	s_or_b32 s1, vcc_lo, s1
	s_and_not1_b32 exec_lo, exec_lo, s1
	s_cbranch_execnz .LBB0_1416
; %bb.1422:                             ;   in Loop: Header=BB0_1 Depth=1
	s_or_b32 exec_lo, exec_lo, s1
	s_add_co_i32 s4, s2, 0xcb
	s_mov_b32 s1, s3
	s_bfe_u32 s0, s4, 0x100003
	v_dual_mov_b32 v2, s4 :: v_dual_mov_b32 v3, s4
	s_mulk_i32 s0, 0x20c5
	v_dual_mov_b32 v5, s4 :: v_dual_mov_b32 v1, 0
	s_lshr_b32 s0, s0, 20
	s_mov_b32 s5, s3
	s_mulk_i32 s0, 0x3e8
	s_delay_alu instid0(SALU_CYCLE_1) | instskip(NEXT) | instid1(SALU_CYCLE_1)
	s_sub_co_i32 s0, s4, s0
	s_and_b32 s0, s0, 0xffff
	s_delay_alu instid0(SALU_CYCLE_1) | instskip(NEXT) | instid1(SALU_CYCLE_1)
	s_lshl_b32 s0, s0, 12
	v_add_nc_u64_e32 v[6:7], s[0:1], v[10:11]
	v_add_nc_u64_e32 v[14:15], s[0:1], v[12:13]
	s_mov_b32 s1, 0
	global_store_b128 v[6:7], v[2:5], off th:TH_STORE_NT
.LBB0_1423:                             ;   Parent Loop BB0_1 Depth=1
                                        ; =>  This Inner Loop Header: Depth=2
	s_wait_loadcnt 0x0
	global_load_b128 v[6:9], v[14:15], off th:TH_LOAD_NT
	v_add_nc_u32_e32 v1, 1, v1
	s_mov_b32 s0, -1
	s_mov_b32 s7, -1
	s_mov_b32 s12, exec_lo
	s_wait_xcnt 0x0
	v_cmpx_eq_u32_e32 0xf4240, v1
	s_cbranch_execz .LBB0_1425
; %bb.1424:                             ;   in Loop: Header=BB0_1423 Depth=2
	s_wait_loadcnt 0x0
	s_wait_storecnt 0x0
	global_load_b32 v1, v4, s[10:11] scope:SCOPE_SYS
	s_wait_loadcnt 0x0
	global_inv scope:SCOPE_SYS
	v_cmp_eq_u32_e32 vcc_lo, 0, v1
	v_mov_b32_e32 v1, 0
	s_or_not1_b32 s7, vcc_lo, exec_lo
.LBB0_1425:                             ;   in Loop: Header=BB0_1423 Depth=2
	s_wait_xcnt 0x0
	s_or_b32 exec_lo, exec_lo, s12
	s_and_saveexec_b32 s12, s7
	s_cbranch_execz .LBB0_1427
; %bb.1426:                             ;   in Loop: Header=BB0_1423 Depth=2
	s_wait_loadcnt 0x0
	v_cmp_eq_u32_e32 vcc_lo, s4, v7
	v_cmp_eq_u32_e64 s0, s4, v9
	s_and_b32 s0, vcc_lo, s0
	s_delay_alu instid0(SALU_CYCLE_1)
	s_or_not1_b32 s0, s0, exec_lo
.LBB0_1427:                             ;   in Loop: Header=BB0_1423 Depth=2
	s_or_b32 exec_lo, exec_lo, s12
	s_delay_alu instid0(SALU_CYCLE_1) | instskip(NEXT) | instid1(SALU_CYCLE_1)
	s_and_b32 s0, exec_lo, s0
	s_or_b32 s6, s0, s6
	s_delay_alu instid0(SALU_CYCLE_1)
	s_and_not1_b32 exec_lo, exec_lo, s6
	s_cbranch_execnz .LBB0_1423
; %bb.1428:                             ;   in Loop: Header=BB0_1423 Depth=2
	s_or_b32 exec_lo, exec_lo, s6
	s_wait_loadcnt 0x0
	v_dual_mov_b32 v7, v8 :: v_dual_mov_b32 v1, 0
	s_mov_b32 s6, 0
	s_delay_alu instid0(VALU_DEP_1) | instskip(SKIP_1) | instid1(SALU_CYCLE_1)
	v_cmp_eq_u64_e32 vcc_lo, s[4:5], v[6:7]
	s_or_b32 s1, vcc_lo, s1
	s_and_not1_b32 exec_lo, exec_lo, s1
	s_cbranch_execnz .LBB0_1423
; %bb.1429:                             ;   in Loop: Header=BB0_1 Depth=1
	s_or_b32 exec_lo, exec_lo, s1
	s_add_co_i32 s4, s2, 0xcc
	s_mov_b32 s1, s3
	s_bfe_u32 s0, s4, 0x100003
	v_dual_mov_b32 v2, s4 :: v_dual_mov_b32 v3, s4
	s_mulk_i32 s0, 0x20c5
	v_dual_mov_b32 v5, s4 :: v_dual_mov_b32 v1, 0
	s_lshr_b32 s0, s0, 20
	s_mov_b32 s5, s3
	s_mulk_i32 s0, 0x3e8
	s_delay_alu instid0(SALU_CYCLE_1) | instskip(NEXT) | instid1(SALU_CYCLE_1)
	s_sub_co_i32 s0, s4, s0
	s_and_b32 s0, s0, 0xffff
	s_delay_alu instid0(SALU_CYCLE_1) | instskip(NEXT) | instid1(SALU_CYCLE_1)
	s_lshl_b32 s0, s0, 12
	v_add_nc_u64_e32 v[6:7], s[0:1], v[10:11]
	v_add_nc_u64_e32 v[14:15], s[0:1], v[12:13]
	s_mov_b32 s1, 0
	global_store_b128 v[6:7], v[2:5], off th:TH_STORE_NT
.LBB0_1430:                             ;   Parent Loop BB0_1 Depth=1
                                        ; =>  This Inner Loop Header: Depth=2
	s_wait_loadcnt 0x0
	global_load_b128 v[6:9], v[14:15], off th:TH_LOAD_NT
	v_add_nc_u32_e32 v1, 1, v1
	s_mov_b32 s0, -1
	s_mov_b32 s7, -1
	s_mov_b32 s12, exec_lo
	s_wait_xcnt 0x0
	v_cmpx_eq_u32_e32 0xf4240, v1
	s_cbranch_execz .LBB0_1432
; %bb.1431:                             ;   in Loop: Header=BB0_1430 Depth=2
	s_wait_loadcnt 0x0
	s_wait_storecnt 0x0
	global_load_b32 v1, v4, s[10:11] scope:SCOPE_SYS
	s_wait_loadcnt 0x0
	global_inv scope:SCOPE_SYS
	v_cmp_eq_u32_e32 vcc_lo, 0, v1
	v_mov_b32_e32 v1, 0
	s_or_not1_b32 s7, vcc_lo, exec_lo
.LBB0_1432:                             ;   in Loop: Header=BB0_1430 Depth=2
	s_wait_xcnt 0x0
	s_or_b32 exec_lo, exec_lo, s12
	s_and_saveexec_b32 s12, s7
	s_cbranch_execz .LBB0_1434
; %bb.1433:                             ;   in Loop: Header=BB0_1430 Depth=2
	s_wait_loadcnt 0x0
	v_cmp_eq_u32_e32 vcc_lo, s4, v7
	v_cmp_eq_u32_e64 s0, s4, v9
	s_and_b32 s0, vcc_lo, s0
	s_delay_alu instid0(SALU_CYCLE_1)
	s_or_not1_b32 s0, s0, exec_lo
.LBB0_1434:                             ;   in Loop: Header=BB0_1430 Depth=2
	s_or_b32 exec_lo, exec_lo, s12
	s_delay_alu instid0(SALU_CYCLE_1) | instskip(NEXT) | instid1(SALU_CYCLE_1)
	s_and_b32 s0, exec_lo, s0
	s_or_b32 s6, s0, s6
	s_delay_alu instid0(SALU_CYCLE_1)
	s_and_not1_b32 exec_lo, exec_lo, s6
	s_cbranch_execnz .LBB0_1430
; %bb.1435:                             ;   in Loop: Header=BB0_1430 Depth=2
	s_or_b32 exec_lo, exec_lo, s6
	s_wait_loadcnt 0x0
	v_dual_mov_b32 v7, v8 :: v_dual_mov_b32 v1, 0
	s_mov_b32 s6, 0
	s_delay_alu instid0(VALU_DEP_1) | instskip(SKIP_1) | instid1(SALU_CYCLE_1)
	v_cmp_eq_u64_e32 vcc_lo, s[4:5], v[6:7]
	s_or_b32 s1, vcc_lo, s1
	s_and_not1_b32 exec_lo, exec_lo, s1
	s_cbranch_execnz .LBB0_1430
; %bb.1436:                             ;   in Loop: Header=BB0_1 Depth=1
	s_or_b32 exec_lo, exec_lo, s1
	s_add_co_i32 s4, s2, 0xcd
	s_mov_b32 s1, s3
	s_bfe_u32 s0, s4, 0x100003
	v_dual_mov_b32 v2, s4 :: v_dual_mov_b32 v3, s4
	s_mulk_i32 s0, 0x20c5
	v_dual_mov_b32 v5, s4 :: v_dual_mov_b32 v1, 0
	s_lshr_b32 s0, s0, 20
	s_mov_b32 s5, s3
	s_mulk_i32 s0, 0x3e8
	s_delay_alu instid0(SALU_CYCLE_1) | instskip(NEXT) | instid1(SALU_CYCLE_1)
	s_sub_co_i32 s0, s4, s0
	s_and_b32 s0, s0, 0xffff
	s_delay_alu instid0(SALU_CYCLE_1) | instskip(NEXT) | instid1(SALU_CYCLE_1)
	s_lshl_b32 s0, s0, 12
	v_add_nc_u64_e32 v[6:7], s[0:1], v[10:11]
	v_add_nc_u64_e32 v[14:15], s[0:1], v[12:13]
	s_mov_b32 s1, 0
	global_store_b128 v[6:7], v[2:5], off th:TH_STORE_NT
.LBB0_1437:                             ;   Parent Loop BB0_1 Depth=1
                                        ; =>  This Inner Loop Header: Depth=2
	s_wait_loadcnt 0x0
	global_load_b128 v[6:9], v[14:15], off th:TH_LOAD_NT
	v_add_nc_u32_e32 v1, 1, v1
	s_mov_b32 s0, -1
	s_mov_b32 s7, -1
	s_mov_b32 s12, exec_lo
	s_wait_xcnt 0x0
	v_cmpx_eq_u32_e32 0xf4240, v1
	s_cbranch_execz .LBB0_1439
; %bb.1438:                             ;   in Loop: Header=BB0_1437 Depth=2
	s_wait_loadcnt 0x0
	s_wait_storecnt 0x0
	global_load_b32 v1, v4, s[10:11] scope:SCOPE_SYS
	s_wait_loadcnt 0x0
	global_inv scope:SCOPE_SYS
	v_cmp_eq_u32_e32 vcc_lo, 0, v1
	v_mov_b32_e32 v1, 0
	s_or_not1_b32 s7, vcc_lo, exec_lo
.LBB0_1439:                             ;   in Loop: Header=BB0_1437 Depth=2
	s_wait_xcnt 0x0
	s_or_b32 exec_lo, exec_lo, s12
	s_and_saveexec_b32 s12, s7
	s_cbranch_execz .LBB0_1441
; %bb.1440:                             ;   in Loop: Header=BB0_1437 Depth=2
	s_wait_loadcnt 0x0
	v_cmp_eq_u32_e32 vcc_lo, s4, v7
	v_cmp_eq_u32_e64 s0, s4, v9
	s_and_b32 s0, vcc_lo, s0
	s_delay_alu instid0(SALU_CYCLE_1)
	s_or_not1_b32 s0, s0, exec_lo
.LBB0_1441:                             ;   in Loop: Header=BB0_1437 Depth=2
	s_or_b32 exec_lo, exec_lo, s12
	s_delay_alu instid0(SALU_CYCLE_1) | instskip(NEXT) | instid1(SALU_CYCLE_1)
	s_and_b32 s0, exec_lo, s0
	s_or_b32 s6, s0, s6
	s_delay_alu instid0(SALU_CYCLE_1)
	s_and_not1_b32 exec_lo, exec_lo, s6
	s_cbranch_execnz .LBB0_1437
; %bb.1442:                             ;   in Loop: Header=BB0_1437 Depth=2
	s_or_b32 exec_lo, exec_lo, s6
	s_wait_loadcnt 0x0
	v_dual_mov_b32 v7, v8 :: v_dual_mov_b32 v1, 0
	s_mov_b32 s6, 0
	s_delay_alu instid0(VALU_DEP_1) | instskip(SKIP_1) | instid1(SALU_CYCLE_1)
	v_cmp_eq_u64_e32 vcc_lo, s[4:5], v[6:7]
	s_or_b32 s1, vcc_lo, s1
	s_and_not1_b32 exec_lo, exec_lo, s1
	s_cbranch_execnz .LBB0_1437
; %bb.1443:                             ;   in Loop: Header=BB0_1 Depth=1
	s_or_b32 exec_lo, exec_lo, s1
	s_add_co_i32 s4, s2, 0xce
	s_mov_b32 s1, s3
	s_bfe_u32 s0, s4, 0x100003
	v_dual_mov_b32 v2, s4 :: v_dual_mov_b32 v3, s4
	s_mulk_i32 s0, 0x20c5
	v_dual_mov_b32 v5, s4 :: v_dual_mov_b32 v1, 0
	s_lshr_b32 s0, s0, 20
	s_mov_b32 s5, s3
	s_mulk_i32 s0, 0x3e8
	s_delay_alu instid0(SALU_CYCLE_1) | instskip(NEXT) | instid1(SALU_CYCLE_1)
	s_sub_co_i32 s0, s4, s0
	s_and_b32 s0, s0, 0xffff
	s_delay_alu instid0(SALU_CYCLE_1) | instskip(NEXT) | instid1(SALU_CYCLE_1)
	s_lshl_b32 s0, s0, 12
	v_add_nc_u64_e32 v[6:7], s[0:1], v[10:11]
	v_add_nc_u64_e32 v[14:15], s[0:1], v[12:13]
	s_mov_b32 s1, 0
	global_store_b128 v[6:7], v[2:5], off th:TH_STORE_NT
.LBB0_1444:                             ;   Parent Loop BB0_1 Depth=1
                                        ; =>  This Inner Loop Header: Depth=2
	s_wait_loadcnt 0x0
	global_load_b128 v[6:9], v[14:15], off th:TH_LOAD_NT
	v_add_nc_u32_e32 v1, 1, v1
	s_mov_b32 s0, -1
	s_mov_b32 s7, -1
	s_mov_b32 s12, exec_lo
	s_wait_xcnt 0x0
	v_cmpx_eq_u32_e32 0xf4240, v1
	s_cbranch_execz .LBB0_1446
; %bb.1445:                             ;   in Loop: Header=BB0_1444 Depth=2
	s_wait_loadcnt 0x0
	s_wait_storecnt 0x0
	global_load_b32 v1, v4, s[10:11] scope:SCOPE_SYS
	s_wait_loadcnt 0x0
	global_inv scope:SCOPE_SYS
	v_cmp_eq_u32_e32 vcc_lo, 0, v1
	v_mov_b32_e32 v1, 0
	s_or_not1_b32 s7, vcc_lo, exec_lo
.LBB0_1446:                             ;   in Loop: Header=BB0_1444 Depth=2
	s_wait_xcnt 0x0
	s_or_b32 exec_lo, exec_lo, s12
	s_and_saveexec_b32 s12, s7
	s_cbranch_execz .LBB0_1448
; %bb.1447:                             ;   in Loop: Header=BB0_1444 Depth=2
	s_wait_loadcnt 0x0
	v_cmp_eq_u32_e32 vcc_lo, s4, v7
	v_cmp_eq_u32_e64 s0, s4, v9
	s_and_b32 s0, vcc_lo, s0
	s_delay_alu instid0(SALU_CYCLE_1)
	s_or_not1_b32 s0, s0, exec_lo
.LBB0_1448:                             ;   in Loop: Header=BB0_1444 Depth=2
	s_or_b32 exec_lo, exec_lo, s12
	s_delay_alu instid0(SALU_CYCLE_1) | instskip(NEXT) | instid1(SALU_CYCLE_1)
	s_and_b32 s0, exec_lo, s0
	s_or_b32 s6, s0, s6
	s_delay_alu instid0(SALU_CYCLE_1)
	s_and_not1_b32 exec_lo, exec_lo, s6
	s_cbranch_execnz .LBB0_1444
; %bb.1449:                             ;   in Loop: Header=BB0_1444 Depth=2
	s_or_b32 exec_lo, exec_lo, s6
	s_wait_loadcnt 0x0
	v_dual_mov_b32 v7, v8 :: v_dual_mov_b32 v1, 0
	s_mov_b32 s6, 0
	s_delay_alu instid0(VALU_DEP_1) | instskip(SKIP_1) | instid1(SALU_CYCLE_1)
	v_cmp_eq_u64_e32 vcc_lo, s[4:5], v[6:7]
	s_or_b32 s1, vcc_lo, s1
	s_and_not1_b32 exec_lo, exec_lo, s1
	s_cbranch_execnz .LBB0_1444
; %bb.1450:                             ;   in Loop: Header=BB0_1 Depth=1
	s_or_b32 exec_lo, exec_lo, s1
	s_add_co_i32 s4, s2, 0xcf
	s_mov_b32 s1, s3
	s_bfe_u32 s0, s4, 0x100003
	v_dual_mov_b32 v2, s4 :: v_dual_mov_b32 v3, s4
	s_mulk_i32 s0, 0x20c5
	v_dual_mov_b32 v5, s4 :: v_dual_mov_b32 v1, 0
	s_lshr_b32 s0, s0, 20
	s_mov_b32 s5, s3
	s_mulk_i32 s0, 0x3e8
	s_delay_alu instid0(SALU_CYCLE_1) | instskip(NEXT) | instid1(SALU_CYCLE_1)
	s_sub_co_i32 s0, s4, s0
	s_and_b32 s0, s0, 0xffff
	s_delay_alu instid0(SALU_CYCLE_1) | instskip(NEXT) | instid1(SALU_CYCLE_1)
	s_lshl_b32 s0, s0, 12
	v_add_nc_u64_e32 v[6:7], s[0:1], v[10:11]
	v_add_nc_u64_e32 v[14:15], s[0:1], v[12:13]
	s_mov_b32 s1, 0
	global_store_b128 v[6:7], v[2:5], off th:TH_STORE_NT
.LBB0_1451:                             ;   Parent Loop BB0_1 Depth=1
                                        ; =>  This Inner Loop Header: Depth=2
	s_wait_loadcnt 0x0
	global_load_b128 v[6:9], v[14:15], off th:TH_LOAD_NT
	v_add_nc_u32_e32 v1, 1, v1
	s_mov_b32 s0, -1
	s_mov_b32 s7, -1
	s_mov_b32 s12, exec_lo
	s_wait_xcnt 0x0
	v_cmpx_eq_u32_e32 0xf4240, v1
	s_cbranch_execz .LBB0_1453
; %bb.1452:                             ;   in Loop: Header=BB0_1451 Depth=2
	s_wait_loadcnt 0x0
	s_wait_storecnt 0x0
	global_load_b32 v1, v4, s[10:11] scope:SCOPE_SYS
	s_wait_loadcnt 0x0
	global_inv scope:SCOPE_SYS
	v_cmp_eq_u32_e32 vcc_lo, 0, v1
	v_mov_b32_e32 v1, 0
	s_or_not1_b32 s7, vcc_lo, exec_lo
.LBB0_1453:                             ;   in Loop: Header=BB0_1451 Depth=2
	s_wait_xcnt 0x0
	s_or_b32 exec_lo, exec_lo, s12
	s_and_saveexec_b32 s12, s7
	s_cbranch_execz .LBB0_1455
; %bb.1454:                             ;   in Loop: Header=BB0_1451 Depth=2
	s_wait_loadcnt 0x0
	v_cmp_eq_u32_e32 vcc_lo, s4, v7
	v_cmp_eq_u32_e64 s0, s4, v9
	s_and_b32 s0, vcc_lo, s0
	s_delay_alu instid0(SALU_CYCLE_1)
	s_or_not1_b32 s0, s0, exec_lo
.LBB0_1455:                             ;   in Loop: Header=BB0_1451 Depth=2
	s_or_b32 exec_lo, exec_lo, s12
	s_delay_alu instid0(SALU_CYCLE_1) | instskip(NEXT) | instid1(SALU_CYCLE_1)
	s_and_b32 s0, exec_lo, s0
	s_or_b32 s6, s0, s6
	s_delay_alu instid0(SALU_CYCLE_1)
	s_and_not1_b32 exec_lo, exec_lo, s6
	s_cbranch_execnz .LBB0_1451
; %bb.1456:                             ;   in Loop: Header=BB0_1451 Depth=2
	s_or_b32 exec_lo, exec_lo, s6
	s_wait_loadcnt 0x0
	v_dual_mov_b32 v7, v8 :: v_dual_mov_b32 v1, 0
	s_mov_b32 s6, 0
	s_delay_alu instid0(VALU_DEP_1) | instskip(SKIP_1) | instid1(SALU_CYCLE_1)
	v_cmp_eq_u64_e32 vcc_lo, s[4:5], v[6:7]
	s_or_b32 s1, vcc_lo, s1
	s_and_not1_b32 exec_lo, exec_lo, s1
	s_cbranch_execnz .LBB0_1451
; %bb.1457:                             ;   in Loop: Header=BB0_1 Depth=1
	s_or_b32 exec_lo, exec_lo, s1
	s_add_co_i32 s4, s2, 0xd0
	s_mov_b32 s1, s3
	s_bfe_u32 s0, s4, 0x100003
	v_dual_mov_b32 v2, s4 :: v_dual_mov_b32 v3, s4
	s_mulk_i32 s0, 0x20c5
	v_dual_mov_b32 v5, s4 :: v_dual_mov_b32 v1, 0
	s_lshr_b32 s0, s0, 20
	s_mov_b32 s5, s3
	s_mulk_i32 s0, 0x3e8
	s_delay_alu instid0(SALU_CYCLE_1) | instskip(NEXT) | instid1(SALU_CYCLE_1)
	s_sub_co_i32 s0, s4, s0
	s_and_b32 s0, s0, 0xffff
	s_delay_alu instid0(SALU_CYCLE_1) | instskip(NEXT) | instid1(SALU_CYCLE_1)
	s_lshl_b32 s0, s0, 12
	v_add_nc_u64_e32 v[6:7], s[0:1], v[10:11]
	v_add_nc_u64_e32 v[14:15], s[0:1], v[12:13]
	s_mov_b32 s1, 0
	global_store_b128 v[6:7], v[2:5], off th:TH_STORE_NT
.LBB0_1458:                             ;   Parent Loop BB0_1 Depth=1
                                        ; =>  This Inner Loop Header: Depth=2
	s_wait_loadcnt 0x0
	global_load_b128 v[6:9], v[14:15], off th:TH_LOAD_NT
	v_add_nc_u32_e32 v1, 1, v1
	s_mov_b32 s0, -1
	s_mov_b32 s7, -1
	s_mov_b32 s12, exec_lo
	s_wait_xcnt 0x0
	v_cmpx_eq_u32_e32 0xf4240, v1
	s_cbranch_execz .LBB0_1460
; %bb.1459:                             ;   in Loop: Header=BB0_1458 Depth=2
	s_wait_loadcnt 0x0
	s_wait_storecnt 0x0
	global_load_b32 v1, v4, s[10:11] scope:SCOPE_SYS
	s_wait_loadcnt 0x0
	global_inv scope:SCOPE_SYS
	v_cmp_eq_u32_e32 vcc_lo, 0, v1
	v_mov_b32_e32 v1, 0
	s_or_not1_b32 s7, vcc_lo, exec_lo
.LBB0_1460:                             ;   in Loop: Header=BB0_1458 Depth=2
	s_wait_xcnt 0x0
	s_or_b32 exec_lo, exec_lo, s12
	s_and_saveexec_b32 s12, s7
	s_cbranch_execz .LBB0_1462
; %bb.1461:                             ;   in Loop: Header=BB0_1458 Depth=2
	s_wait_loadcnt 0x0
	v_cmp_eq_u32_e32 vcc_lo, s4, v7
	v_cmp_eq_u32_e64 s0, s4, v9
	s_and_b32 s0, vcc_lo, s0
	s_delay_alu instid0(SALU_CYCLE_1)
	s_or_not1_b32 s0, s0, exec_lo
.LBB0_1462:                             ;   in Loop: Header=BB0_1458 Depth=2
	s_or_b32 exec_lo, exec_lo, s12
	s_delay_alu instid0(SALU_CYCLE_1) | instskip(NEXT) | instid1(SALU_CYCLE_1)
	s_and_b32 s0, exec_lo, s0
	s_or_b32 s6, s0, s6
	s_delay_alu instid0(SALU_CYCLE_1)
	s_and_not1_b32 exec_lo, exec_lo, s6
	s_cbranch_execnz .LBB0_1458
; %bb.1463:                             ;   in Loop: Header=BB0_1458 Depth=2
	s_or_b32 exec_lo, exec_lo, s6
	s_wait_loadcnt 0x0
	v_dual_mov_b32 v7, v8 :: v_dual_mov_b32 v1, 0
	s_mov_b32 s6, 0
	s_delay_alu instid0(VALU_DEP_1) | instskip(SKIP_1) | instid1(SALU_CYCLE_1)
	v_cmp_eq_u64_e32 vcc_lo, s[4:5], v[6:7]
	s_or_b32 s1, vcc_lo, s1
	s_and_not1_b32 exec_lo, exec_lo, s1
	s_cbranch_execnz .LBB0_1458
; %bb.1464:                             ;   in Loop: Header=BB0_1 Depth=1
	s_or_b32 exec_lo, exec_lo, s1
	s_add_co_i32 s4, s2, 0xd1
	s_mov_b32 s1, s3
	s_bfe_u32 s0, s4, 0x100003
	v_dual_mov_b32 v2, s4 :: v_dual_mov_b32 v3, s4
	s_mulk_i32 s0, 0x20c5
	v_dual_mov_b32 v5, s4 :: v_dual_mov_b32 v1, 0
	s_lshr_b32 s0, s0, 20
	s_mov_b32 s5, s3
	s_mulk_i32 s0, 0x3e8
	s_delay_alu instid0(SALU_CYCLE_1) | instskip(NEXT) | instid1(SALU_CYCLE_1)
	s_sub_co_i32 s0, s4, s0
	s_and_b32 s0, s0, 0xffff
	s_delay_alu instid0(SALU_CYCLE_1) | instskip(NEXT) | instid1(SALU_CYCLE_1)
	s_lshl_b32 s0, s0, 12
	v_add_nc_u64_e32 v[6:7], s[0:1], v[10:11]
	v_add_nc_u64_e32 v[14:15], s[0:1], v[12:13]
	s_mov_b32 s1, 0
	global_store_b128 v[6:7], v[2:5], off th:TH_STORE_NT
.LBB0_1465:                             ;   Parent Loop BB0_1 Depth=1
                                        ; =>  This Inner Loop Header: Depth=2
	s_wait_loadcnt 0x0
	global_load_b128 v[6:9], v[14:15], off th:TH_LOAD_NT
	v_add_nc_u32_e32 v1, 1, v1
	s_mov_b32 s0, -1
	s_mov_b32 s7, -1
	s_mov_b32 s12, exec_lo
	s_wait_xcnt 0x0
	v_cmpx_eq_u32_e32 0xf4240, v1
	s_cbranch_execz .LBB0_1467
; %bb.1466:                             ;   in Loop: Header=BB0_1465 Depth=2
	s_wait_loadcnt 0x0
	s_wait_storecnt 0x0
	global_load_b32 v1, v4, s[10:11] scope:SCOPE_SYS
	s_wait_loadcnt 0x0
	global_inv scope:SCOPE_SYS
	v_cmp_eq_u32_e32 vcc_lo, 0, v1
	v_mov_b32_e32 v1, 0
	s_or_not1_b32 s7, vcc_lo, exec_lo
.LBB0_1467:                             ;   in Loop: Header=BB0_1465 Depth=2
	s_wait_xcnt 0x0
	s_or_b32 exec_lo, exec_lo, s12
	s_and_saveexec_b32 s12, s7
	s_cbranch_execz .LBB0_1469
; %bb.1468:                             ;   in Loop: Header=BB0_1465 Depth=2
	s_wait_loadcnt 0x0
	v_cmp_eq_u32_e32 vcc_lo, s4, v7
	v_cmp_eq_u32_e64 s0, s4, v9
	s_and_b32 s0, vcc_lo, s0
	s_delay_alu instid0(SALU_CYCLE_1)
	s_or_not1_b32 s0, s0, exec_lo
.LBB0_1469:                             ;   in Loop: Header=BB0_1465 Depth=2
	s_or_b32 exec_lo, exec_lo, s12
	s_delay_alu instid0(SALU_CYCLE_1) | instskip(NEXT) | instid1(SALU_CYCLE_1)
	s_and_b32 s0, exec_lo, s0
	s_or_b32 s6, s0, s6
	s_delay_alu instid0(SALU_CYCLE_1)
	s_and_not1_b32 exec_lo, exec_lo, s6
	s_cbranch_execnz .LBB0_1465
; %bb.1470:                             ;   in Loop: Header=BB0_1465 Depth=2
	s_or_b32 exec_lo, exec_lo, s6
	s_wait_loadcnt 0x0
	v_dual_mov_b32 v7, v8 :: v_dual_mov_b32 v1, 0
	s_mov_b32 s6, 0
	s_delay_alu instid0(VALU_DEP_1) | instskip(SKIP_1) | instid1(SALU_CYCLE_1)
	v_cmp_eq_u64_e32 vcc_lo, s[4:5], v[6:7]
	s_or_b32 s1, vcc_lo, s1
	s_and_not1_b32 exec_lo, exec_lo, s1
	s_cbranch_execnz .LBB0_1465
; %bb.1471:                             ;   in Loop: Header=BB0_1 Depth=1
	s_or_b32 exec_lo, exec_lo, s1
	s_add_co_i32 s4, s2, 0xd2
	s_mov_b32 s1, s3
	s_bfe_u32 s0, s4, 0x100003
	v_dual_mov_b32 v2, s4 :: v_dual_mov_b32 v3, s4
	s_mulk_i32 s0, 0x20c5
	v_dual_mov_b32 v5, s4 :: v_dual_mov_b32 v1, 0
	s_lshr_b32 s0, s0, 20
	s_mov_b32 s5, s3
	s_mulk_i32 s0, 0x3e8
	s_delay_alu instid0(SALU_CYCLE_1) | instskip(NEXT) | instid1(SALU_CYCLE_1)
	s_sub_co_i32 s0, s4, s0
	s_and_b32 s0, s0, 0xffff
	s_delay_alu instid0(SALU_CYCLE_1) | instskip(NEXT) | instid1(SALU_CYCLE_1)
	s_lshl_b32 s0, s0, 12
	v_add_nc_u64_e32 v[6:7], s[0:1], v[10:11]
	v_add_nc_u64_e32 v[14:15], s[0:1], v[12:13]
	s_mov_b32 s1, 0
	global_store_b128 v[6:7], v[2:5], off th:TH_STORE_NT
.LBB0_1472:                             ;   Parent Loop BB0_1 Depth=1
                                        ; =>  This Inner Loop Header: Depth=2
	s_wait_loadcnt 0x0
	global_load_b128 v[6:9], v[14:15], off th:TH_LOAD_NT
	v_add_nc_u32_e32 v1, 1, v1
	s_mov_b32 s0, -1
	s_mov_b32 s7, -1
	s_mov_b32 s12, exec_lo
	s_wait_xcnt 0x0
	v_cmpx_eq_u32_e32 0xf4240, v1
	s_cbranch_execz .LBB0_1474
; %bb.1473:                             ;   in Loop: Header=BB0_1472 Depth=2
	s_wait_loadcnt 0x0
	s_wait_storecnt 0x0
	global_load_b32 v1, v4, s[10:11] scope:SCOPE_SYS
	s_wait_loadcnt 0x0
	global_inv scope:SCOPE_SYS
	v_cmp_eq_u32_e32 vcc_lo, 0, v1
	v_mov_b32_e32 v1, 0
	s_or_not1_b32 s7, vcc_lo, exec_lo
.LBB0_1474:                             ;   in Loop: Header=BB0_1472 Depth=2
	s_wait_xcnt 0x0
	s_or_b32 exec_lo, exec_lo, s12
	s_and_saveexec_b32 s12, s7
	s_cbranch_execz .LBB0_1476
; %bb.1475:                             ;   in Loop: Header=BB0_1472 Depth=2
	s_wait_loadcnt 0x0
	v_cmp_eq_u32_e32 vcc_lo, s4, v7
	v_cmp_eq_u32_e64 s0, s4, v9
	s_and_b32 s0, vcc_lo, s0
	s_delay_alu instid0(SALU_CYCLE_1)
	s_or_not1_b32 s0, s0, exec_lo
.LBB0_1476:                             ;   in Loop: Header=BB0_1472 Depth=2
	s_or_b32 exec_lo, exec_lo, s12
	s_delay_alu instid0(SALU_CYCLE_1) | instskip(NEXT) | instid1(SALU_CYCLE_1)
	s_and_b32 s0, exec_lo, s0
	s_or_b32 s6, s0, s6
	s_delay_alu instid0(SALU_CYCLE_1)
	s_and_not1_b32 exec_lo, exec_lo, s6
	s_cbranch_execnz .LBB0_1472
; %bb.1477:                             ;   in Loop: Header=BB0_1472 Depth=2
	s_or_b32 exec_lo, exec_lo, s6
	s_wait_loadcnt 0x0
	v_dual_mov_b32 v7, v8 :: v_dual_mov_b32 v1, 0
	s_mov_b32 s6, 0
	s_delay_alu instid0(VALU_DEP_1) | instskip(SKIP_1) | instid1(SALU_CYCLE_1)
	v_cmp_eq_u64_e32 vcc_lo, s[4:5], v[6:7]
	s_or_b32 s1, vcc_lo, s1
	s_and_not1_b32 exec_lo, exec_lo, s1
	s_cbranch_execnz .LBB0_1472
; %bb.1478:                             ;   in Loop: Header=BB0_1 Depth=1
	s_or_b32 exec_lo, exec_lo, s1
	s_add_co_i32 s4, s2, 0xd3
	s_mov_b32 s1, s3
	s_bfe_u32 s0, s4, 0x100003
	v_dual_mov_b32 v2, s4 :: v_dual_mov_b32 v3, s4
	s_mulk_i32 s0, 0x20c5
	v_dual_mov_b32 v5, s4 :: v_dual_mov_b32 v1, 0
	s_lshr_b32 s0, s0, 20
	s_mov_b32 s5, s3
	s_mulk_i32 s0, 0x3e8
	s_delay_alu instid0(SALU_CYCLE_1) | instskip(NEXT) | instid1(SALU_CYCLE_1)
	s_sub_co_i32 s0, s4, s0
	s_and_b32 s0, s0, 0xffff
	s_delay_alu instid0(SALU_CYCLE_1) | instskip(NEXT) | instid1(SALU_CYCLE_1)
	s_lshl_b32 s0, s0, 12
	v_add_nc_u64_e32 v[6:7], s[0:1], v[10:11]
	v_add_nc_u64_e32 v[14:15], s[0:1], v[12:13]
	s_mov_b32 s1, 0
	global_store_b128 v[6:7], v[2:5], off th:TH_STORE_NT
.LBB0_1479:                             ;   Parent Loop BB0_1 Depth=1
                                        ; =>  This Inner Loop Header: Depth=2
	s_wait_loadcnt 0x0
	global_load_b128 v[6:9], v[14:15], off th:TH_LOAD_NT
	v_add_nc_u32_e32 v1, 1, v1
	s_mov_b32 s0, -1
	s_mov_b32 s7, -1
	s_mov_b32 s12, exec_lo
	s_wait_xcnt 0x0
	v_cmpx_eq_u32_e32 0xf4240, v1
	s_cbranch_execz .LBB0_1481
; %bb.1480:                             ;   in Loop: Header=BB0_1479 Depth=2
	s_wait_loadcnt 0x0
	s_wait_storecnt 0x0
	global_load_b32 v1, v4, s[10:11] scope:SCOPE_SYS
	s_wait_loadcnt 0x0
	global_inv scope:SCOPE_SYS
	v_cmp_eq_u32_e32 vcc_lo, 0, v1
	v_mov_b32_e32 v1, 0
	s_or_not1_b32 s7, vcc_lo, exec_lo
.LBB0_1481:                             ;   in Loop: Header=BB0_1479 Depth=2
	s_wait_xcnt 0x0
	s_or_b32 exec_lo, exec_lo, s12
	s_and_saveexec_b32 s12, s7
	s_cbranch_execz .LBB0_1483
; %bb.1482:                             ;   in Loop: Header=BB0_1479 Depth=2
	s_wait_loadcnt 0x0
	v_cmp_eq_u32_e32 vcc_lo, s4, v7
	v_cmp_eq_u32_e64 s0, s4, v9
	s_and_b32 s0, vcc_lo, s0
	s_delay_alu instid0(SALU_CYCLE_1)
	s_or_not1_b32 s0, s0, exec_lo
.LBB0_1483:                             ;   in Loop: Header=BB0_1479 Depth=2
	s_or_b32 exec_lo, exec_lo, s12
	s_delay_alu instid0(SALU_CYCLE_1) | instskip(NEXT) | instid1(SALU_CYCLE_1)
	s_and_b32 s0, exec_lo, s0
	s_or_b32 s6, s0, s6
	s_delay_alu instid0(SALU_CYCLE_1)
	s_and_not1_b32 exec_lo, exec_lo, s6
	s_cbranch_execnz .LBB0_1479
; %bb.1484:                             ;   in Loop: Header=BB0_1479 Depth=2
	s_or_b32 exec_lo, exec_lo, s6
	s_wait_loadcnt 0x0
	v_dual_mov_b32 v7, v8 :: v_dual_mov_b32 v1, 0
	s_mov_b32 s6, 0
	s_delay_alu instid0(VALU_DEP_1) | instskip(SKIP_1) | instid1(SALU_CYCLE_1)
	v_cmp_eq_u64_e32 vcc_lo, s[4:5], v[6:7]
	s_or_b32 s1, vcc_lo, s1
	s_and_not1_b32 exec_lo, exec_lo, s1
	s_cbranch_execnz .LBB0_1479
; %bb.1485:                             ;   in Loop: Header=BB0_1 Depth=1
	s_or_b32 exec_lo, exec_lo, s1
	s_add_co_i32 s4, s2, 0xd4
	s_mov_b32 s1, s3
	s_bfe_u32 s0, s4, 0x100003
	v_dual_mov_b32 v2, s4 :: v_dual_mov_b32 v3, s4
	s_mulk_i32 s0, 0x20c5
	v_dual_mov_b32 v5, s4 :: v_dual_mov_b32 v1, 0
	s_lshr_b32 s0, s0, 20
	s_mov_b32 s5, s3
	s_mulk_i32 s0, 0x3e8
	s_delay_alu instid0(SALU_CYCLE_1) | instskip(NEXT) | instid1(SALU_CYCLE_1)
	s_sub_co_i32 s0, s4, s0
	s_and_b32 s0, s0, 0xffff
	s_delay_alu instid0(SALU_CYCLE_1) | instskip(NEXT) | instid1(SALU_CYCLE_1)
	s_lshl_b32 s0, s0, 12
	v_add_nc_u64_e32 v[6:7], s[0:1], v[10:11]
	v_add_nc_u64_e32 v[14:15], s[0:1], v[12:13]
	s_mov_b32 s1, 0
	global_store_b128 v[6:7], v[2:5], off th:TH_STORE_NT
.LBB0_1486:                             ;   Parent Loop BB0_1 Depth=1
                                        ; =>  This Inner Loop Header: Depth=2
	s_wait_loadcnt 0x0
	global_load_b128 v[6:9], v[14:15], off th:TH_LOAD_NT
	v_add_nc_u32_e32 v1, 1, v1
	s_mov_b32 s0, -1
	s_mov_b32 s7, -1
	s_mov_b32 s12, exec_lo
	s_wait_xcnt 0x0
	v_cmpx_eq_u32_e32 0xf4240, v1
	s_cbranch_execz .LBB0_1488
; %bb.1487:                             ;   in Loop: Header=BB0_1486 Depth=2
	s_wait_loadcnt 0x0
	s_wait_storecnt 0x0
	global_load_b32 v1, v4, s[10:11] scope:SCOPE_SYS
	s_wait_loadcnt 0x0
	global_inv scope:SCOPE_SYS
	v_cmp_eq_u32_e32 vcc_lo, 0, v1
	v_mov_b32_e32 v1, 0
	s_or_not1_b32 s7, vcc_lo, exec_lo
.LBB0_1488:                             ;   in Loop: Header=BB0_1486 Depth=2
	s_wait_xcnt 0x0
	s_or_b32 exec_lo, exec_lo, s12
	s_and_saveexec_b32 s12, s7
	s_cbranch_execz .LBB0_1490
; %bb.1489:                             ;   in Loop: Header=BB0_1486 Depth=2
	s_wait_loadcnt 0x0
	v_cmp_eq_u32_e32 vcc_lo, s4, v7
	v_cmp_eq_u32_e64 s0, s4, v9
	s_and_b32 s0, vcc_lo, s0
	s_delay_alu instid0(SALU_CYCLE_1)
	s_or_not1_b32 s0, s0, exec_lo
.LBB0_1490:                             ;   in Loop: Header=BB0_1486 Depth=2
	s_or_b32 exec_lo, exec_lo, s12
	s_delay_alu instid0(SALU_CYCLE_1) | instskip(NEXT) | instid1(SALU_CYCLE_1)
	s_and_b32 s0, exec_lo, s0
	s_or_b32 s6, s0, s6
	s_delay_alu instid0(SALU_CYCLE_1)
	s_and_not1_b32 exec_lo, exec_lo, s6
	s_cbranch_execnz .LBB0_1486
; %bb.1491:                             ;   in Loop: Header=BB0_1486 Depth=2
	s_or_b32 exec_lo, exec_lo, s6
	s_wait_loadcnt 0x0
	v_dual_mov_b32 v7, v8 :: v_dual_mov_b32 v1, 0
	s_mov_b32 s6, 0
	s_delay_alu instid0(VALU_DEP_1) | instskip(SKIP_1) | instid1(SALU_CYCLE_1)
	v_cmp_eq_u64_e32 vcc_lo, s[4:5], v[6:7]
	s_or_b32 s1, vcc_lo, s1
	s_and_not1_b32 exec_lo, exec_lo, s1
	s_cbranch_execnz .LBB0_1486
; %bb.1492:                             ;   in Loop: Header=BB0_1 Depth=1
	s_or_b32 exec_lo, exec_lo, s1
	s_add_co_i32 s4, s2, 0xd5
	s_mov_b32 s1, s3
	s_bfe_u32 s0, s4, 0x100003
	v_dual_mov_b32 v2, s4 :: v_dual_mov_b32 v3, s4
	s_mulk_i32 s0, 0x20c5
	v_dual_mov_b32 v5, s4 :: v_dual_mov_b32 v1, 0
	s_lshr_b32 s0, s0, 20
	s_mov_b32 s5, s3
	s_mulk_i32 s0, 0x3e8
	s_delay_alu instid0(SALU_CYCLE_1) | instskip(NEXT) | instid1(SALU_CYCLE_1)
	s_sub_co_i32 s0, s4, s0
	s_and_b32 s0, s0, 0xffff
	s_delay_alu instid0(SALU_CYCLE_1) | instskip(NEXT) | instid1(SALU_CYCLE_1)
	s_lshl_b32 s0, s0, 12
	v_add_nc_u64_e32 v[6:7], s[0:1], v[10:11]
	v_add_nc_u64_e32 v[14:15], s[0:1], v[12:13]
	s_mov_b32 s1, 0
	global_store_b128 v[6:7], v[2:5], off th:TH_STORE_NT
.LBB0_1493:                             ;   Parent Loop BB0_1 Depth=1
                                        ; =>  This Inner Loop Header: Depth=2
	s_wait_loadcnt 0x0
	global_load_b128 v[6:9], v[14:15], off th:TH_LOAD_NT
	v_add_nc_u32_e32 v1, 1, v1
	s_mov_b32 s0, -1
	s_mov_b32 s7, -1
	s_mov_b32 s12, exec_lo
	s_wait_xcnt 0x0
	v_cmpx_eq_u32_e32 0xf4240, v1
	s_cbranch_execz .LBB0_1495
; %bb.1494:                             ;   in Loop: Header=BB0_1493 Depth=2
	s_wait_loadcnt 0x0
	s_wait_storecnt 0x0
	global_load_b32 v1, v4, s[10:11] scope:SCOPE_SYS
	s_wait_loadcnt 0x0
	global_inv scope:SCOPE_SYS
	v_cmp_eq_u32_e32 vcc_lo, 0, v1
	v_mov_b32_e32 v1, 0
	s_or_not1_b32 s7, vcc_lo, exec_lo
.LBB0_1495:                             ;   in Loop: Header=BB0_1493 Depth=2
	s_wait_xcnt 0x0
	s_or_b32 exec_lo, exec_lo, s12
	s_and_saveexec_b32 s12, s7
	s_cbranch_execz .LBB0_1497
; %bb.1496:                             ;   in Loop: Header=BB0_1493 Depth=2
	s_wait_loadcnt 0x0
	v_cmp_eq_u32_e32 vcc_lo, s4, v7
	v_cmp_eq_u32_e64 s0, s4, v9
	s_and_b32 s0, vcc_lo, s0
	s_delay_alu instid0(SALU_CYCLE_1)
	s_or_not1_b32 s0, s0, exec_lo
.LBB0_1497:                             ;   in Loop: Header=BB0_1493 Depth=2
	s_or_b32 exec_lo, exec_lo, s12
	s_delay_alu instid0(SALU_CYCLE_1) | instskip(NEXT) | instid1(SALU_CYCLE_1)
	s_and_b32 s0, exec_lo, s0
	s_or_b32 s6, s0, s6
	s_delay_alu instid0(SALU_CYCLE_1)
	s_and_not1_b32 exec_lo, exec_lo, s6
	s_cbranch_execnz .LBB0_1493
; %bb.1498:                             ;   in Loop: Header=BB0_1493 Depth=2
	s_or_b32 exec_lo, exec_lo, s6
	s_wait_loadcnt 0x0
	v_dual_mov_b32 v7, v8 :: v_dual_mov_b32 v1, 0
	s_mov_b32 s6, 0
	s_delay_alu instid0(VALU_DEP_1) | instskip(SKIP_1) | instid1(SALU_CYCLE_1)
	v_cmp_eq_u64_e32 vcc_lo, s[4:5], v[6:7]
	s_or_b32 s1, vcc_lo, s1
	s_and_not1_b32 exec_lo, exec_lo, s1
	s_cbranch_execnz .LBB0_1493
; %bb.1499:                             ;   in Loop: Header=BB0_1 Depth=1
	s_or_b32 exec_lo, exec_lo, s1
	s_add_co_i32 s4, s2, 0xd6
	s_mov_b32 s1, s3
	s_bfe_u32 s0, s4, 0x100003
	v_dual_mov_b32 v2, s4 :: v_dual_mov_b32 v3, s4
	s_mulk_i32 s0, 0x20c5
	v_dual_mov_b32 v5, s4 :: v_dual_mov_b32 v1, 0
	s_lshr_b32 s0, s0, 20
	s_mov_b32 s5, s3
	s_mulk_i32 s0, 0x3e8
	s_delay_alu instid0(SALU_CYCLE_1) | instskip(NEXT) | instid1(SALU_CYCLE_1)
	s_sub_co_i32 s0, s4, s0
	s_and_b32 s0, s0, 0xffff
	s_delay_alu instid0(SALU_CYCLE_1) | instskip(NEXT) | instid1(SALU_CYCLE_1)
	s_lshl_b32 s0, s0, 12
	v_add_nc_u64_e32 v[6:7], s[0:1], v[10:11]
	v_add_nc_u64_e32 v[14:15], s[0:1], v[12:13]
	s_mov_b32 s1, 0
	global_store_b128 v[6:7], v[2:5], off th:TH_STORE_NT
.LBB0_1500:                             ;   Parent Loop BB0_1 Depth=1
                                        ; =>  This Inner Loop Header: Depth=2
	s_wait_loadcnt 0x0
	global_load_b128 v[6:9], v[14:15], off th:TH_LOAD_NT
	v_add_nc_u32_e32 v1, 1, v1
	s_mov_b32 s0, -1
	s_mov_b32 s7, -1
	s_mov_b32 s12, exec_lo
	s_wait_xcnt 0x0
	v_cmpx_eq_u32_e32 0xf4240, v1
	s_cbranch_execz .LBB0_1502
; %bb.1501:                             ;   in Loop: Header=BB0_1500 Depth=2
	s_wait_loadcnt 0x0
	s_wait_storecnt 0x0
	global_load_b32 v1, v4, s[10:11] scope:SCOPE_SYS
	s_wait_loadcnt 0x0
	global_inv scope:SCOPE_SYS
	v_cmp_eq_u32_e32 vcc_lo, 0, v1
	v_mov_b32_e32 v1, 0
	s_or_not1_b32 s7, vcc_lo, exec_lo
.LBB0_1502:                             ;   in Loop: Header=BB0_1500 Depth=2
	s_wait_xcnt 0x0
	s_or_b32 exec_lo, exec_lo, s12
	s_and_saveexec_b32 s12, s7
	s_cbranch_execz .LBB0_1504
; %bb.1503:                             ;   in Loop: Header=BB0_1500 Depth=2
	s_wait_loadcnt 0x0
	v_cmp_eq_u32_e32 vcc_lo, s4, v7
	v_cmp_eq_u32_e64 s0, s4, v9
	s_and_b32 s0, vcc_lo, s0
	s_delay_alu instid0(SALU_CYCLE_1)
	s_or_not1_b32 s0, s0, exec_lo
.LBB0_1504:                             ;   in Loop: Header=BB0_1500 Depth=2
	s_or_b32 exec_lo, exec_lo, s12
	s_delay_alu instid0(SALU_CYCLE_1) | instskip(NEXT) | instid1(SALU_CYCLE_1)
	s_and_b32 s0, exec_lo, s0
	s_or_b32 s6, s0, s6
	s_delay_alu instid0(SALU_CYCLE_1)
	s_and_not1_b32 exec_lo, exec_lo, s6
	s_cbranch_execnz .LBB0_1500
; %bb.1505:                             ;   in Loop: Header=BB0_1500 Depth=2
	s_or_b32 exec_lo, exec_lo, s6
	s_wait_loadcnt 0x0
	v_dual_mov_b32 v7, v8 :: v_dual_mov_b32 v1, 0
	s_mov_b32 s6, 0
	s_delay_alu instid0(VALU_DEP_1) | instskip(SKIP_1) | instid1(SALU_CYCLE_1)
	v_cmp_eq_u64_e32 vcc_lo, s[4:5], v[6:7]
	s_or_b32 s1, vcc_lo, s1
	s_and_not1_b32 exec_lo, exec_lo, s1
	s_cbranch_execnz .LBB0_1500
; %bb.1506:                             ;   in Loop: Header=BB0_1 Depth=1
	s_or_b32 exec_lo, exec_lo, s1
	s_add_co_i32 s4, s2, 0xd7
	s_mov_b32 s1, s3
	s_bfe_u32 s0, s4, 0x100003
	v_dual_mov_b32 v2, s4 :: v_dual_mov_b32 v3, s4
	s_mulk_i32 s0, 0x20c5
	v_dual_mov_b32 v5, s4 :: v_dual_mov_b32 v1, 0
	s_lshr_b32 s0, s0, 20
	s_mov_b32 s5, s3
	s_mulk_i32 s0, 0x3e8
	s_delay_alu instid0(SALU_CYCLE_1) | instskip(NEXT) | instid1(SALU_CYCLE_1)
	s_sub_co_i32 s0, s4, s0
	s_and_b32 s0, s0, 0xffff
	s_delay_alu instid0(SALU_CYCLE_1) | instskip(NEXT) | instid1(SALU_CYCLE_1)
	s_lshl_b32 s0, s0, 12
	v_add_nc_u64_e32 v[6:7], s[0:1], v[10:11]
	v_add_nc_u64_e32 v[14:15], s[0:1], v[12:13]
	s_mov_b32 s1, 0
	global_store_b128 v[6:7], v[2:5], off th:TH_STORE_NT
.LBB0_1507:                             ;   Parent Loop BB0_1 Depth=1
                                        ; =>  This Inner Loop Header: Depth=2
	s_wait_loadcnt 0x0
	global_load_b128 v[6:9], v[14:15], off th:TH_LOAD_NT
	v_add_nc_u32_e32 v1, 1, v1
	s_mov_b32 s0, -1
	s_mov_b32 s7, -1
	s_mov_b32 s12, exec_lo
	s_wait_xcnt 0x0
	v_cmpx_eq_u32_e32 0xf4240, v1
	s_cbranch_execz .LBB0_1509
; %bb.1508:                             ;   in Loop: Header=BB0_1507 Depth=2
	s_wait_loadcnt 0x0
	s_wait_storecnt 0x0
	global_load_b32 v1, v4, s[10:11] scope:SCOPE_SYS
	s_wait_loadcnt 0x0
	global_inv scope:SCOPE_SYS
	v_cmp_eq_u32_e32 vcc_lo, 0, v1
	v_mov_b32_e32 v1, 0
	s_or_not1_b32 s7, vcc_lo, exec_lo
.LBB0_1509:                             ;   in Loop: Header=BB0_1507 Depth=2
	s_wait_xcnt 0x0
	s_or_b32 exec_lo, exec_lo, s12
	s_and_saveexec_b32 s12, s7
	s_cbranch_execz .LBB0_1511
; %bb.1510:                             ;   in Loop: Header=BB0_1507 Depth=2
	s_wait_loadcnt 0x0
	v_cmp_eq_u32_e32 vcc_lo, s4, v7
	v_cmp_eq_u32_e64 s0, s4, v9
	s_and_b32 s0, vcc_lo, s0
	s_delay_alu instid0(SALU_CYCLE_1)
	s_or_not1_b32 s0, s0, exec_lo
.LBB0_1511:                             ;   in Loop: Header=BB0_1507 Depth=2
	s_or_b32 exec_lo, exec_lo, s12
	s_delay_alu instid0(SALU_CYCLE_1) | instskip(NEXT) | instid1(SALU_CYCLE_1)
	s_and_b32 s0, exec_lo, s0
	s_or_b32 s6, s0, s6
	s_delay_alu instid0(SALU_CYCLE_1)
	s_and_not1_b32 exec_lo, exec_lo, s6
	s_cbranch_execnz .LBB0_1507
; %bb.1512:                             ;   in Loop: Header=BB0_1507 Depth=2
	s_or_b32 exec_lo, exec_lo, s6
	s_wait_loadcnt 0x0
	v_dual_mov_b32 v7, v8 :: v_dual_mov_b32 v1, 0
	s_mov_b32 s6, 0
	s_delay_alu instid0(VALU_DEP_1) | instskip(SKIP_1) | instid1(SALU_CYCLE_1)
	v_cmp_eq_u64_e32 vcc_lo, s[4:5], v[6:7]
	s_or_b32 s1, vcc_lo, s1
	s_and_not1_b32 exec_lo, exec_lo, s1
	s_cbranch_execnz .LBB0_1507
; %bb.1513:                             ;   in Loop: Header=BB0_1 Depth=1
	s_or_b32 exec_lo, exec_lo, s1
	s_add_co_i32 s4, s2, 0xd8
	s_mov_b32 s1, s3
	s_bfe_u32 s0, s4, 0x100003
	v_dual_mov_b32 v2, s4 :: v_dual_mov_b32 v3, s4
	s_mulk_i32 s0, 0x20c5
	v_dual_mov_b32 v5, s4 :: v_dual_mov_b32 v1, 0
	s_lshr_b32 s0, s0, 20
	s_mov_b32 s5, s3
	s_mulk_i32 s0, 0x3e8
	s_delay_alu instid0(SALU_CYCLE_1) | instskip(NEXT) | instid1(SALU_CYCLE_1)
	s_sub_co_i32 s0, s4, s0
	s_and_b32 s0, s0, 0xffff
	s_delay_alu instid0(SALU_CYCLE_1) | instskip(NEXT) | instid1(SALU_CYCLE_1)
	s_lshl_b32 s0, s0, 12
	v_add_nc_u64_e32 v[6:7], s[0:1], v[10:11]
	v_add_nc_u64_e32 v[14:15], s[0:1], v[12:13]
	s_mov_b32 s1, 0
	global_store_b128 v[6:7], v[2:5], off th:TH_STORE_NT
.LBB0_1514:                             ;   Parent Loop BB0_1 Depth=1
                                        ; =>  This Inner Loop Header: Depth=2
	s_wait_loadcnt 0x0
	global_load_b128 v[6:9], v[14:15], off th:TH_LOAD_NT
	v_add_nc_u32_e32 v1, 1, v1
	s_mov_b32 s0, -1
	s_mov_b32 s7, -1
	s_mov_b32 s12, exec_lo
	s_wait_xcnt 0x0
	v_cmpx_eq_u32_e32 0xf4240, v1
	s_cbranch_execz .LBB0_1516
; %bb.1515:                             ;   in Loop: Header=BB0_1514 Depth=2
	s_wait_loadcnt 0x0
	s_wait_storecnt 0x0
	global_load_b32 v1, v4, s[10:11] scope:SCOPE_SYS
	s_wait_loadcnt 0x0
	global_inv scope:SCOPE_SYS
	v_cmp_eq_u32_e32 vcc_lo, 0, v1
	v_mov_b32_e32 v1, 0
	s_or_not1_b32 s7, vcc_lo, exec_lo
.LBB0_1516:                             ;   in Loop: Header=BB0_1514 Depth=2
	s_wait_xcnt 0x0
	s_or_b32 exec_lo, exec_lo, s12
	s_and_saveexec_b32 s12, s7
	s_cbranch_execz .LBB0_1518
; %bb.1517:                             ;   in Loop: Header=BB0_1514 Depth=2
	s_wait_loadcnt 0x0
	v_cmp_eq_u32_e32 vcc_lo, s4, v7
	v_cmp_eq_u32_e64 s0, s4, v9
	s_and_b32 s0, vcc_lo, s0
	s_delay_alu instid0(SALU_CYCLE_1)
	s_or_not1_b32 s0, s0, exec_lo
.LBB0_1518:                             ;   in Loop: Header=BB0_1514 Depth=2
	s_or_b32 exec_lo, exec_lo, s12
	s_delay_alu instid0(SALU_CYCLE_1) | instskip(NEXT) | instid1(SALU_CYCLE_1)
	s_and_b32 s0, exec_lo, s0
	s_or_b32 s6, s0, s6
	s_delay_alu instid0(SALU_CYCLE_1)
	s_and_not1_b32 exec_lo, exec_lo, s6
	s_cbranch_execnz .LBB0_1514
; %bb.1519:                             ;   in Loop: Header=BB0_1514 Depth=2
	s_or_b32 exec_lo, exec_lo, s6
	s_wait_loadcnt 0x0
	v_dual_mov_b32 v7, v8 :: v_dual_mov_b32 v1, 0
	s_mov_b32 s6, 0
	s_delay_alu instid0(VALU_DEP_1) | instskip(SKIP_1) | instid1(SALU_CYCLE_1)
	v_cmp_eq_u64_e32 vcc_lo, s[4:5], v[6:7]
	s_or_b32 s1, vcc_lo, s1
	s_and_not1_b32 exec_lo, exec_lo, s1
	s_cbranch_execnz .LBB0_1514
; %bb.1520:                             ;   in Loop: Header=BB0_1 Depth=1
	s_or_b32 exec_lo, exec_lo, s1
	s_add_co_i32 s4, s2, 0xd9
	s_mov_b32 s1, s3
	s_bfe_u32 s0, s4, 0x100003
	v_dual_mov_b32 v2, s4 :: v_dual_mov_b32 v3, s4
	s_mulk_i32 s0, 0x20c5
	v_dual_mov_b32 v5, s4 :: v_dual_mov_b32 v1, 0
	s_lshr_b32 s0, s0, 20
	s_mov_b32 s5, s3
	s_mulk_i32 s0, 0x3e8
	s_delay_alu instid0(SALU_CYCLE_1) | instskip(NEXT) | instid1(SALU_CYCLE_1)
	s_sub_co_i32 s0, s4, s0
	s_and_b32 s0, s0, 0xffff
	s_delay_alu instid0(SALU_CYCLE_1) | instskip(NEXT) | instid1(SALU_CYCLE_1)
	s_lshl_b32 s0, s0, 12
	v_add_nc_u64_e32 v[6:7], s[0:1], v[10:11]
	v_add_nc_u64_e32 v[14:15], s[0:1], v[12:13]
	s_mov_b32 s1, 0
	global_store_b128 v[6:7], v[2:5], off th:TH_STORE_NT
.LBB0_1521:                             ;   Parent Loop BB0_1 Depth=1
                                        ; =>  This Inner Loop Header: Depth=2
	s_wait_loadcnt 0x0
	global_load_b128 v[6:9], v[14:15], off th:TH_LOAD_NT
	v_add_nc_u32_e32 v1, 1, v1
	s_mov_b32 s0, -1
	s_mov_b32 s7, -1
	s_mov_b32 s12, exec_lo
	s_wait_xcnt 0x0
	v_cmpx_eq_u32_e32 0xf4240, v1
	s_cbranch_execz .LBB0_1523
; %bb.1522:                             ;   in Loop: Header=BB0_1521 Depth=2
	s_wait_loadcnt 0x0
	s_wait_storecnt 0x0
	global_load_b32 v1, v4, s[10:11] scope:SCOPE_SYS
	s_wait_loadcnt 0x0
	global_inv scope:SCOPE_SYS
	v_cmp_eq_u32_e32 vcc_lo, 0, v1
	v_mov_b32_e32 v1, 0
	s_or_not1_b32 s7, vcc_lo, exec_lo
.LBB0_1523:                             ;   in Loop: Header=BB0_1521 Depth=2
	s_wait_xcnt 0x0
	s_or_b32 exec_lo, exec_lo, s12
	s_and_saveexec_b32 s12, s7
	s_cbranch_execz .LBB0_1525
; %bb.1524:                             ;   in Loop: Header=BB0_1521 Depth=2
	s_wait_loadcnt 0x0
	v_cmp_eq_u32_e32 vcc_lo, s4, v7
	v_cmp_eq_u32_e64 s0, s4, v9
	s_and_b32 s0, vcc_lo, s0
	s_delay_alu instid0(SALU_CYCLE_1)
	s_or_not1_b32 s0, s0, exec_lo
.LBB0_1525:                             ;   in Loop: Header=BB0_1521 Depth=2
	s_or_b32 exec_lo, exec_lo, s12
	s_delay_alu instid0(SALU_CYCLE_1) | instskip(NEXT) | instid1(SALU_CYCLE_1)
	s_and_b32 s0, exec_lo, s0
	s_or_b32 s6, s0, s6
	s_delay_alu instid0(SALU_CYCLE_1)
	s_and_not1_b32 exec_lo, exec_lo, s6
	s_cbranch_execnz .LBB0_1521
; %bb.1526:                             ;   in Loop: Header=BB0_1521 Depth=2
	s_or_b32 exec_lo, exec_lo, s6
	s_wait_loadcnt 0x0
	v_dual_mov_b32 v7, v8 :: v_dual_mov_b32 v1, 0
	s_mov_b32 s6, 0
	s_delay_alu instid0(VALU_DEP_1) | instskip(SKIP_1) | instid1(SALU_CYCLE_1)
	v_cmp_eq_u64_e32 vcc_lo, s[4:5], v[6:7]
	s_or_b32 s1, vcc_lo, s1
	s_and_not1_b32 exec_lo, exec_lo, s1
	s_cbranch_execnz .LBB0_1521
; %bb.1527:                             ;   in Loop: Header=BB0_1 Depth=1
	s_or_b32 exec_lo, exec_lo, s1
	s_add_co_i32 s4, s2, 0xda
	s_mov_b32 s1, s3
	s_bfe_u32 s0, s4, 0x100003
	v_dual_mov_b32 v2, s4 :: v_dual_mov_b32 v3, s4
	s_mulk_i32 s0, 0x20c5
	v_dual_mov_b32 v5, s4 :: v_dual_mov_b32 v1, 0
	s_lshr_b32 s0, s0, 20
	s_mov_b32 s5, s3
	s_mulk_i32 s0, 0x3e8
	s_delay_alu instid0(SALU_CYCLE_1) | instskip(NEXT) | instid1(SALU_CYCLE_1)
	s_sub_co_i32 s0, s4, s0
	s_and_b32 s0, s0, 0xffff
	s_delay_alu instid0(SALU_CYCLE_1) | instskip(NEXT) | instid1(SALU_CYCLE_1)
	s_lshl_b32 s0, s0, 12
	v_add_nc_u64_e32 v[6:7], s[0:1], v[10:11]
	v_add_nc_u64_e32 v[14:15], s[0:1], v[12:13]
	s_mov_b32 s1, 0
	global_store_b128 v[6:7], v[2:5], off th:TH_STORE_NT
.LBB0_1528:                             ;   Parent Loop BB0_1 Depth=1
                                        ; =>  This Inner Loop Header: Depth=2
	s_wait_loadcnt 0x0
	global_load_b128 v[6:9], v[14:15], off th:TH_LOAD_NT
	v_add_nc_u32_e32 v1, 1, v1
	s_mov_b32 s0, -1
	s_mov_b32 s7, -1
	s_mov_b32 s12, exec_lo
	s_wait_xcnt 0x0
	v_cmpx_eq_u32_e32 0xf4240, v1
	s_cbranch_execz .LBB0_1530
; %bb.1529:                             ;   in Loop: Header=BB0_1528 Depth=2
	s_wait_loadcnt 0x0
	s_wait_storecnt 0x0
	global_load_b32 v1, v4, s[10:11] scope:SCOPE_SYS
	s_wait_loadcnt 0x0
	global_inv scope:SCOPE_SYS
	v_cmp_eq_u32_e32 vcc_lo, 0, v1
	v_mov_b32_e32 v1, 0
	s_or_not1_b32 s7, vcc_lo, exec_lo
.LBB0_1530:                             ;   in Loop: Header=BB0_1528 Depth=2
	s_wait_xcnt 0x0
	s_or_b32 exec_lo, exec_lo, s12
	s_and_saveexec_b32 s12, s7
	s_cbranch_execz .LBB0_1532
; %bb.1531:                             ;   in Loop: Header=BB0_1528 Depth=2
	s_wait_loadcnt 0x0
	v_cmp_eq_u32_e32 vcc_lo, s4, v7
	v_cmp_eq_u32_e64 s0, s4, v9
	s_and_b32 s0, vcc_lo, s0
	s_delay_alu instid0(SALU_CYCLE_1)
	s_or_not1_b32 s0, s0, exec_lo
.LBB0_1532:                             ;   in Loop: Header=BB0_1528 Depth=2
	s_or_b32 exec_lo, exec_lo, s12
	s_delay_alu instid0(SALU_CYCLE_1) | instskip(NEXT) | instid1(SALU_CYCLE_1)
	s_and_b32 s0, exec_lo, s0
	s_or_b32 s6, s0, s6
	s_delay_alu instid0(SALU_CYCLE_1)
	s_and_not1_b32 exec_lo, exec_lo, s6
	s_cbranch_execnz .LBB0_1528
; %bb.1533:                             ;   in Loop: Header=BB0_1528 Depth=2
	s_or_b32 exec_lo, exec_lo, s6
	s_wait_loadcnt 0x0
	v_dual_mov_b32 v7, v8 :: v_dual_mov_b32 v1, 0
	s_mov_b32 s6, 0
	s_delay_alu instid0(VALU_DEP_1) | instskip(SKIP_1) | instid1(SALU_CYCLE_1)
	v_cmp_eq_u64_e32 vcc_lo, s[4:5], v[6:7]
	s_or_b32 s1, vcc_lo, s1
	s_and_not1_b32 exec_lo, exec_lo, s1
	s_cbranch_execnz .LBB0_1528
; %bb.1534:                             ;   in Loop: Header=BB0_1 Depth=1
	s_or_b32 exec_lo, exec_lo, s1
	s_add_co_i32 s4, s2, 0xdb
	s_mov_b32 s1, s3
	s_bfe_u32 s0, s4, 0x100003
	v_dual_mov_b32 v2, s4 :: v_dual_mov_b32 v3, s4
	s_mulk_i32 s0, 0x20c5
	v_dual_mov_b32 v5, s4 :: v_dual_mov_b32 v1, 0
	s_lshr_b32 s0, s0, 20
	s_mov_b32 s5, s3
	s_mulk_i32 s0, 0x3e8
	s_delay_alu instid0(SALU_CYCLE_1) | instskip(NEXT) | instid1(SALU_CYCLE_1)
	s_sub_co_i32 s0, s4, s0
	s_and_b32 s0, s0, 0xffff
	s_delay_alu instid0(SALU_CYCLE_1) | instskip(NEXT) | instid1(SALU_CYCLE_1)
	s_lshl_b32 s0, s0, 12
	v_add_nc_u64_e32 v[6:7], s[0:1], v[10:11]
	v_add_nc_u64_e32 v[14:15], s[0:1], v[12:13]
	s_mov_b32 s1, 0
	global_store_b128 v[6:7], v[2:5], off th:TH_STORE_NT
.LBB0_1535:                             ;   Parent Loop BB0_1 Depth=1
                                        ; =>  This Inner Loop Header: Depth=2
	s_wait_loadcnt 0x0
	global_load_b128 v[6:9], v[14:15], off th:TH_LOAD_NT
	v_add_nc_u32_e32 v1, 1, v1
	s_mov_b32 s0, -1
	s_mov_b32 s7, -1
	s_mov_b32 s12, exec_lo
	s_wait_xcnt 0x0
	v_cmpx_eq_u32_e32 0xf4240, v1
	s_cbranch_execz .LBB0_1537
; %bb.1536:                             ;   in Loop: Header=BB0_1535 Depth=2
	s_wait_loadcnt 0x0
	s_wait_storecnt 0x0
	global_load_b32 v1, v4, s[10:11] scope:SCOPE_SYS
	s_wait_loadcnt 0x0
	global_inv scope:SCOPE_SYS
	v_cmp_eq_u32_e32 vcc_lo, 0, v1
	v_mov_b32_e32 v1, 0
	s_or_not1_b32 s7, vcc_lo, exec_lo
.LBB0_1537:                             ;   in Loop: Header=BB0_1535 Depth=2
	s_wait_xcnt 0x0
	s_or_b32 exec_lo, exec_lo, s12
	s_and_saveexec_b32 s12, s7
	s_cbranch_execz .LBB0_1539
; %bb.1538:                             ;   in Loop: Header=BB0_1535 Depth=2
	s_wait_loadcnt 0x0
	v_cmp_eq_u32_e32 vcc_lo, s4, v7
	v_cmp_eq_u32_e64 s0, s4, v9
	s_and_b32 s0, vcc_lo, s0
	s_delay_alu instid0(SALU_CYCLE_1)
	s_or_not1_b32 s0, s0, exec_lo
.LBB0_1539:                             ;   in Loop: Header=BB0_1535 Depth=2
	s_or_b32 exec_lo, exec_lo, s12
	s_delay_alu instid0(SALU_CYCLE_1) | instskip(NEXT) | instid1(SALU_CYCLE_1)
	s_and_b32 s0, exec_lo, s0
	s_or_b32 s6, s0, s6
	s_delay_alu instid0(SALU_CYCLE_1)
	s_and_not1_b32 exec_lo, exec_lo, s6
	s_cbranch_execnz .LBB0_1535
; %bb.1540:                             ;   in Loop: Header=BB0_1535 Depth=2
	s_or_b32 exec_lo, exec_lo, s6
	s_wait_loadcnt 0x0
	v_dual_mov_b32 v7, v8 :: v_dual_mov_b32 v1, 0
	s_mov_b32 s6, 0
	s_delay_alu instid0(VALU_DEP_1) | instskip(SKIP_1) | instid1(SALU_CYCLE_1)
	v_cmp_eq_u64_e32 vcc_lo, s[4:5], v[6:7]
	s_or_b32 s1, vcc_lo, s1
	s_and_not1_b32 exec_lo, exec_lo, s1
	s_cbranch_execnz .LBB0_1535
; %bb.1541:                             ;   in Loop: Header=BB0_1 Depth=1
	s_or_b32 exec_lo, exec_lo, s1
	s_add_co_i32 s4, s2, 0xdc
	s_mov_b32 s1, s3
	s_bfe_u32 s0, s4, 0x100003
	v_dual_mov_b32 v2, s4 :: v_dual_mov_b32 v3, s4
	s_mulk_i32 s0, 0x20c5
	v_dual_mov_b32 v5, s4 :: v_dual_mov_b32 v1, 0
	s_lshr_b32 s0, s0, 20
	s_mov_b32 s5, s3
	s_mulk_i32 s0, 0x3e8
	s_delay_alu instid0(SALU_CYCLE_1) | instskip(NEXT) | instid1(SALU_CYCLE_1)
	s_sub_co_i32 s0, s4, s0
	s_and_b32 s0, s0, 0xffff
	s_delay_alu instid0(SALU_CYCLE_1) | instskip(NEXT) | instid1(SALU_CYCLE_1)
	s_lshl_b32 s0, s0, 12
	v_add_nc_u64_e32 v[6:7], s[0:1], v[10:11]
	v_add_nc_u64_e32 v[14:15], s[0:1], v[12:13]
	s_mov_b32 s1, 0
	global_store_b128 v[6:7], v[2:5], off th:TH_STORE_NT
.LBB0_1542:                             ;   Parent Loop BB0_1 Depth=1
                                        ; =>  This Inner Loop Header: Depth=2
	s_wait_loadcnt 0x0
	global_load_b128 v[6:9], v[14:15], off th:TH_LOAD_NT
	v_add_nc_u32_e32 v1, 1, v1
	s_mov_b32 s0, -1
	s_mov_b32 s7, -1
	s_mov_b32 s12, exec_lo
	s_wait_xcnt 0x0
	v_cmpx_eq_u32_e32 0xf4240, v1
	s_cbranch_execz .LBB0_1544
; %bb.1543:                             ;   in Loop: Header=BB0_1542 Depth=2
	s_wait_loadcnt 0x0
	s_wait_storecnt 0x0
	global_load_b32 v1, v4, s[10:11] scope:SCOPE_SYS
	s_wait_loadcnt 0x0
	global_inv scope:SCOPE_SYS
	v_cmp_eq_u32_e32 vcc_lo, 0, v1
	v_mov_b32_e32 v1, 0
	s_or_not1_b32 s7, vcc_lo, exec_lo
.LBB0_1544:                             ;   in Loop: Header=BB0_1542 Depth=2
	s_wait_xcnt 0x0
	s_or_b32 exec_lo, exec_lo, s12
	s_and_saveexec_b32 s12, s7
	s_cbranch_execz .LBB0_1546
; %bb.1545:                             ;   in Loop: Header=BB0_1542 Depth=2
	s_wait_loadcnt 0x0
	v_cmp_eq_u32_e32 vcc_lo, s4, v7
	v_cmp_eq_u32_e64 s0, s4, v9
	s_and_b32 s0, vcc_lo, s0
	s_delay_alu instid0(SALU_CYCLE_1)
	s_or_not1_b32 s0, s0, exec_lo
.LBB0_1546:                             ;   in Loop: Header=BB0_1542 Depth=2
	s_or_b32 exec_lo, exec_lo, s12
	s_delay_alu instid0(SALU_CYCLE_1) | instskip(NEXT) | instid1(SALU_CYCLE_1)
	s_and_b32 s0, exec_lo, s0
	s_or_b32 s6, s0, s6
	s_delay_alu instid0(SALU_CYCLE_1)
	s_and_not1_b32 exec_lo, exec_lo, s6
	s_cbranch_execnz .LBB0_1542
; %bb.1547:                             ;   in Loop: Header=BB0_1542 Depth=2
	s_or_b32 exec_lo, exec_lo, s6
	s_wait_loadcnt 0x0
	v_dual_mov_b32 v7, v8 :: v_dual_mov_b32 v1, 0
	s_mov_b32 s6, 0
	s_delay_alu instid0(VALU_DEP_1) | instskip(SKIP_1) | instid1(SALU_CYCLE_1)
	v_cmp_eq_u64_e32 vcc_lo, s[4:5], v[6:7]
	s_or_b32 s1, vcc_lo, s1
	s_and_not1_b32 exec_lo, exec_lo, s1
	s_cbranch_execnz .LBB0_1542
; %bb.1548:                             ;   in Loop: Header=BB0_1 Depth=1
	s_or_b32 exec_lo, exec_lo, s1
	s_add_co_i32 s4, s2, 0xdd
	s_mov_b32 s1, s3
	s_bfe_u32 s0, s4, 0x100003
	v_dual_mov_b32 v2, s4 :: v_dual_mov_b32 v3, s4
	s_mulk_i32 s0, 0x20c5
	v_dual_mov_b32 v5, s4 :: v_dual_mov_b32 v1, 0
	s_lshr_b32 s0, s0, 20
	s_mov_b32 s5, s3
	s_mulk_i32 s0, 0x3e8
	s_delay_alu instid0(SALU_CYCLE_1) | instskip(NEXT) | instid1(SALU_CYCLE_1)
	s_sub_co_i32 s0, s4, s0
	s_and_b32 s0, s0, 0xffff
	s_delay_alu instid0(SALU_CYCLE_1) | instskip(NEXT) | instid1(SALU_CYCLE_1)
	s_lshl_b32 s0, s0, 12
	v_add_nc_u64_e32 v[6:7], s[0:1], v[10:11]
	v_add_nc_u64_e32 v[14:15], s[0:1], v[12:13]
	s_mov_b32 s1, 0
	global_store_b128 v[6:7], v[2:5], off th:TH_STORE_NT
.LBB0_1549:                             ;   Parent Loop BB0_1 Depth=1
                                        ; =>  This Inner Loop Header: Depth=2
	s_wait_loadcnt 0x0
	global_load_b128 v[6:9], v[14:15], off th:TH_LOAD_NT
	v_add_nc_u32_e32 v1, 1, v1
	s_mov_b32 s0, -1
	s_mov_b32 s7, -1
	s_mov_b32 s12, exec_lo
	s_wait_xcnt 0x0
	v_cmpx_eq_u32_e32 0xf4240, v1
	s_cbranch_execz .LBB0_1551
; %bb.1550:                             ;   in Loop: Header=BB0_1549 Depth=2
	s_wait_loadcnt 0x0
	s_wait_storecnt 0x0
	global_load_b32 v1, v4, s[10:11] scope:SCOPE_SYS
	s_wait_loadcnt 0x0
	global_inv scope:SCOPE_SYS
	v_cmp_eq_u32_e32 vcc_lo, 0, v1
	v_mov_b32_e32 v1, 0
	s_or_not1_b32 s7, vcc_lo, exec_lo
.LBB0_1551:                             ;   in Loop: Header=BB0_1549 Depth=2
	s_wait_xcnt 0x0
	s_or_b32 exec_lo, exec_lo, s12
	s_and_saveexec_b32 s12, s7
	s_cbranch_execz .LBB0_1553
; %bb.1552:                             ;   in Loop: Header=BB0_1549 Depth=2
	s_wait_loadcnt 0x0
	v_cmp_eq_u32_e32 vcc_lo, s4, v7
	v_cmp_eq_u32_e64 s0, s4, v9
	s_and_b32 s0, vcc_lo, s0
	s_delay_alu instid0(SALU_CYCLE_1)
	s_or_not1_b32 s0, s0, exec_lo
.LBB0_1553:                             ;   in Loop: Header=BB0_1549 Depth=2
	s_or_b32 exec_lo, exec_lo, s12
	s_delay_alu instid0(SALU_CYCLE_1) | instskip(NEXT) | instid1(SALU_CYCLE_1)
	s_and_b32 s0, exec_lo, s0
	s_or_b32 s6, s0, s6
	s_delay_alu instid0(SALU_CYCLE_1)
	s_and_not1_b32 exec_lo, exec_lo, s6
	s_cbranch_execnz .LBB0_1549
; %bb.1554:                             ;   in Loop: Header=BB0_1549 Depth=2
	s_or_b32 exec_lo, exec_lo, s6
	s_wait_loadcnt 0x0
	v_dual_mov_b32 v7, v8 :: v_dual_mov_b32 v1, 0
	s_mov_b32 s6, 0
	s_delay_alu instid0(VALU_DEP_1) | instskip(SKIP_1) | instid1(SALU_CYCLE_1)
	v_cmp_eq_u64_e32 vcc_lo, s[4:5], v[6:7]
	s_or_b32 s1, vcc_lo, s1
	s_and_not1_b32 exec_lo, exec_lo, s1
	s_cbranch_execnz .LBB0_1549
; %bb.1555:                             ;   in Loop: Header=BB0_1 Depth=1
	s_or_b32 exec_lo, exec_lo, s1
	s_add_co_i32 s4, s2, 0xde
	s_mov_b32 s1, s3
	s_bfe_u32 s0, s4, 0x100003
	v_dual_mov_b32 v2, s4 :: v_dual_mov_b32 v3, s4
	s_mulk_i32 s0, 0x20c5
	v_dual_mov_b32 v5, s4 :: v_dual_mov_b32 v1, 0
	s_lshr_b32 s0, s0, 20
	s_mov_b32 s5, s3
	s_mulk_i32 s0, 0x3e8
	s_delay_alu instid0(SALU_CYCLE_1) | instskip(NEXT) | instid1(SALU_CYCLE_1)
	s_sub_co_i32 s0, s4, s0
	s_and_b32 s0, s0, 0xffff
	s_delay_alu instid0(SALU_CYCLE_1) | instskip(NEXT) | instid1(SALU_CYCLE_1)
	s_lshl_b32 s0, s0, 12
	v_add_nc_u64_e32 v[6:7], s[0:1], v[10:11]
	v_add_nc_u64_e32 v[14:15], s[0:1], v[12:13]
	s_mov_b32 s1, 0
	global_store_b128 v[6:7], v[2:5], off th:TH_STORE_NT
.LBB0_1556:                             ;   Parent Loop BB0_1 Depth=1
                                        ; =>  This Inner Loop Header: Depth=2
	s_wait_loadcnt 0x0
	global_load_b128 v[6:9], v[14:15], off th:TH_LOAD_NT
	v_add_nc_u32_e32 v1, 1, v1
	s_mov_b32 s0, -1
	s_mov_b32 s7, -1
	s_mov_b32 s12, exec_lo
	s_wait_xcnt 0x0
	v_cmpx_eq_u32_e32 0xf4240, v1
	s_cbranch_execz .LBB0_1558
; %bb.1557:                             ;   in Loop: Header=BB0_1556 Depth=2
	s_wait_loadcnt 0x0
	s_wait_storecnt 0x0
	global_load_b32 v1, v4, s[10:11] scope:SCOPE_SYS
	s_wait_loadcnt 0x0
	global_inv scope:SCOPE_SYS
	v_cmp_eq_u32_e32 vcc_lo, 0, v1
	v_mov_b32_e32 v1, 0
	s_or_not1_b32 s7, vcc_lo, exec_lo
.LBB0_1558:                             ;   in Loop: Header=BB0_1556 Depth=2
	s_wait_xcnt 0x0
	s_or_b32 exec_lo, exec_lo, s12
	s_and_saveexec_b32 s12, s7
	s_cbranch_execz .LBB0_1560
; %bb.1559:                             ;   in Loop: Header=BB0_1556 Depth=2
	s_wait_loadcnt 0x0
	v_cmp_eq_u32_e32 vcc_lo, s4, v7
	v_cmp_eq_u32_e64 s0, s4, v9
	s_and_b32 s0, vcc_lo, s0
	s_delay_alu instid0(SALU_CYCLE_1)
	s_or_not1_b32 s0, s0, exec_lo
.LBB0_1560:                             ;   in Loop: Header=BB0_1556 Depth=2
	s_or_b32 exec_lo, exec_lo, s12
	s_delay_alu instid0(SALU_CYCLE_1) | instskip(NEXT) | instid1(SALU_CYCLE_1)
	s_and_b32 s0, exec_lo, s0
	s_or_b32 s6, s0, s6
	s_delay_alu instid0(SALU_CYCLE_1)
	s_and_not1_b32 exec_lo, exec_lo, s6
	s_cbranch_execnz .LBB0_1556
; %bb.1561:                             ;   in Loop: Header=BB0_1556 Depth=2
	s_or_b32 exec_lo, exec_lo, s6
	s_wait_loadcnt 0x0
	v_dual_mov_b32 v7, v8 :: v_dual_mov_b32 v1, 0
	s_mov_b32 s6, 0
	s_delay_alu instid0(VALU_DEP_1) | instskip(SKIP_1) | instid1(SALU_CYCLE_1)
	v_cmp_eq_u64_e32 vcc_lo, s[4:5], v[6:7]
	s_or_b32 s1, vcc_lo, s1
	s_and_not1_b32 exec_lo, exec_lo, s1
	s_cbranch_execnz .LBB0_1556
; %bb.1562:                             ;   in Loop: Header=BB0_1 Depth=1
	s_or_b32 exec_lo, exec_lo, s1
	s_add_co_i32 s4, s2, 0xdf
	s_mov_b32 s1, s3
	s_bfe_u32 s0, s4, 0x100003
	v_dual_mov_b32 v2, s4 :: v_dual_mov_b32 v3, s4
	s_mulk_i32 s0, 0x20c5
	v_dual_mov_b32 v5, s4 :: v_dual_mov_b32 v1, 0
	s_lshr_b32 s0, s0, 20
	s_mov_b32 s5, s3
	s_mulk_i32 s0, 0x3e8
	s_delay_alu instid0(SALU_CYCLE_1) | instskip(NEXT) | instid1(SALU_CYCLE_1)
	s_sub_co_i32 s0, s4, s0
	s_and_b32 s0, s0, 0xffff
	s_delay_alu instid0(SALU_CYCLE_1) | instskip(NEXT) | instid1(SALU_CYCLE_1)
	s_lshl_b32 s0, s0, 12
	v_add_nc_u64_e32 v[6:7], s[0:1], v[10:11]
	v_add_nc_u64_e32 v[14:15], s[0:1], v[12:13]
	s_mov_b32 s1, 0
	global_store_b128 v[6:7], v[2:5], off th:TH_STORE_NT
.LBB0_1563:                             ;   Parent Loop BB0_1 Depth=1
                                        ; =>  This Inner Loop Header: Depth=2
	s_wait_loadcnt 0x0
	global_load_b128 v[6:9], v[14:15], off th:TH_LOAD_NT
	v_add_nc_u32_e32 v1, 1, v1
	s_mov_b32 s0, -1
	s_mov_b32 s7, -1
	s_mov_b32 s12, exec_lo
	s_wait_xcnt 0x0
	v_cmpx_eq_u32_e32 0xf4240, v1
	s_cbranch_execz .LBB0_1565
; %bb.1564:                             ;   in Loop: Header=BB0_1563 Depth=2
	s_wait_loadcnt 0x0
	s_wait_storecnt 0x0
	global_load_b32 v1, v4, s[10:11] scope:SCOPE_SYS
	s_wait_loadcnt 0x0
	global_inv scope:SCOPE_SYS
	v_cmp_eq_u32_e32 vcc_lo, 0, v1
	v_mov_b32_e32 v1, 0
	s_or_not1_b32 s7, vcc_lo, exec_lo
.LBB0_1565:                             ;   in Loop: Header=BB0_1563 Depth=2
	s_wait_xcnt 0x0
	s_or_b32 exec_lo, exec_lo, s12
	s_and_saveexec_b32 s12, s7
	s_cbranch_execz .LBB0_1567
; %bb.1566:                             ;   in Loop: Header=BB0_1563 Depth=2
	s_wait_loadcnt 0x0
	v_cmp_eq_u32_e32 vcc_lo, s4, v7
	v_cmp_eq_u32_e64 s0, s4, v9
	s_and_b32 s0, vcc_lo, s0
	s_delay_alu instid0(SALU_CYCLE_1)
	s_or_not1_b32 s0, s0, exec_lo
.LBB0_1567:                             ;   in Loop: Header=BB0_1563 Depth=2
	s_or_b32 exec_lo, exec_lo, s12
	s_delay_alu instid0(SALU_CYCLE_1) | instskip(NEXT) | instid1(SALU_CYCLE_1)
	s_and_b32 s0, exec_lo, s0
	s_or_b32 s6, s0, s6
	s_delay_alu instid0(SALU_CYCLE_1)
	s_and_not1_b32 exec_lo, exec_lo, s6
	s_cbranch_execnz .LBB0_1563
; %bb.1568:                             ;   in Loop: Header=BB0_1563 Depth=2
	s_or_b32 exec_lo, exec_lo, s6
	s_wait_loadcnt 0x0
	v_dual_mov_b32 v7, v8 :: v_dual_mov_b32 v1, 0
	s_mov_b32 s6, 0
	s_delay_alu instid0(VALU_DEP_1) | instskip(SKIP_1) | instid1(SALU_CYCLE_1)
	v_cmp_eq_u64_e32 vcc_lo, s[4:5], v[6:7]
	s_or_b32 s1, vcc_lo, s1
	s_and_not1_b32 exec_lo, exec_lo, s1
	s_cbranch_execnz .LBB0_1563
; %bb.1569:                             ;   in Loop: Header=BB0_1 Depth=1
	s_or_b32 exec_lo, exec_lo, s1
	s_add_co_i32 s4, s2, 0xe0
	s_mov_b32 s1, s3
	s_bfe_u32 s0, s4, 0x100003
	v_dual_mov_b32 v2, s4 :: v_dual_mov_b32 v3, s4
	s_mulk_i32 s0, 0x20c5
	v_dual_mov_b32 v5, s4 :: v_dual_mov_b32 v1, 0
	s_lshr_b32 s0, s0, 20
	s_mov_b32 s5, s3
	s_mulk_i32 s0, 0x3e8
	s_delay_alu instid0(SALU_CYCLE_1) | instskip(NEXT) | instid1(SALU_CYCLE_1)
	s_sub_co_i32 s0, s4, s0
	s_and_b32 s0, s0, 0xffff
	s_delay_alu instid0(SALU_CYCLE_1) | instskip(NEXT) | instid1(SALU_CYCLE_1)
	s_lshl_b32 s0, s0, 12
	v_add_nc_u64_e32 v[6:7], s[0:1], v[10:11]
	v_add_nc_u64_e32 v[14:15], s[0:1], v[12:13]
	s_mov_b32 s1, 0
	global_store_b128 v[6:7], v[2:5], off th:TH_STORE_NT
.LBB0_1570:                             ;   Parent Loop BB0_1 Depth=1
                                        ; =>  This Inner Loop Header: Depth=2
	s_wait_loadcnt 0x0
	global_load_b128 v[6:9], v[14:15], off th:TH_LOAD_NT
	v_add_nc_u32_e32 v1, 1, v1
	s_mov_b32 s0, -1
	s_mov_b32 s7, -1
	s_mov_b32 s12, exec_lo
	s_wait_xcnt 0x0
	v_cmpx_eq_u32_e32 0xf4240, v1
	s_cbranch_execz .LBB0_1572
; %bb.1571:                             ;   in Loop: Header=BB0_1570 Depth=2
	s_wait_loadcnt 0x0
	s_wait_storecnt 0x0
	global_load_b32 v1, v4, s[10:11] scope:SCOPE_SYS
	s_wait_loadcnt 0x0
	global_inv scope:SCOPE_SYS
	v_cmp_eq_u32_e32 vcc_lo, 0, v1
	v_mov_b32_e32 v1, 0
	s_or_not1_b32 s7, vcc_lo, exec_lo
.LBB0_1572:                             ;   in Loop: Header=BB0_1570 Depth=2
	s_wait_xcnt 0x0
	s_or_b32 exec_lo, exec_lo, s12
	s_and_saveexec_b32 s12, s7
	s_cbranch_execz .LBB0_1574
; %bb.1573:                             ;   in Loop: Header=BB0_1570 Depth=2
	s_wait_loadcnt 0x0
	v_cmp_eq_u32_e32 vcc_lo, s4, v7
	v_cmp_eq_u32_e64 s0, s4, v9
	s_and_b32 s0, vcc_lo, s0
	s_delay_alu instid0(SALU_CYCLE_1)
	s_or_not1_b32 s0, s0, exec_lo
.LBB0_1574:                             ;   in Loop: Header=BB0_1570 Depth=2
	s_or_b32 exec_lo, exec_lo, s12
	s_delay_alu instid0(SALU_CYCLE_1) | instskip(NEXT) | instid1(SALU_CYCLE_1)
	s_and_b32 s0, exec_lo, s0
	s_or_b32 s6, s0, s6
	s_delay_alu instid0(SALU_CYCLE_1)
	s_and_not1_b32 exec_lo, exec_lo, s6
	s_cbranch_execnz .LBB0_1570
; %bb.1575:                             ;   in Loop: Header=BB0_1570 Depth=2
	s_or_b32 exec_lo, exec_lo, s6
	s_wait_loadcnt 0x0
	v_dual_mov_b32 v7, v8 :: v_dual_mov_b32 v1, 0
	s_mov_b32 s6, 0
	s_delay_alu instid0(VALU_DEP_1) | instskip(SKIP_1) | instid1(SALU_CYCLE_1)
	v_cmp_eq_u64_e32 vcc_lo, s[4:5], v[6:7]
	s_or_b32 s1, vcc_lo, s1
	s_and_not1_b32 exec_lo, exec_lo, s1
	s_cbranch_execnz .LBB0_1570
; %bb.1576:                             ;   in Loop: Header=BB0_1 Depth=1
	s_or_b32 exec_lo, exec_lo, s1
	s_add_co_i32 s4, s2, 0xe1
	s_mov_b32 s1, s3
	s_bfe_u32 s0, s4, 0x100003
	v_dual_mov_b32 v2, s4 :: v_dual_mov_b32 v3, s4
	s_mulk_i32 s0, 0x20c5
	v_dual_mov_b32 v5, s4 :: v_dual_mov_b32 v1, 0
	s_lshr_b32 s0, s0, 20
	s_mov_b32 s5, s3
	s_mulk_i32 s0, 0x3e8
	s_delay_alu instid0(SALU_CYCLE_1) | instskip(NEXT) | instid1(SALU_CYCLE_1)
	s_sub_co_i32 s0, s4, s0
	s_and_b32 s0, s0, 0xffff
	s_delay_alu instid0(SALU_CYCLE_1) | instskip(NEXT) | instid1(SALU_CYCLE_1)
	s_lshl_b32 s0, s0, 12
	v_add_nc_u64_e32 v[6:7], s[0:1], v[10:11]
	v_add_nc_u64_e32 v[14:15], s[0:1], v[12:13]
	s_mov_b32 s1, 0
	global_store_b128 v[6:7], v[2:5], off th:TH_STORE_NT
.LBB0_1577:                             ;   Parent Loop BB0_1 Depth=1
                                        ; =>  This Inner Loop Header: Depth=2
	s_wait_loadcnt 0x0
	global_load_b128 v[6:9], v[14:15], off th:TH_LOAD_NT
	v_add_nc_u32_e32 v1, 1, v1
	s_mov_b32 s0, -1
	s_mov_b32 s7, -1
	s_mov_b32 s12, exec_lo
	s_wait_xcnt 0x0
	v_cmpx_eq_u32_e32 0xf4240, v1
	s_cbranch_execz .LBB0_1579
; %bb.1578:                             ;   in Loop: Header=BB0_1577 Depth=2
	s_wait_loadcnt 0x0
	s_wait_storecnt 0x0
	global_load_b32 v1, v4, s[10:11] scope:SCOPE_SYS
	s_wait_loadcnt 0x0
	global_inv scope:SCOPE_SYS
	v_cmp_eq_u32_e32 vcc_lo, 0, v1
	v_mov_b32_e32 v1, 0
	s_or_not1_b32 s7, vcc_lo, exec_lo
.LBB0_1579:                             ;   in Loop: Header=BB0_1577 Depth=2
	s_wait_xcnt 0x0
	s_or_b32 exec_lo, exec_lo, s12
	s_and_saveexec_b32 s12, s7
	s_cbranch_execz .LBB0_1581
; %bb.1580:                             ;   in Loop: Header=BB0_1577 Depth=2
	s_wait_loadcnt 0x0
	v_cmp_eq_u32_e32 vcc_lo, s4, v7
	v_cmp_eq_u32_e64 s0, s4, v9
	s_and_b32 s0, vcc_lo, s0
	s_delay_alu instid0(SALU_CYCLE_1)
	s_or_not1_b32 s0, s0, exec_lo
.LBB0_1581:                             ;   in Loop: Header=BB0_1577 Depth=2
	s_or_b32 exec_lo, exec_lo, s12
	s_delay_alu instid0(SALU_CYCLE_1) | instskip(NEXT) | instid1(SALU_CYCLE_1)
	s_and_b32 s0, exec_lo, s0
	s_or_b32 s6, s0, s6
	s_delay_alu instid0(SALU_CYCLE_1)
	s_and_not1_b32 exec_lo, exec_lo, s6
	s_cbranch_execnz .LBB0_1577
; %bb.1582:                             ;   in Loop: Header=BB0_1577 Depth=2
	s_or_b32 exec_lo, exec_lo, s6
	s_wait_loadcnt 0x0
	v_dual_mov_b32 v7, v8 :: v_dual_mov_b32 v1, 0
	s_mov_b32 s6, 0
	s_delay_alu instid0(VALU_DEP_1) | instskip(SKIP_1) | instid1(SALU_CYCLE_1)
	v_cmp_eq_u64_e32 vcc_lo, s[4:5], v[6:7]
	s_or_b32 s1, vcc_lo, s1
	s_and_not1_b32 exec_lo, exec_lo, s1
	s_cbranch_execnz .LBB0_1577
; %bb.1583:                             ;   in Loop: Header=BB0_1 Depth=1
	s_or_b32 exec_lo, exec_lo, s1
	s_add_co_i32 s4, s2, 0xe2
	s_mov_b32 s1, s3
	s_bfe_u32 s0, s4, 0x100003
	v_dual_mov_b32 v2, s4 :: v_dual_mov_b32 v3, s4
	s_mulk_i32 s0, 0x20c5
	v_dual_mov_b32 v5, s4 :: v_dual_mov_b32 v1, 0
	s_lshr_b32 s0, s0, 20
	s_mov_b32 s5, s3
	s_mulk_i32 s0, 0x3e8
	s_delay_alu instid0(SALU_CYCLE_1) | instskip(NEXT) | instid1(SALU_CYCLE_1)
	s_sub_co_i32 s0, s4, s0
	s_and_b32 s0, s0, 0xffff
	s_delay_alu instid0(SALU_CYCLE_1) | instskip(NEXT) | instid1(SALU_CYCLE_1)
	s_lshl_b32 s0, s0, 12
	v_add_nc_u64_e32 v[6:7], s[0:1], v[10:11]
	v_add_nc_u64_e32 v[14:15], s[0:1], v[12:13]
	s_mov_b32 s1, 0
	global_store_b128 v[6:7], v[2:5], off th:TH_STORE_NT
.LBB0_1584:                             ;   Parent Loop BB0_1 Depth=1
                                        ; =>  This Inner Loop Header: Depth=2
	s_wait_loadcnt 0x0
	global_load_b128 v[6:9], v[14:15], off th:TH_LOAD_NT
	v_add_nc_u32_e32 v1, 1, v1
	s_mov_b32 s0, -1
	s_mov_b32 s7, -1
	s_mov_b32 s12, exec_lo
	s_wait_xcnt 0x0
	v_cmpx_eq_u32_e32 0xf4240, v1
	s_cbranch_execz .LBB0_1586
; %bb.1585:                             ;   in Loop: Header=BB0_1584 Depth=2
	s_wait_loadcnt 0x0
	s_wait_storecnt 0x0
	global_load_b32 v1, v4, s[10:11] scope:SCOPE_SYS
	s_wait_loadcnt 0x0
	global_inv scope:SCOPE_SYS
	v_cmp_eq_u32_e32 vcc_lo, 0, v1
	v_mov_b32_e32 v1, 0
	s_or_not1_b32 s7, vcc_lo, exec_lo
.LBB0_1586:                             ;   in Loop: Header=BB0_1584 Depth=2
	s_wait_xcnt 0x0
	s_or_b32 exec_lo, exec_lo, s12
	s_and_saveexec_b32 s12, s7
	s_cbranch_execz .LBB0_1588
; %bb.1587:                             ;   in Loop: Header=BB0_1584 Depth=2
	s_wait_loadcnt 0x0
	v_cmp_eq_u32_e32 vcc_lo, s4, v7
	v_cmp_eq_u32_e64 s0, s4, v9
	s_and_b32 s0, vcc_lo, s0
	s_delay_alu instid0(SALU_CYCLE_1)
	s_or_not1_b32 s0, s0, exec_lo
.LBB0_1588:                             ;   in Loop: Header=BB0_1584 Depth=2
	s_or_b32 exec_lo, exec_lo, s12
	s_delay_alu instid0(SALU_CYCLE_1) | instskip(NEXT) | instid1(SALU_CYCLE_1)
	s_and_b32 s0, exec_lo, s0
	s_or_b32 s6, s0, s6
	s_delay_alu instid0(SALU_CYCLE_1)
	s_and_not1_b32 exec_lo, exec_lo, s6
	s_cbranch_execnz .LBB0_1584
; %bb.1589:                             ;   in Loop: Header=BB0_1584 Depth=2
	s_or_b32 exec_lo, exec_lo, s6
	s_wait_loadcnt 0x0
	v_dual_mov_b32 v7, v8 :: v_dual_mov_b32 v1, 0
	s_mov_b32 s6, 0
	s_delay_alu instid0(VALU_DEP_1) | instskip(SKIP_1) | instid1(SALU_CYCLE_1)
	v_cmp_eq_u64_e32 vcc_lo, s[4:5], v[6:7]
	s_or_b32 s1, vcc_lo, s1
	s_and_not1_b32 exec_lo, exec_lo, s1
	s_cbranch_execnz .LBB0_1584
; %bb.1590:                             ;   in Loop: Header=BB0_1 Depth=1
	s_or_b32 exec_lo, exec_lo, s1
	s_add_co_i32 s4, s2, 0xe3
	s_mov_b32 s1, s3
	s_bfe_u32 s0, s4, 0x100003
	v_dual_mov_b32 v2, s4 :: v_dual_mov_b32 v3, s4
	s_mulk_i32 s0, 0x20c5
	v_dual_mov_b32 v5, s4 :: v_dual_mov_b32 v1, 0
	s_lshr_b32 s0, s0, 20
	s_mov_b32 s5, s3
	s_mulk_i32 s0, 0x3e8
	s_delay_alu instid0(SALU_CYCLE_1) | instskip(NEXT) | instid1(SALU_CYCLE_1)
	s_sub_co_i32 s0, s4, s0
	s_and_b32 s0, s0, 0xffff
	s_delay_alu instid0(SALU_CYCLE_1) | instskip(NEXT) | instid1(SALU_CYCLE_1)
	s_lshl_b32 s0, s0, 12
	v_add_nc_u64_e32 v[6:7], s[0:1], v[10:11]
	v_add_nc_u64_e32 v[14:15], s[0:1], v[12:13]
	s_mov_b32 s1, 0
	global_store_b128 v[6:7], v[2:5], off th:TH_STORE_NT
.LBB0_1591:                             ;   Parent Loop BB0_1 Depth=1
                                        ; =>  This Inner Loop Header: Depth=2
	s_wait_loadcnt 0x0
	global_load_b128 v[6:9], v[14:15], off th:TH_LOAD_NT
	v_add_nc_u32_e32 v1, 1, v1
	s_mov_b32 s0, -1
	s_mov_b32 s7, -1
	s_mov_b32 s12, exec_lo
	s_wait_xcnt 0x0
	v_cmpx_eq_u32_e32 0xf4240, v1
	s_cbranch_execz .LBB0_1593
; %bb.1592:                             ;   in Loop: Header=BB0_1591 Depth=2
	s_wait_loadcnt 0x0
	s_wait_storecnt 0x0
	global_load_b32 v1, v4, s[10:11] scope:SCOPE_SYS
	s_wait_loadcnt 0x0
	global_inv scope:SCOPE_SYS
	v_cmp_eq_u32_e32 vcc_lo, 0, v1
	v_mov_b32_e32 v1, 0
	s_or_not1_b32 s7, vcc_lo, exec_lo
.LBB0_1593:                             ;   in Loop: Header=BB0_1591 Depth=2
	s_wait_xcnt 0x0
	s_or_b32 exec_lo, exec_lo, s12
	s_and_saveexec_b32 s12, s7
	s_cbranch_execz .LBB0_1595
; %bb.1594:                             ;   in Loop: Header=BB0_1591 Depth=2
	s_wait_loadcnt 0x0
	v_cmp_eq_u32_e32 vcc_lo, s4, v7
	v_cmp_eq_u32_e64 s0, s4, v9
	s_and_b32 s0, vcc_lo, s0
	s_delay_alu instid0(SALU_CYCLE_1)
	s_or_not1_b32 s0, s0, exec_lo
.LBB0_1595:                             ;   in Loop: Header=BB0_1591 Depth=2
	s_or_b32 exec_lo, exec_lo, s12
	s_delay_alu instid0(SALU_CYCLE_1) | instskip(NEXT) | instid1(SALU_CYCLE_1)
	s_and_b32 s0, exec_lo, s0
	s_or_b32 s6, s0, s6
	s_delay_alu instid0(SALU_CYCLE_1)
	s_and_not1_b32 exec_lo, exec_lo, s6
	s_cbranch_execnz .LBB0_1591
; %bb.1596:                             ;   in Loop: Header=BB0_1591 Depth=2
	s_or_b32 exec_lo, exec_lo, s6
	s_wait_loadcnt 0x0
	v_dual_mov_b32 v7, v8 :: v_dual_mov_b32 v1, 0
	s_mov_b32 s6, 0
	s_delay_alu instid0(VALU_DEP_1) | instskip(SKIP_1) | instid1(SALU_CYCLE_1)
	v_cmp_eq_u64_e32 vcc_lo, s[4:5], v[6:7]
	s_or_b32 s1, vcc_lo, s1
	s_and_not1_b32 exec_lo, exec_lo, s1
	s_cbranch_execnz .LBB0_1591
; %bb.1597:                             ;   in Loop: Header=BB0_1 Depth=1
	s_or_b32 exec_lo, exec_lo, s1
	s_add_co_i32 s4, s2, 0xe4
	s_mov_b32 s1, s3
	s_bfe_u32 s0, s4, 0x100003
	v_dual_mov_b32 v2, s4 :: v_dual_mov_b32 v3, s4
	s_mulk_i32 s0, 0x20c5
	v_dual_mov_b32 v5, s4 :: v_dual_mov_b32 v1, 0
	s_lshr_b32 s0, s0, 20
	s_mov_b32 s5, s3
	s_mulk_i32 s0, 0x3e8
	s_delay_alu instid0(SALU_CYCLE_1) | instskip(NEXT) | instid1(SALU_CYCLE_1)
	s_sub_co_i32 s0, s4, s0
	s_and_b32 s0, s0, 0xffff
	s_delay_alu instid0(SALU_CYCLE_1) | instskip(NEXT) | instid1(SALU_CYCLE_1)
	s_lshl_b32 s0, s0, 12
	v_add_nc_u64_e32 v[6:7], s[0:1], v[10:11]
	v_add_nc_u64_e32 v[14:15], s[0:1], v[12:13]
	s_mov_b32 s1, 0
	global_store_b128 v[6:7], v[2:5], off th:TH_STORE_NT
.LBB0_1598:                             ;   Parent Loop BB0_1 Depth=1
                                        ; =>  This Inner Loop Header: Depth=2
	s_wait_loadcnt 0x0
	global_load_b128 v[6:9], v[14:15], off th:TH_LOAD_NT
	v_add_nc_u32_e32 v1, 1, v1
	s_mov_b32 s0, -1
	s_mov_b32 s7, -1
	s_mov_b32 s12, exec_lo
	s_wait_xcnt 0x0
	v_cmpx_eq_u32_e32 0xf4240, v1
	s_cbranch_execz .LBB0_1600
; %bb.1599:                             ;   in Loop: Header=BB0_1598 Depth=2
	s_wait_loadcnt 0x0
	s_wait_storecnt 0x0
	global_load_b32 v1, v4, s[10:11] scope:SCOPE_SYS
	s_wait_loadcnt 0x0
	global_inv scope:SCOPE_SYS
	v_cmp_eq_u32_e32 vcc_lo, 0, v1
	v_mov_b32_e32 v1, 0
	s_or_not1_b32 s7, vcc_lo, exec_lo
.LBB0_1600:                             ;   in Loop: Header=BB0_1598 Depth=2
	s_wait_xcnt 0x0
	s_or_b32 exec_lo, exec_lo, s12
	s_and_saveexec_b32 s12, s7
	s_cbranch_execz .LBB0_1602
; %bb.1601:                             ;   in Loop: Header=BB0_1598 Depth=2
	s_wait_loadcnt 0x0
	v_cmp_eq_u32_e32 vcc_lo, s4, v7
	v_cmp_eq_u32_e64 s0, s4, v9
	s_and_b32 s0, vcc_lo, s0
	s_delay_alu instid0(SALU_CYCLE_1)
	s_or_not1_b32 s0, s0, exec_lo
.LBB0_1602:                             ;   in Loop: Header=BB0_1598 Depth=2
	s_or_b32 exec_lo, exec_lo, s12
	s_delay_alu instid0(SALU_CYCLE_1) | instskip(NEXT) | instid1(SALU_CYCLE_1)
	s_and_b32 s0, exec_lo, s0
	s_or_b32 s6, s0, s6
	s_delay_alu instid0(SALU_CYCLE_1)
	s_and_not1_b32 exec_lo, exec_lo, s6
	s_cbranch_execnz .LBB0_1598
; %bb.1603:                             ;   in Loop: Header=BB0_1598 Depth=2
	s_or_b32 exec_lo, exec_lo, s6
	s_wait_loadcnt 0x0
	v_dual_mov_b32 v7, v8 :: v_dual_mov_b32 v1, 0
	s_mov_b32 s6, 0
	s_delay_alu instid0(VALU_DEP_1) | instskip(SKIP_1) | instid1(SALU_CYCLE_1)
	v_cmp_eq_u64_e32 vcc_lo, s[4:5], v[6:7]
	s_or_b32 s1, vcc_lo, s1
	s_and_not1_b32 exec_lo, exec_lo, s1
	s_cbranch_execnz .LBB0_1598
; %bb.1604:                             ;   in Loop: Header=BB0_1 Depth=1
	s_or_b32 exec_lo, exec_lo, s1
	s_add_co_i32 s4, s2, 0xe5
	s_mov_b32 s1, s3
	s_bfe_u32 s0, s4, 0x100003
	v_dual_mov_b32 v2, s4 :: v_dual_mov_b32 v3, s4
	s_mulk_i32 s0, 0x20c5
	v_dual_mov_b32 v5, s4 :: v_dual_mov_b32 v1, 0
	s_lshr_b32 s0, s0, 20
	s_mov_b32 s5, s3
	s_mulk_i32 s0, 0x3e8
	s_delay_alu instid0(SALU_CYCLE_1) | instskip(NEXT) | instid1(SALU_CYCLE_1)
	s_sub_co_i32 s0, s4, s0
	s_and_b32 s0, s0, 0xffff
	s_delay_alu instid0(SALU_CYCLE_1) | instskip(NEXT) | instid1(SALU_CYCLE_1)
	s_lshl_b32 s0, s0, 12
	v_add_nc_u64_e32 v[6:7], s[0:1], v[10:11]
	v_add_nc_u64_e32 v[14:15], s[0:1], v[12:13]
	s_mov_b32 s1, 0
	global_store_b128 v[6:7], v[2:5], off th:TH_STORE_NT
.LBB0_1605:                             ;   Parent Loop BB0_1 Depth=1
                                        ; =>  This Inner Loop Header: Depth=2
	s_wait_loadcnt 0x0
	global_load_b128 v[6:9], v[14:15], off th:TH_LOAD_NT
	v_add_nc_u32_e32 v1, 1, v1
	s_mov_b32 s0, -1
	s_mov_b32 s7, -1
	s_mov_b32 s12, exec_lo
	s_wait_xcnt 0x0
	v_cmpx_eq_u32_e32 0xf4240, v1
	s_cbranch_execz .LBB0_1607
; %bb.1606:                             ;   in Loop: Header=BB0_1605 Depth=2
	s_wait_loadcnt 0x0
	s_wait_storecnt 0x0
	global_load_b32 v1, v4, s[10:11] scope:SCOPE_SYS
	s_wait_loadcnt 0x0
	global_inv scope:SCOPE_SYS
	v_cmp_eq_u32_e32 vcc_lo, 0, v1
	v_mov_b32_e32 v1, 0
	s_or_not1_b32 s7, vcc_lo, exec_lo
.LBB0_1607:                             ;   in Loop: Header=BB0_1605 Depth=2
	s_wait_xcnt 0x0
	s_or_b32 exec_lo, exec_lo, s12
	s_and_saveexec_b32 s12, s7
	s_cbranch_execz .LBB0_1609
; %bb.1608:                             ;   in Loop: Header=BB0_1605 Depth=2
	s_wait_loadcnt 0x0
	v_cmp_eq_u32_e32 vcc_lo, s4, v7
	v_cmp_eq_u32_e64 s0, s4, v9
	s_and_b32 s0, vcc_lo, s0
	s_delay_alu instid0(SALU_CYCLE_1)
	s_or_not1_b32 s0, s0, exec_lo
.LBB0_1609:                             ;   in Loop: Header=BB0_1605 Depth=2
	s_or_b32 exec_lo, exec_lo, s12
	s_delay_alu instid0(SALU_CYCLE_1) | instskip(NEXT) | instid1(SALU_CYCLE_1)
	s_and_b32 s0, exec_lo, s0
	s_or_b32 s6, s0, s6
	s_delay_alu instid0(SALU_CYCLE_1)
	s_and_not1_b32 exec_lo, exec_lo, s6
	s_cbranch_execnz .LBB0_1605
; %bb.1610:                             ;   in Loop: Header=BB0_1605 Depth=2
	s_or_b32 exec_lo, exec_lo, s6
	s_wait_loadcnt 0x0
	v_dual_mov_b32 v7, v8 :: v_dual_mov_b32 v1, 0
	s_mov_b32 s6, 0
	s_delay_alu instid0(VALU_DEP_1) | instskip(SKIP_1) | instid1(SALU_CYCLE_1)
	v_cmp_eq_u64_e32 vcc_lo, s[4:5], v[6:7]
	s_or_b32 s1, vcc_lo, s1
	s_and_not1_b32 exec_lo, exec_lo, s1
	s_cbranch_execnz .LBB0_1605
; %bb.1611:                             ;   in Loop: Header=BB0_1 Depth=1
	s_or_b32 exec_lo, exec_lo, s1
	s_add_co_i32 s4, s2, 0xe6
	s_mov_b32 s1, s3
	s_bfe_u32 s0, s4, 0x100003
	v_dual_mov_b32 v2, s4 :: v_dual_mov_b32 v3, s4
	s_mulk_i32 s0, 0x20c5
	v_dual_mov_b32 v5, s4 :: v_dual_mov_b32 v1, 0
	s_lshr_b32 s0, s0, 20
	s_mov_b32 s5, s3
	s_mulk_i32 s0, 0x3e8
	s_delay_alu instid0(SALU_CYCLE_1) | instskip(NEXT) | instid1(SALU_CYCLE_1)
	s_sub_co_i32 s0, s4, s0
	s_and_b32 s0, s0, 0xffff
	s_delay_alu instid0(SALU_CYCLE_1) | instskip(NEXT) | instid1(SALU_CYCLE_1)
	s_lshl_b32 s0, s0, 12
	v_add_nc_u64_e32 v[6:7], s[0:1], v[10:11]
	v_add_nc_u64_e32 v[14:15], s[0:1], v[12:13]
	s_mov_b32 s1, 0
	global_store_b128 v[6:7], v[2:5], off th:TH_STORE_NT
.LBB0_1612:                             ;   Parent Loop BB0_1 Depth=1
                                        ; =>  This Inner Loop Header: Depth=2
	s_wait_loadcnt 0x0
	global_load_b128 v[6:9], v[14:15], off th:TH_LOAD_NT
	v_add_nc_u32_e32 v1, 1, v1
	s_mov_b32 s0, -1
	s_mov_b32 s7, -1
	s_mov_b32 s12, exec_lo
	s_wait_xcnt 0x0
	v_cmpx_eq_u32_e32 0xf4240, v1
	s_cbranch_execz .LBB0_1614
; %bb.1613:                             ;   in Loop: Header=BB0_1612 Depth=2
	s_wait_loadcnt 0x0
	s_wait_storecnt 0x0
	global_load_b32 v1, v4, s[10:11] scope:SCOPE_SYS
	s_wait_loadcnt 0x0
	global_inv scope:SCOPE_SYS
	v_cmp_eq_u32_e32 vcc_lo, 0, v1
	v_mov_b32_e32 v1, 0
	s_or_not1_b32 s7, vcc_lo, exec_lo
.LBB0_1614:                             ;   in Loop: Header=BB0_1612 Depth=2
	s_wait_xcnt 0x0
	s_or_b32 exec_lo, exec_lo, s12
	s_and_saveexec_b32 s12, s7
	s_cbranch_execz .LBB0_1616
; %bb.1615:                             ;   in Loop: Header=BB0_1612 Depth=2
	s_wait_loadcnt 0x0
	v_cmp_eq_u32_e32 vcc_lo, s4, v7
	v_cmp_eq_u32_e64 s0, s4, v9
	s_and_b32 s0, vcc_lo, s0
	s_delay_alu instid0(SALU_CYCLE_1)
	s_or_not1_b32 s0, s0, exec_lo
.LBB0_1616:                             ;   in Loop: Header=BB0_1612 Depth=2
	s_or_b32 exec_lo, exec_lo, s12
	s_delay_alu instid0(SALU_CYCLE_1) | instskip(NEXT) | instid1(SALU_CYCLE_1)
	s_and_b32 s0, exec_lo, s0
	s_or_b32 s6, s0, s6
	s_delay_alu instid0(SALU_CYCLE_1)
	s_and_not1_b32 exec_lo, exec_lo, s6
	s_cbranch_execnz .LBB0_1612
; %bb.1617:                             ;   in Loop: Header=BB0_1612 Depth=2
	s_or_b32 exec_lo, exec_lo, s6
	s_wait_loadcnt 0x0
	v_dual_mov_b32 v7, v8 :: v_dual_mov_b32 v1, 0
	s_mov_b32 s6, 0
	s_delay_alu instid0(VALU_DEP_1) | instskip(SKIP_1) | instid1(SALU_CYCLE_1)
	v_cmp_eq_u64_e32 vcc_lo, s[4:5], v[6:7]
	s_or_b32 s1, vcc_lo, s1
	s_and_not1_b32 exec_lo, exec_lo, s1
	s_cbranch_execnz .LBB0_1612
; %bb.1618:                             ;   in Loop: Header=BB0_1 Depth=1
	s_or_b32 exec_lo, exec_lo, s1
	s_add_co_i32 s4, s2, 0xe7
	s_mov_b32 s1, s3
	s_bfe_u32 s0, s4, 0x100003
	v_dual_mov_b32 v2, s4 :: v_dual_mov_b32 v3, s4
	s_mulk_i32 s0, 0x20c5
	v_dual_mov_b32 v5, s4 :: v_dual_mov_b32 v1, 0
	s_lshr_b32 s0, s0, 20
	s_mov_b32 s5, s3
	s_mulk_i32 s0, 0x3e8
	s_delay_alu instid0(SALU_CYCLE_1) | instskip(NEXT) | instid1(SALU_CYCLE_1)
	s_sub_co_i32 s0, s4, s0
	s_and_b32 s0, s0, 0xffff
	s_delay_alu instid0(SALU_CYCLE_1) | instskip(NEXT) | instid1(SALU_CYCLE_1)
	s_lshl_b32 s0, s0, 12
	v_add_nc_u64_e32 v[6:7], s[0:1], v[10:11]
	v_add_nc_u64_e32 v[14:15], s[0:1], v[12:13]
	s_mov_b32 s1, 0
	global_store_b128 v[6:7], v[2:5], off th:TH_STORE_NT
.LBB0_1619:                             ;   Parent Loop BB0_1 Depth=1
                                        ; =>  This Inner Loop Header: Depth=2
	s_wait_loadcnt 0x0
	global_load_b128 v[6:9], v[14:15], off th:TH_LOAD_NT
	v_add_nc_u32_e32 v1, 1, v1
	s_mov_b32 s0, -1
	s_mov_b32 s7, -1
	s_mov_b32 s12, exec_lo
	s_wait_xcnt 0x0
	v_cmpx_eq_u32_e32 0xf4240, v1
	s_cbranch_execz .LBB0_1621
; %bb.1620:                             ;   in Loop: Header=BB0_1619 Depth=2
	s_wait_loadcnt 0x0
	s_wait_storecnt 0x0
	global_load_b32 v1, v4, s[10:11] scope:SCOPE_SYS
	s_wait_loadcnt 0x0
	global_inv scope:SCOPE_SYS
	v_cmp_eq_u32_e32 vcc_lo, 0, v1
	v_mov_b32_e32 v1, 0
	s_or_not1_b32 s7, vcc_lo, exec_lo
.LBB0_1621:                             ;   in Loop: Header=BB0_1619 Depth=2
	s_wait_xcnt 0x0
	s_or_b32 exec_lo, exec_lo, s12
	s_and_saveexec_b32 s12, s7
	s_cbranch_execz .LBB0_1623
; %bb.1622:                             ;   in Loop: Header=BB0_1619 Depth=2
	s_wait_loadcnt 0x0
	v_cmp_eq_u32_e32 vcc_lo, s4, v7
	v_cmp_eq_u32_e64 s0, s4, v9
	s_and_b32 s0, vcc_lo, s0
	s_delay_alu instid0(SALU_CYCLE_1)
	s_or_not1_b32 s0, s0, exec_lo
.LBB0_1623:                             ;   in Loop: Header=BB0_1619 Depth=2
	s_or_b32 exec_lo, exec_lo, s12
	s_delay_alu instid0(SALU_CYCLE_1) | instskip(NEXT) | instid1(SALU_CYCLE_1)
	s_and_b32 s0, exec_lo, s0
	s_or_b32 s6, s0, s6
	s_delay_alu instid0(SALU_CYCLE_1)
	s_and_not1_b32 exec_lo, exec_lo, s6
	s_cbranch_execnz .LBB0_1619
; %bb.1624:                             ;   in Loop: Header=BB0_1619 Depth=2
	s_or_b32 exec_lo, exec_lo, s6
	s_wait_loadcnt 0x0
	v_dual_mov_b32 v7, v8 :: v_dual_mov_b32 v1, 0
	s_mov_b32 s6, 0
	s_delay_alu instid0(VALU_DEP_1) | instskip(SKIP_1) | instid1(SALU_CYCLE_1)
	v_cmp_eq_u64_e32 vcc_lo, s[4:5], v[6:7]
	s_or_b32 s1, vcc_lo, s1
	s_and_not1_b32 exec_lo, exec_lo, s1
	s_cbranch_execnz .LBB0_1619
; %bb.1625:                             ;   in Loop: Header=BB0_1 Depth=1
	s_or_b32 exec_lo, exec_lo, s1
	s_add_co_i32 s4, s2, 0xe8
	s_mov_b32 s1, s3
	s_bfe_u32 s0, s4, 0x100003
	v_dual_mov_b32 v2, s4 :: v_dual_mov_b32 v3, s4
	s_mulk_i32 s0, 0x20c5
	v_dual_mov_b32 v5, s4 :: v_dual_mov_b32 v1, 0
	s_lshr_b32 s0, s0, 20
	s_mov_b32 s5, s3
	s_mulk_i32 s0, 0x3e8
	s_delay_alu instid0(SALU_CYCLE_1) | instskip(NEXT) | instid1(SALU_CYCLE_1)
	s_sub_co_i32 s0, s4, s0
	s_and_b32 s0, s0, 0xffff
	s_delay_alu instid0(SALU_CYCLE_1) | instskip(NEXT) | instid1(SALU_CYCLE_1)
	s_lshl_b32 s0, s0, 12
	v_add_nc_u64_e32 v[6:7], s[0:1], v[10:11]
	v_add_nc_u64_e32 v[14:15], s[0:1], v[12:13]
	s_mov_b32 s1, 0
	global_store_b128 v[6:7], v[2:5], off th:TH_STORE_NT
.LBB0_1626:                             ;   Parent Loop BB0_1 Depth=1
                                        ; =>  This Inner Loop Header: Depth=2
	s_wait_loadcnt 0x0
	global_load_b128 v[6:9], v[14:15], off th:TH_LOAD_NT
	v_add_nc_u32_e32 v1, 1, v1
	s_mov_b32 s0, -1
	s_mov_b32 s7, -1
	s_mov_b32 s12, exec_lo
	s_wait_xcnt 0x0
	v_cmpx_eq_u32_e32 0xf4240, v1
	s_cbranch_execz .LBB0_1628
; %bb.1627:                             ;   in Loop: Header=BB0_1626 Depth=2
	s_wait_loadcnt 0x0
	s_wait_storecnt 0x0
	global_load_b32 v1, v4, s[10:11] scope:SCOPE_SYS
	s_wait_loadcnt 0x0
	global_inv scope:SCOPE_SYS
	v_cmp_eq_u32_e32 vcc_lo, 0, v1
	v_mov_b32_e32 v1, 0
	s_or_not1_b32 s7, vcc_lo, exec_lo
.LBB0_1628:                             ;   in Loop: Header=BB0_1626 Depth=2
	s_wait_xcnt 0x0
	s_or_b32 exec_lo, exec_lo, s12
	s_and_saveexec_b32 s12, s7
	s_cbranch_execz .LBB0_1630
; %bb.1629:                             ;   in Loop: Header=BB0_1626 Depth=2
	s_wait_loadcnt 0x0
	v_cmp_eq_u32_e32 vcc_lo, s4, v7
	v_cmp_eq_u32_e64 s0, s4, v9
	s_and_b32 s0, vcc_lo, s0
	s_delay_alu instid0(SALU_CYCLE_1)
	s_or_not1_b32 s0, s0, exec_lo
.LBB0_1630:                             ;   in Loop: Header=BB0_1626 Depth=2
	s_or_b32 exec_lo, exec_lo, s12
	s_delay_alu instid0(SALU_CYCLE_1) | instskip(NEXT) | instid1(SALU_CYCLE_1)
	s_and_b32 s0, exec_lo, s0
	s_or_b32 s6, s0, s6
	s_delay_alu instid0(SALU_CYCLE_1)
	s_and_not1_b32 exec_lo, exec_lo, s6
	s_cbranch_execnz .LBB0_1626
; %bb.1631:                             ;   in Loop: Header=BB0_1626 Depth=2
	s_or_b32 exec_lo, exec_lo, s6
	s_wait_loadcnt 0x0
	v_dual_mov_b32 v7, v8 :: v_dual_mov_b32 v1, 0
	s_mov_b32 s6, 0
	s_delay_alu instid0(VALU_DEP_1) | instskip(SKIP_1) | instid1(SALU_CYCLE_1)
	v_cmp_eq_u64_e32 vcc_lo, s[4:5], v[6:7]
	s_or_b32 s1, vcc_lo, s1
	s_and_not1_b32 exec_lo, exec_lo, s1
	s_cbranch_execnz .LBB0_1626
; %bb.1632:                             ;   in Loop: Header=BB0_1 Depth=1
	s_or_b32 exec_lo, exec_lo, s1
	s_add_co_i32 s4, s2, 0xe9
	s_mov_b32 s1, s3
	s_bfe_u32 s0, s4, 0x100003
	v_dual_mov_b32 v2, s4 :: v_dual_mov_b32 v3, s4
	s_mulk_i32 s0, 0x20c5
	v_dual_mov_b32 v5, s4 :: v_dual_mov_b32 v1, 0
	s_lshr_b32 s0, s0, 20
	s_mov_b32 s5, s3
	s_mulk_i32 s0, 0x3e8
	s_delay_alu instid0(SALU_CYCLE_1) | instskip(NEXT) | instid1(SALU_CYCLE_1)
	s_sub_co_i32 s0, s4, s0
	s_and_b32 s0, s0, 0xffff
	s_delay_alu instid0(SALU_CYCLE_1) | instskip(NEXT) | instid1(SALU_CYCLE_1)
	s_lshl_b32 s0, s0, 12
	v_add_nc_u64_e32 v[6:7], s[0:1], v[10:11]
	v_add_nc_u64_e32 v[14:15], s[0:1], v[12:13]
	s_mov_b32 s1, 0
	global_store_b128 v[6:7], v[2:5], off th:TH_STORE_NT
.LBB0_1633:                             ;   Parent Loop BB0_1 Depth=1
                                        ; =>  This Inner Loop Header: Depth=2
	s_wait_loadcnt 0x0
	global_load_b128 v[6:9], v[14:15], off th:TH_LOAD_NT
	v_add_nc_u32_e32 v1, 1, v1
	s_mov_b32 s0, -1
	s_mov_b32 s7, -1
	s_mov_b32 s12, exec_lo
	s_wait_xcnt 0x0
	v_cmpx_eq_u32_e32 0xf4240, v1
	s_cbranch_execz .LBB0_1635
; %bb.1634:                             ;   in Loop: Header=BB0_1633 Depth=2
	s_wait_loadcnt 0x0
	s_wait_storecnt 0x0
	global_load_b32 v1, v4, s[10:11] scope:SCOPE_SYS
	s_wait_loadcnt 0x0
	global_inv scope:SCOPE_SYS
	v_cmp_eq_u32_e32 vcc_lo, 0, v1
	v_mov_b32_e32 v1, 0
	s_or_not1_b32 s7, vcc_lo, exec_lo
.LBB0_1635:                             ;   in Loop: Header=BB0_1633 Depth=2
	s_wait_xcnt 0x0
	s_or_b32 exec_lo, exec_lo, s12
	s_and_saveexec_b32 s12, s7
	s_cbranch_execz .LBB0_1637
; %bb.1636:                             ;   in Loop: Header=BB0_1633 Depth=2
	s_wait_loadcnt 0x0
	v_cmp_eq_u32_e32 vcc_lo, s4, v7
	v_cmp_eq_u32_e64 s0, s4, v9
	s_and_b32 s0, vcc_lo, s0
	s_delay_alu instid0(SALU_CYCLE_1)
	s_or_not1_b32 s0, s0, exec_lo
.LBB0_1637:                             ;   in Loop: Header=BB0_1633 Depth=2
	s_or_b32 exec_lo, exec_lo, s12
	s_delay_alu instid0(SALU_CYCLE_1) | instskip(NEXT) | instid1(SALU_CYCLE_1)
	s_and_b32 s0, exec_lo, s0
	s_or_b32 s6, s0, s6
	s_delay_alu instid0(SALU_CYCLE_1)
	s_and_not1_b32 exec_lo, exec_lo, s6
	s_cbranch_execnz .LBB0_1633
; %bb.1638:                             ;   in Loop: Header=BB0_1633 Depth=2
	s_or_b32 exec_lo, exec_lo, s6
	s_wait_loadcnt 0x0
	v_dual_mov_b32 v7, v8 :: v_dual_mov_b32 v1, 0
	s_mov_b32 s6, 0
	s_delay_alu instid0(VALU_DEP_1) | instskip(SKIP_1) | instid1(SALU_CYCLE_1)
	v_cmp_eq_u64_e32 vcc_lo, s[4:5], v[6:7]
	s_or_b32 s1, vcc_lo, s1
	s_and_not1_b32 exec_lo, exec_lo, s1
	s_cbranch_execnz .LBB0_1633
; %bb.1639:                             ;   in Loop: Header=BB0_1 Depth=1
	s_or_b32 exec_lo, exec_lo, s1
	s_add_co_i32 s4, s2, 0xea
	s_mov_b32 s1, s3
	s_bfe_u32 s0, s4, 0x100003
	v_dual_mov_b32 v2, s4 :: v_dual_mov_b32 v3, s4
	s_mulk_i32 s0, 0x20c5
	v_dual_mov_b32 v5, s4 :: v_dual_mov_b32 v1, 0
	s_lshr_b32 s0, s0, 20
	s_mov_b32 s5, s3
	s_mulk_i32 s0, 0x3e8
	s_delay_alu instid0(SALU_CYCLE_1) | instskip(NEXT) | instid1(SALU_CYCLE_1)
	s_sub_co_i32 s0, s4, s0
	s_and_b32 s0, s0, 0xffff
	s_delay_alu instid0(SALU_CYCLE_1) | instskip(NEXT) | instid1(SALU_CYCLE_1)
	s_lshl_b32 s0, s0, 12
	v_add_nc_u64_e32 v[6:7], s[0:1], v[10:11]
	v_add_nc_u64_e32 v[14:15], s[0:1], v[12:13]
	s_mov_b32 s1, 0
	global_store_b128 v[6:7], v[2:5], off th:TH_STORE_NT
.LBB0_1640:                             ;   Parent Loop BB0_1 Depth=1
                                        ; =>  This Inner Loop Header: Depth=2
	s_wait_loadcnt 0x0
	global_load_b128 v[6:9], v[14:15], off th:TH_LOAD_NT
	v_add_nc_u32_e32 v1, 1, v1
	s_mov_b32 s0, -1
	s_mov_b32 s7, -1
	s_mov_b32 s12, exec_lo
	s_wait_xcnt 0x0
	v_cmpx_eq_u32_e32 0xf4240, v1
	s_cbranch_execz .LBB0_1642
; %bb.1641:                             ;   in Loop: Header=BB0_1640 Depth=2
	s_wait_loadcnt 0x0
	s_wait_storecnt 0x0
	global_load_b32 v1, v4, s[10:11] scope:SCOPE_SYS
	s_wait_loadcnt 0x0
	global_inv scope:SCOPE_SYS
	v_cmp_eq_u32_e32 vcc_lo, 0, v1
	v_mov_b32_e32 v1, 0
	s_or_not1_b32 s7, vcc_lo, exec_lo
.LBB0_1642:                             ;   in Loop: Header=BB0_1640 Depth=2
	s_wait_xcnt 0x0
	s_or_b32 exec_lo, exec_lo, s12
	s_and_saveexec_b32 s12, s7
	s_cbranch_execz .LBB0_1644
; %bb.1643:                             ;   in Loop: Header=BB0_1640 Depth=2
	s_wait_loadcnt 0x0
	v_cmp_eq_u32_e32 vcc_lo, s4, v7
	v_cmp_eq_u32_e64 s0, s4, v9
	s_and_b32 s0, vcc_lo, s0
	s_delay_alu instid0(SALU_CYCLE_1)
	s_or_not1_b32 s0, s0, exec_lo
.LBB0_1644:                             ;   in Loop: Header=BB0_1640 Depth=2
	s_or_b32 exec_lo, exec_lo, s12
	s_delay_alu instid0(SALU_CYCLE_1) | instskip(NEXT) | instid1(SALU_CYCLE_1)
	s_and_b32 s0, exec_lo, s0
	s_or_b32 s6, s0, s6
	s_delay_alu instid0(SALU_CYCLE_1)
	s_and_not1_b32 exec_lo, exec_lo, s6
	s_cbranch_execnz .LBB0_1640
; %bb.1645:                             ;   in Loop: Header=BB0_1640 Depth=2
	s_or_b32 exec_lo, exec_lo, s6
	s_wait_loadcnt 0x0
	v_dual_mov_b32 v7, v8 :: v_dual_mov_b32 v1, 0
	s_mov_b32 s6, 0
	s_delay_alu instid0(VALU_DEP_1) | instskip(SKIP_1) | instid1(SALU_CYCLE_1)
	v_cmp_eq_u64_e32 vcc_lo, s[4:5], v[6:7]
	s_or_b32 s1, vcc_lo, s1
	s_and_not1_b32 exec_lo, exec_lo, s1
	s_cbranch_execnz .LBB0_1640
; %bb.1646:                             ;   in Loop: Header=BB0_1 Depth=1
	s_or_b32 exec_lo, exec_lo, s1
	s_add_co_i32 s4, s2, 0xeb
	s_mov_b32 s1, s3
	s_bfe_u32 s0, s4, 0x100003
	v_dual_mov_b32 v2, s4 :: v_dual_mov_b32 v3, s4
	s_mulk_i32 s0, 0x20c5
	v_dual_mov_b32 v5, s4 :: v_dual_mov_b32 v1, 0
	s_lshr_b32 s0, s0, 20
	s_mov_b32 s5, s3
	s_mulk_i32 s0, 0x3e8
	s_delay_alu instid0(SALU_CYCLE_1) | instskip(NEXT) | instid1(SALU_CYCLE_1)
	s_sub_co_i32 s0, s4, s0
	s_and_b32 s0, s0, 0xffff
	s_delay_alu instid0(SALU_CYCLE_1) | instskip(NEXT) | instid1(SALU_CYCLE_1)
	s_lshl_b32 s0, s0, 12
	v_add_nc_u64_e32 v[6:7], s[0:1], v[10:11]
	v_add_nc_u64_e32 v[14:15], s[0:1], v[12:13]
	s_mov_b32 s1, 0
	global_store_b128 v[6:7], v[2:5], off th:TH_STORE_NT
.LBB0_1647:                             ;   Parent Loop BB0_1 Depth=1
                                        ; =>  This Inner Loop Header: Depth=2
	s_wait_loadcnt 0x0
	global_load_b128 v[6:9], v[14:15], off th:TH_LOAD_NT
	v_add_nc_u32_e32 v1, 1, v1
	s_mov_b32 s0, -1
	s_mov_b32 s7, -1
	s_mov_b32 s12, exec_lo
	s_wait_xcnt 0x0
	v_cmpx_eq_u32_e32 0xf4240, v1
	s_cbranch_execz .LBB0_1649
; %bb.1648:                             ;   in Loop: Header=BB0_1647 Depth=2
	s_wait_loadcnt 0x0
	s_wait_storecnt 0x0
	global_load_b32 v1, v4, s[10:11] scope:SCOPE_SYS
	s_wait_loadcnt 0x0
	global_inv scope:SCOPE_SYS
	v_cmp_eq_u32_e32 vcc_lo, 0, v1
	v_mov_b32_e32 v1, 0
	s_or_not1_b32 s7, vcc_lo, exec_lo
.LBB0_1649:                             ;   in Loop: Header=BB0_1647 Depth=2
	s_wait_xcnt 0x0
	s_or_b32 exec_lo, exec_lo, s12
	s_and_saveexec_b32 s12, s7
	s_cbranch_execz .LBB0_1651
; %bb.1650:                             ;   in Loop: Header=BB0_1647 Depth=2
	s_wait_loadcnt 0x0
	v_cmp_eq_u32_e32 vcc_lo, s4, v7
	v_cmp_eq_u32_e64 s0, s4, v9
	s_and_b32 s0, vcc_lo, s0
	s_delay_alu instid0(SALU_CYCLE_1)
	s_or_not1_b32 s0, s0, exec_lo
.LBB0_1651:                             ;   in Loop: Header=BB0_1647 Depth=2
	s_or_b32 exec_lo, exec_lo, s12
	s_delay_alu instid0(SALU_CYCLE_1) | instskip(NEXT) | instid1(SALU_CYCLE_1)
	s_and_b32 s0, exec_lo, s0
	s_or_b32 s6, s0, s6
	s_delay_alu instid0(SALU_CYCLE_1)
	s_and_not1_b32 exec_lo, exec_lo, s6
	s_cbranch_execnz .LBB0_1647
; %bb.1652:                             ;   in Loop: Header=BB0_1647 Depth=2
	s_or_b32 exec_lo, exec_lo, s6
	s_wait_loadcnt 0x0
	v_dual_mov_b32 v7, v8 :: v_dual_mov_b32 v1, 0
	s_mov_b32 s6, 0
	s_delay_alu instid0(VALU_DEP_1) | instskip(SKIP_1) | instid1(SALU_CYCLE_1)
	v_cmp_eq_u64_e32 vcc_lo, s[4:5], v[6:7]
	s_or_b32 s1, vcc_lo, s1
	s_and_not1_b32 exec_lo, exec_lo, s1
	s_cbranch_execnz .LBB0_1647
; %bb.1653:                             ;   in Loop: Header=BB0_1 Depth=1
	s_or_b32 exec_lo, exec_lo, s1
	s_add_co_i32 s4, s2, 0xec
	s_mov_b32 s1, s3
	s_bfe_u32 s0, s4, 0x100003
	v_dual_mov_b32 v2, s4 :: v_dual_mov_b32 v3, s4
	s_mulk_i32 s0, 0x20c5
	v_dual_mov_b32 v5, s4 :: v_dual_mov_b32 v1, 0
	s_lshr_b32 s0, s0, 20
	s_mov_b32 s5, s3
	s_mulk_i32 s0, 0x3e8
	s_delay_alu instid0(SALU_CYCLE_1) | instskip(NEXT) | instid1(SALU_CYCLE_1)
	s_sub_co_i32 s0, s4, s0
	s_and_b32 s0, s0, 0xffff
	s_delay_alu instid0(SALU_CYCLE_1) | instskip(NEXT) | instid1(SALU_CYCLE_1)
	s_lshl_b32 s0, s0, 12
	v_add_nc_u64_e32 v[6:7], s[0:1], v[10:11]
	v_add_nc_u64_e32 v[14:15], s[0:1], v[12:13]
	s_mov_b32 s1, 0
	global_store_b128 v[6:7], v[2:5], off th:TH_STORE_NT
.LBB0_1654:                             ;   Parent Loop BB0_1 Depth=1
                                        ; =>  This Inner Loop Header: Depth=2
	s_wait_loadcnt 0x0
	global_load_b128 v[6:9], v[14:15], off th:TH_LOAD_NT
	v_add_nc_u32_e32 v1, 1, v1
	s_mov_b32 s0, -1
	s_mov_b32 s7, -1
	s_mov_b32 s12, exec_lo
	s_wait_xcnt 0x0
	v_cmpx_eq_u32_e32 0xf4240, v1
	s_cbranch_execz .LBB0_1656
; %bb.1655:                             ;   in Loop: Header=BB0_1654 Depth=2
	s_wait_loadcnt 0x0
	s_wait_storecnt 0x0
	global_load_b32 v1, v4, s[10:11] scope:SCOPE_SYS
	s_wait_loadcnt 0x0
	global_inv scope:SCOPE_SYS
	v_cmp_eq_u32_e32 vcc_lo, 0, v1
	v_mov_b32_e32 v1, 0
	s_or_not1_b32 s7, vcc_lo, exec_lo
.LBB0_1656:                             ;   in Loop: Header=BB0_1654 Depth=2
	s_wait_xcnt 0x0
	s_or_b32 exec_lo, exec_lo, s12
	s_and_saveexec_b32 s12, s7
	s_cbranch_execz .LBB0_1658
; %bb.1657:                             ;   in Loop: Header=BB0_1654 Depth=2
	s_wait_loadcnt 0x0
	v_cmp_eq_u32_e32 vcc_lo, s4, v7
	v_cmp_eq_u32_e64 s0, s4, v9
	s_and_b32 s0, vcc_lo, s0
	s_delay_alu instid0(SALU_CYCLE_1)
	s_or_not1_b32 s0, s0, exec_lo
.LBB0_1658:                             ;   in Loop: Header=BB0_1654 Depth=2
	s_or_b32 exec_lo, exec_lo, s12
	s_delay_alu instid0(SALU_CYCLE_1) | instskip(NEXT) | instid1(SALU_CYCLE_1)
	s_and_b32 s0, exec_lo, s0
	s_or_b32 s6, s0, s6
	s_delay_alu instid0(SALU_CYCLE_1)
	s_and_not1_b32 exec_lo, exec_lo, s6
	s_cbranch_execnz .LBB0_1654
; %bb.1659:                             ;   in Loop: Header=BB0_1654 Depth=2
	s_or_b32 exec_lo, exec_lo, s6
	s_wait_loadcnt 0x0
	v_dual_mov_b32 v7, v8 :: v_dual_mov_b32 v1, 0
	s_mov_b32 s6, 0
	s_delay_alu instid0(VALU_DEP_1) | instskip(SKIP_1) | instid1(SALU_CYCLE_1)
	v_cmp_eq_u64_e32 vcc_lo, s[4:5], v[6:7]
	s_or_b32 s1, vcc_lo, s1
	s_and_not1_b32 exec_lo, exec_lo, s1
	s_cbranch_execnz .LBB0_1654
; %bb.1660:                             ;   in Loop: Header=BB0_1 Depth=1
	s_or_b32 exec_lo, exec_lo, s1
	s_add_co_i32 s4, s2, 0xed
	s_mov_b32 s1, s3
	s_bfe_u32 s0, s4, 0x100003
	v_dual_mov_b32 v2, s4 :: v_dual_mov_b32 v3, s4
	s_mulk_i32 s0, 0x20c5
	v_dual_mov_b32 v5, s4 :: v_dual_mov_b32 v1, 0
	s_lshr_b32 s0, s0, 20
	s_mov_b32 s5, s3
	s_mulk_i32 s0, 0x3e8
	s_delay_alu instid0(SALU_CYCLE_1) | instskip(NEXT) | instid1(SALU_CYCLE_1)
	s_sub_co_i32 s0, s4, s0
	s_and_b32 s0, s0, 0xffff
	s_delay_alu instid0(SALU_CYCLE_1) | instskip(NEXT) | instid1(SALU_CYCLE_1)
	s_lshl_b32 s0, s0, 12
	v_add_nc_u64_e32 v[6:7], s[0:1], v[10:11]
	v_add_nc_u64_e32 v[14:15], s[0:1], v[12:13]
	s_mov_b32 s1, 0
	global_store_b128 v[6:7], v[2:5], off th:TH_STORE_NT
.LBB0_1661:                             ;   Parent Loop BB0_1 Depth=1
                                        ; =>  This Inner Loop Header: Depth=2
	s_wait_loadcnt 0x0
	global_load_b128 v[6:9], v[14:15], off th:TH_LOAD_NT
	v_add_nc_u32_e32 v1, 1, v1
	s_mov_b32 s0, -1
	s_mov_b32 s7, -1
	s_mov_b32 s12, exec_lo
	s_wait_xcnt 0x0
	v_cmpx_eq_u32_e32 0xf4240, v1
	s_cbranch_execz .LBB0_1663
; %bb.1662:                             ;   in Loop: Header=BB0_1661 Depth=2
	s_wait_loadcnt 0x0
	s_wait_storecnt 0x0
	global_load_b32 v1, v4, s[10:11] scope:SCOPE_SYS
	s_wait_loadcnt 0x0
	global_inv scope:SCOPE_SYS
	v_cmp_eq_u32_e32 vcc_lo, 0, v1
	v_mov_b32_e32 v1, 0
	s_or_not1_b32 s7, vcc_lo, exec_lo
.LBB0_1663:                             ;   in Loop: Header=BB0_1661 Depth=2
	s_wait_xcnt 0x0
	s_or_b32 exec_lo, exec_lo, s12
	s_and_saveexec_b32 s12, s7
	s_cbranch_execz .LBB0_1665
; %bb.1664:                             ;   in Loop: Header=BB0_1661 Depth=2
	s_wait_loadcnt 0x0
	v_cmp_eq_u32_e32 vcc_lo, s4, v7
	v_cmp_eq_u32_e64 s0, s4, v9
	s_and_b32 s0, vcc_lo, s0
	s_delay_alu instid0(SALU_CYCLE_1)
	s_or_not1_b32 s0, s0, exec_lo
.LBB0_1665:                             ;   in Loop: Header=BB0_1661 Depth=2
	s_or_b32 exec_lo, exec_lo, s12
	s_delay_alu instid0(SALU_CYCLE_1) | instskip(NEXT) | instid1(SALU_CYCLE_1)
	s_and_b32 s0, exec_lo, s0
	s_or_b32 s6, s0, s6
	s_delay_alu instid0(SALU_CYCLE_1)
	s_and_not1_b32 exec_lo, exec_lo, s6
	s_cbranch_execnz .LBB0_1661
; %bb.1666:                             ;   in Loop: Header=BB0_1661 Depth=2
	s_or_b32 exec_lo, exec_lo, s6
	s_wait_loadcnt 0x0
	v_dual_mov_b32 v7, v8 :: v_dual_mov_b32 v1, 0
	s_mov_b32 s6, 0
	s_delay_alu instid0(VALU_DEP_1) | instskip(SKIP_1) | instid1(SALU_CYCLE_1)
	v_cmp_eq_u64_e32 vcc_lo, s[4:5], v[6:7]
	s_or_b32 s1, vcc_lo, s1
	s_and_not1_b32 exec_lo, exec_lo, s1
	s_cbranch_execnz .LBB0_1661
; %bb.1667:                             ;   in Loop: Header=BB0_1 Depth=1
	s_or_b32 exec_lo, exec_lo, s1
	s_add_co_i32 s4, s2, 0xee
	s_mov_b32 s1, s3
	s_bfe_u32 s0, s4, 0x100003
	v_dual_mov_b32 v2, s4 :: v_dual_mov_b32 v3, s4
	s_mulk_i32 s0, 0x20c5
	v_dual_mov_b32 v5, s4 :: v_dual_mov_b32 v1, 0
	s_lshr_b32 s0, s0, 20
	s_mov_b32 s5, s3
	s_mulk_i32 s0, 0x3e8
	s_delay_alu instid0(SALU_CYCLE_1) | instskip(NEXT) | instid1(SALU_CYCLE_1)
	s_sub_co_i32 s0, s4, s0
	s_and_b32 s0, s0, 0xffff
	s_delay_alu instid0(SALU_CYCLE_1) | instskip(NEXT) | instid1(SALU_CYCLE_1)
	s_lshl_b32 s0, s0, 12
	v_add_nc_u64_e32 v[6:7], s[0:1], v[10:11]
	v_add_nc_u64_e32 v[14:15], s[0:1], v[12:13]
	s_mov_b32 s1, 0
	global_store_b128 v[6:7], v[2:5], off th:TH_STORE_NT
.LBB0_1668:                             ;   Parent Loop BB0_1 Depth=1
                                        ; =>  This Inner Loop Header: Depth=2
	s_wait_loadcnt 0x0
	global_load_b128 v[6:9], v[14:15], off th:TH_LOAD_NT
	v_add_nc_u32_e32 v1, 1, v1
	s_mov_b32 s0, -1
	s_mov_b32 s7, -1
	s_mov_b32 s12, exec_lo
	s_wait_xcnt 0x0
	v_cmpx_eq_u32_e32 0xf4240, v1
	s_cbranch_execz .LBB0_1670
; %bb.1669:                             ;   in Loop: Header=BB0_1668 Depth=2
	s_wait_loadcnt 0x0
	s_wait_storecnt 0x0
	global_load_b32 v1, v4, s[10:11] scope:SCOPE_SYS
	s_wait_loadcnt 0x0
	global_inv scope:SCOPE_SYS
	v_cmp_eq_u32_e32 vcc_lo, 0, v1
	v_mov_b32_e32 v1, 0
	s_or_not1_b32 s7, vcc_lo, exec_lo
.LBB0_1670:                             ;   in Loop: Header=BB0_1668 Depth=2
	s_wait_xcnt 0x0
	s_or_b32 exec_lo, exec_lo, s12
	s_and_saveexec_b32 s12, s7
	s_cbranch_execz .LBB0_1672
; %bb.1671:                             ;   in Loop: Header=BB0_1668 Depth=2
	s_wait_loadcnt 0x0
	v_cmp_eq_u32_e32 vcc_lo, s4, v7
	v_cmp_eq_u32_e64 s0, s4, v9
	s_and_b32 s0, vcc_lo, s0
	s_delay_alu instid0(SALU_CYCLE_1)
	s_or_not1_b32 s0, s0, exec_lo
.LBB0_1672:                             ;   in Loop: Header=BB0_1668 Depth=2
	s_or_b32 exec_lo, exec_lo, s12
	s_delay_alu instid0(SALU_CYCLE_1) | instskip(NEXT) | instid1(SALU_CYCLE_1)
	s_and_b32 s0, exec_lo, s0
	s_or_b32 s6, s0, s6
	s_delay_alu instid0(SALU_CYCLE_1)
	s_and_not1_b32 exec_lo, exec_lo, s6
	s_cbranch_execnz .LBB0_1668
; %bb.1673:                             ;   in Loop: Header=BB0_1668 Depth=2
	s_or_b32 exec_lo, exec_lo, s6
	s_wait_loadcnt 0x0
	v_dual_mov_b32 v7, v8 :: v_dual_mov_b32 v1, 0
	s_mov_b32 s6, 0
	s_delay_alu instid0(VALU_DEP_1) | instskip(SKIP_1) | instid1(SALU_CYCLE_1)
	v_cmp_eq_u64_e32 vcc_lo, s[4:5], v[6:7]
	s_or_b32 s1, vcc_lo, s1
	s_and_not1_b32 exec_lo, exec_lo, s1
	s_cbranch_execnz .LBB0_1668
; %bb.1674:                             ;   in Loop: Header=BB0_1 Depth=1
	s_or_b32 exec_lo, exec_lo, s1
	s_add_co_i32 s4, s2, 0xef
	s_mov_b32 s1, s3
	s_bfe_u32 s0, s4, 0x100003
	v_dual_mov_b32 v2, s4 :: v_dual_mov_b32 v3, s4
	s_mulk_i32 s0, 0x20c5
	v_dual_mov_b32 v5, s4 :: v_dual_mov_b32 v1, 0
	s_lshr_b32 s0, s0, 20
	s_mov_b32 s5, s3
	s_mulk_i32 s0, 0x3e8
	s_delay_alu instid0(SALU_CYCLE_1) | instskip(NEXT) | instid1(SALU_CYCLE_1)
	s_sub_co_i32 s0, s4, s0
	s_and_b32 s0, s0, 0xffff
	s_delay_alu instid0(SALU_CYCLE_1) | instskip(NEXT) | instid1(SALU_CYCLE_1)
	s_lshl_b32 s0, s0, 12
	v_add_nc_u64_e32 v[6:7], s[0:1], v[10:11]
	v_add_nc_u64_e32 v[14:15], s[0:1], v[12:13]
	s_mov_b32 s1, 0
	global_store_b128 v[6:7], v[2:5], off th:TH_STORE_NT
.LBB0_1675:                             ;   Parent Loop BB0_1 Depth=1
                                        ; =>  This Inner Loop Header: Depth=2
	s_wait_loadcnt 0x0
	global_load_b128 v[6:9], v[14:15], off th:TH_LOAD_NT
	v_add_nc_u32_e32 v1, 1, v1
	s_mov_b32 s0, -1
	s_mov_b32 s7, -1
	s_mov_b32 s12, exec_lo
	s_wait_xcnt 0x0
	v_cmpx_eq_u32_e32 0xf4240, v1
	s_cbranch_execz .LBB0_1677
; %bb.1676:                             ;   in Loop: Header=BB0_1675 Depth=2
	s_wait_loadcnt 0x0
	s_wait_storecnt 0x0
	global_load_b32 v1, v4, s[10:11] scope:SCOPE_SYS
	s_wait_loadcnt 0x0
	global_inv scope:SCOPE_SYS
	v_cmp_eq_u32_e32 vcc_lo, 0, v1
	v_mov_b32_e32 v1, 0
	s_or_not1_b32 s7, vcc_lo, exec_lo
.LBB0_1677:                             ;   in Loop: Header=BB0_1675 Depth=2
	s_wait_xcnt 0x0
	s_or_b32 exec_lo, exec_lo, s12
	s_and_saveexec_b32 s12, s7
	s_cbranch_execz .LBB0_1679
; %bb.1678:                             ;   in Loop: Header=BB0_1675 Depth=2
	s_wait_loadcnt 0x0
	v_cmp_eq_u32_e32 vcc_lo, s4, v7
	v_cmp_eq_u32_e64 s0, s4, v9
	s_and_b32 s0, vcc_lo, s0
	s_delay_alu instid0(SALU_CYCLE_1)
	s_or_not1_b32 s0, s0, exec_lo
.LBB0_1679:                             ;   in Loop: Header=BB0_1675 Depth=2
	s_or_b32 exec_lo, exec_lo, s12
	s_delay_alu instid0(SALU_CYCLE_1) | instskip(NEXT) | instid1(SALU_CYCLE_1)
	s_and_b32 s0, exec_lo, s0
	s_or_b32 s6, s0, s6
	s_delay_alu instid0(SALU_CYCLE_1)
	s_and_not1_b32 exec_lo, exec_lo, s6
	s_cbranch_execnz .LBB0_1675
; %bb.1680:                             ;   in Loop: Header=BB0_1675 Depth=2
	s_or_b32 exec_lo, exec_lo, s6
	s_wait_loadcnt 0x0
	v_dual_mov_b32 v7, v8 :: v_dual_mov_b32 v1, 0
	s_mov_b32 s6, 0
	s_delay_alu instid0(VALU_DEP_1) | instskip(SKIP_1) | instid1(SALU_CYCLE_1)
	v_cmp_eq_u64_e32 vcc_lo, s[4:5], v[6:7]
	s_or_b32 s1, vcc_lo, s1
	s_and_not1_b32 exec_lo, exec_lo, s1
	s_cbranch_execnz .LBB0_1675
; %bb.1681:                             ;   in Loop: Header=BB0_1 Depth=1
	s_or_b32 exec_lo, exec_lo, s1
	s_add_co_i32 s4, s2, 0xf0
	s_mov_b32 s1, s3
	s_bfe_u32 s0, s4, 0x100003
	v_dual_mov_b32 v2, s4 :: v_dual_mov_b32 v3, s4
	s_mulk_i32 s0, 0x20c5
	v_dual_mov_b32 v5, s4 :: v_dual_mov_b32 v1, 0
	s_lshr_b32 s0, s0, 20
	s_mov_b32 s5, s3
	s_mulk_i32 s0, 0x3e8
	s_delay_alu instid0(SALU_CYCLE_1) | instskip(NEXT) | instid1(SALU_CYCLE_1)
	s_sub_co_i32 s0, s4, s0
	s_and_b32 s0, s0, 0xffff
	s_delay_alu instid0(SALU_CYCLE_1) | instskip(NEXT) | instid1(SALU_CYCLE_1)
	s_lshl_b32 s0, s0, 12
	v_add_nc_u64_e32 v[6:7], s[0:1], v[10:11]
	v_add_nc_u64_e32 v[14:15], s[0:1], v[12:13]
	s_mov_b32 s1, 0
	global_store_b128 v[6:7], v[2:5], off th:TH_STORE_NT
.LBB0_1682:                             ;   Parent Loop BB0_1 Depth=1
                                        ; =>  This Inner Loop Header: Depth=2
	s_wait_loadcnt 0x0
	global_load_b128 v[6:9], v[14:15], off th:TH_LOAD_NT
	v_add_nc_u32_e32 v1, 1, v1
	s_mov_b32 s0, -1
	s_mov_b32 s7, -1
	s_mov_b32 s12, exec_lo
	s_wait_xcnt 0x0
	v_cmpx_eq_u32_e32 0xf4240, v1
	s_cbranch_execz .LBB0_1684
; %bb.1683:                             ;   in Loop: Header=BB0_1682 Depth=2
	s_wait_loadcnt 0x0
	s_wait_storecnt 0x0
	global_load_b32 v1, v4, s[10:11] scope:SCOPE_SYS
	s_wait_loadcnt 0x0
	global_inv scope:SCOPE_SYS
	v_cmp_eq_u32_e32 vcc_lo, 0, v1
	v_mov_b32_e32 v1, 0
	s_or_not1_b32 s7, vcc_lo, exec_lo
.LBB0_1684:                             ;   in Loop: Header=BB0_1682 Depth=2
	s_wait_xcnt 0x0
	s_or_b32 exec_lo, exec_lo, s12
	s_and_saveexec_b32 s12, s7
	s_cbranch_execz .LBB0_1686
; %bb.1685:                             ;   in Loop: Header=BB0_1682 Depth=2
	s_wait_loadcnt 0x0
	v_cmp_eq_u32_e32 vcc_lo, s4, v7
	v_cmp_eq_u32_e64 s0, s4, v9
	s_and_b32 s0, vcc_lo, s0
	s_delay_alu instid0(SALU_CYCLE_1)
	s_or_not1_b32 s0, s0, exec_lo
.LBB0_1686:                             ;   in Loop: Header=BB0_1682 Depth=2
	s_or_b32 exec_lo, exec_lo, s12
	s_delay_alu instid0(SALU_CYCLE_1) | instskip(NEXT) | instid1(SALU_CYCLE_1)
	s_and_b32 s0, exec_lo, s0
	s_or_b32 s6, s0, s6
	s_delay_alu instid0(SALU_CYCLE_1)
	s_and_not1_b32 exec_lo, exec_lo, s6
	s_cbranch_execnz .LBB0_1682
; %bb.1687:                             ;   in Loop: Header=BB0_1682 Depth=2
	s_or_b32 exec_lo, exec_lo, s6
	s_wait_loadcnt 0x0
	v_dual_mov_b32 v7, v8 :: v_dual_mov_b32 v1, 0
	s_mov_b32 s6, 0
	s_delay_alu instid0(VALU_DEP_1) | instskip(SKIP_1) | instid1(SALU_CYCLE_1)
	v_cmp_eq_u64_e32 vcc_lo, s[4:5], v[6:7]
	s_or_b32 s1, vcc_lo, s1
	s_and_not1_b32 exec_lo, exec_lo, s1
	s_cbranch_execnz .LBB0_1682
; %bb.1688:                             ;   in Loop: Header=BB0_1 Depth=1
	s_or_b32 exec_lo, exec_lo, s1
	s_add_co_i32 s4, s2, 0xf1
	s_mov_b32 s1, s3
	s_bfe_u32 s0, s4, 0x100003
	v_dual_mov_b32 v2, s4 :: v_dual_mov_b32 v3, s4
	s_mulk_i32 s0, 0x20c5
	v_dual_mov_b32 v5, s4 :: v_dual_mov_b32 v1, 0
	s_lshr_b32 s0, s0, 20
	s_mov_b32 s5, s3
	s_mulk_i32 s0, 0x3e8
	s_delay_alu instid0(SALU_CYCLE_1) | instskip(NEXT) | instid1(SALU_CYCLE_1)
	s_sub_co_i32 s0, s4, s0
	s_and_b32 s0, s0, 0xffff
	s_delay_alu instid0(SALU_CYCLE_1) | instskip(NEXT) | instid1(SALU_CYCLE_1)
	s_lshl_b32 s0, s0, 12
	v_add_nc_u64_e32 v[6:7], s[0:1], v[10:11]
	v_add_nc_u64_e32 v[14:15], s[0:1], v[12:13]
	s_mov_b32 s1, 0
	global_store_b128 v[6:7], v[2:5], off th:TH_STORE_NT
.LBB0_1689:                             ;   Parent Loop BB0_1 Depth=1
                                        ; =>  This Inner Loop Header: Depth=2
	s_wait_loadcnt 0x0
	global_load_b128 v[6:9], v[14:15], off th:TH_LOAD_NT
	v_add_nc_u32_e32 v1, 1, v1
	s_mov_b32 s0, -1
	s_mov_b32 s7, -1
	s_mov_b32 s12, exec_lo
	s_wait_xcnt 0x0
	v_cmpx_eq_u32_e32 0xf4240, v1
	s_cbranch_execz .LBB0_1691
; %bb.1690:                             ;   in Loop: Header=BB0_1689 Depth=2
	s_wait_loadcnt 0x0
	s_wait_storecnt 0x0
	global_load_b32 v1, v4, s[10:11] scope:SCOPE_SYS
	s_wait_loadcnt 0x0
	global_inv scope:SCOPE_SYS
	v_cmp_eq_u32_e32 vcc_lo, 0, v1
	v_mov_b32_e32 v1, 0
	s_or_not1_b32 s7, vcc_lo, exec_lo
.LBB0_1691:                             ;   in Loop: Header=BB0_1689 Depth=2
	s_wait_xcnt 0x0
	s_or_b32 exec_lo, exec_lo, s12
	s_and_saveexec_b32 s12, s7
	s_cbranch_execz .LBB0_1693
; %bb.1692:                             ;   in Loop: Header=BB0_1689 Depth=2
	s_wait_loadcnt 0x0
	v_cmp_eq_u32_e32 vcc_lo, s4, v7
	v_cmp_eq_u32_e64 s0, s4, v9
	s_and_b32 s0, vcc_lo, s0
	s_delay_alu instid0(SALU_CYCLE_1)
	s_or_not1_b32 s0, s0, exec_lo
.LBB0_1693:                             ;   in Loop: Header=BB0_1689 Depth=2
	s_or_b32 exec_lo, exec_lo, s12
	s_delay_alu instid0(SALU_CYCLE_1) | instskip(NEXT) | instid1(SALU_CYCLE_1)
	s_and_b32 s0, exec_lo, s0
	s_or_b32 s6, s0, s6
	s_delay_alu instid0(SALU_CYCLE_1)
	s_and_not1_b32 exec_lo, exec_lo, s6
	s_cbranch_execnz .LBB0_1689
; %bb.1694:                             ;   in Loop: Header=BB0_1689 Depth=2
	s_or_b32 exec_lo, exec_lo, s6
	s_wait_loadcnt 0x0
	v_dual_mov_b32 v7, v8 :: v_dual_mov_b32 v1, 0
	s_mov_b32 s6, 0
	s_delay_alu instid0(VALU_DEP_1) | instskip(SKIP_1) | instid1(SALU_CYCLE_1)
	v_cmp_eq_u64_e32 vcc_lo, s[4:5], v[6:7]
	s_or_b32 s1, vcc_lo, s1
	s_and_not1_b32 exec_lo, exec_lo, s1
	s_cbranch_execnz .LBB0_1689
; %bb.1695:                             ;   in Loop: Header=BB0_1 Depth=1
	s_or_b32 exec_lo, exec_lo, s1
	s_add_co_i32 s4, s2, 0xf2
	s_mov_b32 s1, s3
	s_bfe_u32 s0, s4, 0x100003
	v_dual_mov_b32 v2, s4 :: v_dual_mov_b32 v3, s4
	s_mulk_i32 s0, 0x20c5
	v_dual_mov_b32 v5, s4 :: v_dual_mov_b32 v1, 0
	s_lshr_b32 s0, s0, 20
	s_mov_b32 s5, s3
	s_mulk_i32 s0, 0x3e8
	s_delay_alu instid0(SALU_CYCLE_1) | instskip(NEXT) | instid1(SALU_CYCLE_1)
	s_sub_co_i32 s0, s4, s0
	s_and_b32 s0, s0, 0xffff
	s_delay_alu instid0(SALU_CYCLE_1) | instskip(NEXT) | instid1(SALU_CYCLE_1)
	s_lshl_b32 s0, s0, 12
	v_add_nc_u64_e32 v[6:7], s[0:1], v[10:11]
	v_add_nc_u64_e32 v[14:15], s[0:1], v[12:13]
	s_mov_b32 s1, 0
	global_store_b128 v[6:7], v[2:5], off th:TH_STORE_NT
.LBB0_1696:                             ;   Parent Loop BB0_1 Depth=1
                                        ; =>  This Inner Loop Header: Depth=2
	s_wait_loadcnt 0x0
	global_load_b128 v[6:9], v[14:15], off th:TH_LOAD_NT
	v_add_nc_u32_e32 v1, 1, v1
	s_mov_b32 s0, -1
	s_mov_b32 s7, -1
	s_mov_b32 s12, exec_lo
	s_wait_xcnt 0x0
	v_cmpx_eq_u32_e32 0xf4240, v1
	s_cbranch_execz .LBB0_1698
; %bb.1697:                             ;   in Loop: Header=BB0_1696 Depth=2
	s_wait_loadcnt 0x0
	s_wait_storecnt 0x0
	global_load_b32 v1, v4, s[10:11] scope:SCOPE_SYS
	s_wait_loadcnt 0x0
	global_inv scope:SCOPE_SYS
	v_cmp_eq_u32_e32 vcc_lo, 0, v1
	v_mov_b32_e32 v1, 0
	s_or_not1_b32 s7, vcc_lo, exec_lo
.LBB0_1698:                             ;   in Loop: Header=BB0_1696 Depth=2
	s_wait_xcnt 0x0
	s_or_b32 exec_lo, exec_lo, s12
	s_and_saveexec_b32 s12, s7
	s_cbranch_execz .LBB0_1700
; %bb.1699:                             ;   in Loop: Header=BB0_1696 Depth=2
	s_wait_loadcnt 0x0
	v_cmp_eq_u32_e32 vcc_lo, s4, v7
	v_cmp_eq_u32_e64 s0, s4, v9
	s_and_b32 s0, vcc_lo, s0
	s_delay_alu instid0(SALU_CYCLE_1)
	s_or_not1_b32 s0, s0, exec_lo
.LBB0_1700:                             ;   in Loop: Header=BB0_1696 Depth=2
	s_or_b32 exec_lo, exec_lo, s12
	s_delay_alu instid0(SALU_CYCLE_1) | instskip(NEXT) | instid1(SALU_CYCLE_1)
	s_and_b32 s0, exec_lo, s0
	s_or_b32 s6, s0, s6
	s_delay_alu instid0(SALU_CYCLE_1)
	s_and_not1_b32 exec_lo, exec_lo, s6
	s_cbranch_execnz .LBB0_1696
; %bb.1701:                             ;   in Loop: Header=BB0_1696 Depth=2
	s_or_b32 exec_lo, exec_lo, s6
	s_wait_loadcnt 0x0
	v_dual_mov_b32 v7, v8 :: v_dual_mov_b32 v1, 0
	s_mov_b32 s6, 0
	s_delay_alu instid0(VALU_DEP_1) | instskip(SKIP_1) | instid1(SALU_CYCLE_1)
	v_cmp_eq_u64_e32 vcc_lo, s[4:5], v[6:7]
	s_or_b32 s1, vcc_lo, s1
	s_and_not1_b32 exec_lo, exec_lo, s1
	s_cbranch_execnz .LBB0_1696
; %bb.1702:                             ;   in Loop: Header=BB0_1 Depth=1
	s_or_b32 exec_lo, exec_lo, s1
	s_add_co_i32 s4, s2, 0xf3
	s_mov_b32 s1, s3
	s_bfe_u32 s0, s4, 0x100003
	v_dual_mov_b32 v2, s4 :: v_dual_mov_b32 v3, s4
	s_mulk_i32 s0, 0x20c5
	v_dual_mov_b32 v5, s4 :: v_dual_mov_b32 v1, 0
	s_lshr_b32 s0, s0, 20
	s_mov_b32 s5, s3
	s_mulk_i32 s0, 0x3e8
	s_delay_alu instid0(SALU_CYCLE_1) | instskip(NEXT) | instid1(SALU_CYCLE_1)
	s_sub_co_i32 s0, s4, s0
	s_and_b32 s0, s0, 0xffff
	s_delay_alu instid0(SALU_CYCLE_1) | instskip(NEXT) | instid1(SALU_CYCLE_1)
	s_lshl_b32 s0, s0, 12
	v_add_nc_u64_e32 v[6:7], s[0:1], v[10:11]
	v_add_nc_u64_e32 v[14:15], s[0:1], v[12:13]
	s_mov_b32 s1, 0
	global_store_b128 v[6:7], v[2:5], off th:TH_STORE_NT
.LBB0_1703:                             ;   Parent Loop BB0_1 Depth=1
                                        ; =>  This Inner Loop Header: Depth=2
	s_wait_loadcnt 0x0
	global_load_b128 v[6:9], v[14:15], off th:TH_LOAD_NT
	v_add_nc_u32_e32 v1, 1, v1
	s_mov_b32 s0, -1
	s_mov_b32 s7, -1
	s_mov_b32 s12, exec_lo
	s_wait_xcnt 0x0
	v_cmpx_eq_u32_e32 0xf4240, v1
	s_cbranch_execz .LBB0_1705
; %bb.1704:                             ;   in Loop: Header=BB0_1703 Depth=2
	s_wait_loadcnt 0x0
	s_wait_storecnt 0x0
	global_load_b32 v1, v4, s[10:11] scope:SCOPE_SYS
	s_wait_loadcnt 0x0
	global_inv scope:SCOPE_SYS
	v_cmp_eq_u32_e32 vcc_lo, 0, v1
	v_mov_b32_e32 v1, 0
	s_or_not1_b32 s7, vcc_lo, exec_lo
.LBB0_1705:                             ;   in Loop: Header=BB0_1703 Depth=2
	s_wait_xcnt 0x0
	s_or_b32 exec_lo, exec_lo, s12
	s_and_saveexec_b32 s12, s7
	s_cbranch_execz .LBB0_1707
; %bb.1706:                             ;   in Loop: Header=BB0_1703 Depth=2
	s_wait_loadcnt 0x0
	v_cmp_eq_u32_e32 vcc_lo, s4, v7
	v_cmp_eq_u32_e64 s0, s4, v9
	s_and_b32 s0, vcc_lo, s0
	s_delay_alu instid0(SALU_CYCLE_1)
	s_or_not1_b32 s0, s0, exec_lo
.LBB0_1707:                             ;   in Loop: Header=BB0_1703 Depth=2
	s_or_b32 exec_lo, exec_lo, s12
	s_delay_alu instid0(SALU_CYCLE_1) | instskip(NEXT) | instid1(SALU_CYCLE_1)
	s_and_b32 s0, exec_lo, s0
	s_or_b32 s6, s0, s6
	s_delay_alu instid0(SALU_CYCLE_1)
	s_and_not1_b32 exec_lo, exec_lo, s6
	s_cbranch_execnz .LBB0_1703
; %bb.1708:                             ;   in Loop: Header=BB0_1703 Depth=2
	s_or_b32 exec_lo, exec_lo, s6
	s_wait_loadcnt 0x0
	v_dual_mov_b32 v7, v8 :: v_dual_mov_b32 v1, 0
	s_mov_b32 s6, 0
	s_delay_alu instid0(VALU_DEP_1) | instskip(SKIP_1) | instid1(SALU_CYCLE_1)
	v_cmp_eq_u64_e32 vcc_lo, s[4:5], v[6:7]
	s_or_b32 s1, vcc_lo, s1
	s_and_not1_b32 exec_lo, exec_lo, s1
	s_cbranch_execnz .LBB0_1703
; %bb.1709:                             ;   in Loop: Header=BB0_1 Depth=1
	s_or_b32 exec_lo, exec_lo, s1
	s_add_co_i32 s4, s2, 0xf4
	s_mov_b32 s1, s3
	s_bfe_u32 s0, s4, 0x100003
	v_dual_mov_b32 v2, s4 :: v_dual_mov_b32 v3, s4
	s_mulk_i32 s0, 0x20c5
	v_dual_mov_b32 v5, s4 :: v_dual_mov_b32 v1, 0
	s_lshr_b32 s0, s0, 20
	s_mov_b32 s5, s3
	s_mulk_i32 s0, 0x3e8
	s_delay_alu instid0(SALU_CYCLE_1) | instskip(NEXT) | instid1(SALU_CYCLE_1)
	s_sub_co_i32 s0, s4, s0
	s_and_b32 s0, s0, 0xffff
	s_delay_alu instid0(SALU_CYCLE_1) | instskip(NEXT) | instid1(SALU_CYCLE_1)
	s_lshl_b32 s0, s0, 12
	v_add_nc_u64_e32 v[6:7], s[0:1], v[10:11]
	v_add_nc_u64_e32 v[14:15], s[0:1], v[12:13]
	s_mov_b32 s1, 0
	global_store_b128 v[6:7], v[2:5], off th:TH_STORE_NT
.LBB0_1710:                             ;   Parent Loop BB0_1 Depth=1
                                        ; =>  This Inner Loop Header: Depth=2
	s_wait_loadcnt 0x0
	global_load_b128 v[6:9], v[14:15], off th:TH_LOAD_NT
	v_add_nc_u32_e32 v1, 1, v1
	s_mov_b32 s0, -1
	s_mov_b32 s7, -1
	s_mov_b32 s12, exec_lo
	s_wait_xcnt 0x0
	v_cmpx_eq_u32_e32 0xf4240, v1
	s_cbranch_execz .LBB0_1712
; %bb.1711:                             ;   in Loop: Header=BB0_1710 Depth=2
	s_wait_loadcnt 0x0
	s_wait_storecnt 0x0
	global_load_b32 v1, v4, s[10:11] scope:SCOPE_SYS
	s_wait_loadcnt 0x0
	global_inv scope:SCOPE_SYS
	v_cmp_eq_u32_e32 vcc_lo, 0, v1
	v_mov_b32_e32 v1, 0
	s_or_not1_b32 s7, vcc_lo, exec_lo
.LBB0_1712:                             ;   in Loop: Header=BB0_1710 Depth=2
	s_wait_xcnt 0x0
	s_or_b32 exec_lo, exec_lo, s12
	s_and_saveexec_b32 s12, s7
	s_cbranch_execz .LBB0_1714
; %bb.1713:                             ;   in Loop: Header=BB0_1710 Depth=2
	s_wait_loadcnt 0x0
	v_cmp_eq_u32_e32 vcc_lo, s4, v7
	v_cmp_eq_u32_e64 s0, s4, v9
	s_and_b32 s0, vcc_lo, s0
	s_delay_alu instid0(SALU_CYCLE_1)
	s_or_not1_b32 s0, s0, exec_lo
.LBB0_1714:                             ;   in Loop: Header=BB0_1710 Depth=2
	s_or_b32 exec_lo, exec_lo, s12
	s_delay_alu instid0(SALU_CYCLE_1) | instskip(NEXT) | instid1(SALU_CYCLE_1)
	s_and_b32 s0, exec_lo, s0
	s_or_b32 s6, s0, s6
	s_delay_alu instid0(SALU_CYCLE_1)
	s_and_not1_b32 exec_lo, exec_lo, s6
	s_cbranch_execnz .LBB0_1710
; %bb.1715:                             ;   in Loop: Header=BB0_1710 Depth=2
	s_or_b32 exec_lo, exec_lo, s6
	s_wait_loadcnt 0x0
	v_dual_mov_b32 v7, v8 :: v_dual_mov_b32 v1, 0
	s_mov_b32 s6, 0
	s_delay_alu instid0(VALU_DEP_1) | instskip(SKIP_1) | instid1(SALU_CYCLE_1)
	v_cmp_eq_u64_e32 vcc_lo, s[4:5], v[6:7]
	s_or_b32 s1, vcc_lo, s1
	s_and_not1_b32 exec_lo, exec_lo, s1
	s_cbranch_execnz .LBB0_1710
; %bb.1716:                             ;   in Loop: Header=BB0_1 Depth=1
	s_or_b32 exec_lo, exec_lo, s1
	s_add_co_i32 s4, s2, 0xf5
	s_mov_b32 s1, s3
	s_bfe_u32 s0, s4, 0x100003
	v_dual_mov_b32 v2, s4 :: v_dual_mov_b32 v3, s4
	s_mulk_i32 s0, 0x20c5
	v_dual_mov_b32 v5, s4 :: v_dual_mov_b32 v1, 0
	s_lshr_b32 s0, s0, 20
	s_mov_b32 s5, s3
	s_mulk_i32 s0, 0x3e8
	s_delay_alu instid0(SALU_CYCLE_1) | instskip(NEXT) | instid1(SALU_CYCLE_1)
	s_sub_co_i32 s0, s4, s0
	s_and_b32 s0, s0, 0xffff
	s_delay_alu instid0(SALU_CYCLE_1) | instskip(NEXT) | instid1(SALU_CYCLE_1)
	s_lshl_b32 s0, s0, 12
	v_add_nc_u64_e32 v[6:7], s[0:1], v[10:11]
	v_add_nc_u64_e32 v[14:15], s[0:1], v[12:13]
	s_mov_b32 s1, 0
	global_store_b128 v[6:7], v[2:5], off th:TH_STORE_NT
.LBB0_1717:                             ;   Parent Loop BB0_1 Depth=1
                                        ; =>  This Inner Loop Header: Depth=2
	s_wait_loadcnt 0x0
	global_load_b128 v[6:9], v[14:15], off th:TH_LOAD_NT
	v_add_nc_u32_e32 v1, 1, v1
	s_mov_b32 s0, -1
	s_mov_b32 s7, -1
	s_mov_b32 s12, exec_lo
	s_wait_xcnt 0x0
	v_cmpx_eq_u32_e32 0xf4240, v1
	s_cbranch_execz .LBB0_1719
; %bb.1718:                             ;   in Loop: Header=BB0_1717 Depth=2
	s_wait_loadcnt 0x0
	s_wait_storecnt 0x0
	global_load_b32 v1, v4, s[10:11] scope:SCOPE_SYS
	s_wait_loadcnt 0x0
	global_inv scope:SCOPE_SYS
	v_cmp_eq_u32_e32 vcc_lo, 0, v1
	v_mov_b32_e32 v1, 0
	s_or_not1_b32 s7, vcc_lo, exec_lo
.LBB0_1719:                             ;   in Loop: Header=BB0_1717 Depth=2
	s_wait_xcnt 0x0
	s_or_b32 exec_lo, exec_lo, s12
	s_and_saveexec_b32 s12, s7
	s_cbranch_execz .LBB0_1721
; %bb.1720:                             ;   in Loop: Header=BB0_1717 Depth=2
	s_wait_loadcnt 0x0
	v_cmp_eq_u32_e32 vcc_lo, s4, v7
	v_cmp_eq_u32_e64 s0, s4, v9
	s_and_b32 s0, vcc_lo, s0
	s_delay_alu instid0(SALU_CYCLE_1)
	s_or_not1_b32 s0, s0, exec_lo
.LBB0_1721:                             ;   in Loop: Header=BB0_1717 Depth=2
	s_or_b32 exec_lo, exec_lo, s12
	s_delay_alu instid0(SALU_CYCLE_1) | instskip(NEXT) | instid1(SALU_CYCLE_1)
	s_and_b32 s0, exec_lo, s0
	s_or_b32 s6, s0, s6
	s_delay_alu instid0(SALU_CYCLE_1)
	s_and_not1_b32 exec_lo, exec_lo, s6
	s_cbranch_execnz .LBB0_1717
; %bb.1722:                             ;   in Loop: Header=BB0_1717 Depth=2
	s_or_b32 exec_lo, exec_lo, s6
	s_wait_loadcnt 0x0
	v_dual_mov_b32 v7, v8 :: v_dual_mov_b32 v1, 0
	s_mov_b32 s6, 0
	s_delay_alu instid0(VALU_DEP_1) | instskip(SKIP_1) | instid1(SALU_CYCLE_1)
	v_cmp_eq_u64_e32 vcc_lo, s[4:5], v[6:7]
	s_or_b32 s1, vcc_lo, s1
	s_and_not1_b32 exec_lo, exec_lo, s1
	s_cbranch_execnz .LBB0_1717
; %bb.1723:                             ;   in Loop: Header=BB0_1 Depth=1
	s_or_b32 exec_lo, exec_lo, s1
	s_add_co_i32 s4, s2, 0xf6
	s_mov_b32 s1, s3
	s_bfe_u32 s0, s4, 0x100003
	v_dual_mov_b32 v2, s4 :: v_dual_mov_b32 v3, s4
	s_mulk_i32 s0, 0x20c5
	v_dual_mov_b32 v5, s4 :: v_dual_mov_b32 v1, 0
	s_lshr_b32 s0, s0, 20
	s_mov_b32 s5, s3
	s_mulk_i32 s0, 0x3e8
	s_delay_alu instid0(SALU_CYCLE_1) | instskip(NEXT) | instid1(SALU_CYCLE_1)
	s_sub_co_i32 s0, s4, s0
	s_and_b32 s0, s0, 0xffff
	s_delay_alu instid0(SALU_CYCLE_1) | instskip(NEXT) | instid1(SALU_CYCLE_1)
	s_lshl_b32 s0, s0, 12
	v_add_nc_u64_e32 v[6:7], s[0:1], v[10:11]
	v_add_nc_u64_e32 v[14:15], s[0:1], v[12:13]
	s_mov_b32 s1, 0
	global_store_b128 v[6:7], v[2:5], off th:TH_STORE_NT
.LBB0_1724:                             ;   Parent Loop BB0_1 Depth=1
                                        ; =>  This Inner Loop Header: Depth=2
	s_wait_loadcnt 0x0
	global_load_b128 v[6:9], v[14:15], off th:TH_LOAD_NT
	v_add_nc_u32_e32 v1, 1, v1
	s_mov_b32 s0, -1
	s_mov_b32 s7, -1
	s_mov_b32 s12, exec_lo
	s_wait_xcnt 0x0
	v_cmpx_eq_u32_e32 0xf4240, v1
	s_cbranch_execz .LBB0_1726
; %bb.1725:                             ;   in Loop: Header=BB0_1724 Depth=2
	s_wait_loadcnt 0x0
	s_wait_storecnt 0x0
	global_load_b32 v1, v4, s[10:11] scope:SCOPE_SYS
	s_wait_loadcnt 0x0
	global_inv scope:SCOPE_SYS
	v_cmp_eq_u32_e32 vcc_lo, 0, v1
	v_mov_b32_e32 v1, 0
	s_or_not1_b32 s7, vcc_lo, exec_lo
.LBB0_1726:                             ;   in Loop: Header=BB0_1724 Depth=2
	s_wait_xcnt 0x0
	s_or_b32 exec_lo, exec_lo, s12
	s_and_saveexec_b32 s12, s7
	s_cbranch_execz .LBB0_1728
; %bb.1727:                             ;   in Loop: Header=BB0_1724 Depth=2
	s_wait_loadcnt 0x0
	v_cmp_eq_u32_e32 vcc_lo, s4, v7
	v_cmp_eq_u32_e64 s0, s4, v9
	s_and_b32 s0, vcc_lo, s0
	s_delay_alu instid0(SALU_CYCLE_1)
	s_or_not1_b32 s0, s0, exec_lo
.LBB0_1728:                             ;   in Loop: Header=BB0_1724 Depth=2
	s_or_b32 exec_lo, exec_lo, s12
	s_delay_alu instid0(SALU_CYCLE_1) | instskip(NEXT) | instid1(SALU_CYCLE_1)
	s_and_b32 s0, exec_lo, s0
	s_or_b32 s6, s0, s6
	s_delay_alu instid0(SALU_CYCLE_1)
	s_and_not1_b32 exec_lo, exec_lo, s6
	s_cbranch_execnz .LBB0_1724
; %bb.1729:                             ;   in Loop: Header=BB0_1724 Depth=2
	s_or_b32 exec_lo, exec_lo, s6
	s_wait_loadcnt 0x0
	v_dual_mov_b32 v7, v8 :: v_dual_mov_b32 v1, 0
	s_mov_b32 s6, 0
	s_delay_alu instid0(VALU_DEP_1) | instskip(SKIP_1) | instid1(SALU_CYCLE_1)
	v_cmp_eq_u64_e32 vcc_lo, s[4:5], v[6:7]
	s_or_b32 s1, vcc_lo, s1
	s_and_not1_b32 exec_lo, exec_lo, s1
	s_cbranch_execnz .LBB0_1724
; %bb.1730:                             ;   in Loop: Header=BB0_1 Depth=1
	s_or_b32 exec_lo, exec_lo, s1
	s_add_co_i32 s4, s2, 0xf7
	s_mov_b32 s1, s3
	s_bfe_u32 s0, s4, 0x100003
	v_dual_mov_b32 v2, s4 :: v_dual_mov_b32 v3, s4
	s_mulk_i32 s0, 0x20c5
	v_dual_mov_b32 v5, s4 :: v_dual_mov_b32 v1, 0
	s_lshr_b32 s0, s0, 20
	s_mov_b32 s5, s3
	s_mulk_i32 s0, 0x3e8
	s_delay_alu instid0(SALU_CYCLE_1) | instskip(NEXT) | instid1(SALU_CYCLE_1)
	s_sub_co_i32 s0, s4, s0
	s_and_b32 s0, s0, 0xffff
	s_delay_alu instid0(SALU_CYCLE_1) | instskip(NEXT) | instid1(SALU_CYCLE_1)
	s_lshl_b32 s0, s0, 12
	v_add_nc_u64_e32 v[6:7], s[0:1], v[10:11]
	v_add_nc_u64_e32 v[14:15], s[0:1], v[12:13]
	s_mov_b32 s1, 0
	global_store_b128 v[6:7], v[2:5], off th:TH_STORE_NT
.LBB0_1731:                             ;   Parent Loop BB0_1 Depth=1
                                        ; =>  This Inner Loop Header: Depth=2
	s_wait_loadcnt 0x0
	global_load_b128 v[6:9], v[14:15], off th:TH_LOAD_NT
	v_add_nc_u32_e32 v1, 1, v1
	s_mov_b32 s0, -1
	s_mov_b32 s7, -1
	s_mov_b32 s12, exec_lo
	s_wait_xcnt 0x0
	v_cmpx_eq_u32_e32 0xf4240, v1
	s_cbranch_execz .LBB0_1733
; %bb.1732:                             ;   in Loop: Header=BB0_1731 Depth=2
	s_wait_loadcnt 0x0
	s_wait_storecnt 0x0
	global_load_b32 v1, v4, s[10:11] scope:SCOPE_SYS
	s_wait_loadcnt 0x0
	global_inv scope:SCOPE_SYS
	v_cmp_eq_u32_e32 vcc_lo, 0, v1
	v_mov_b32_e32 v1, 0
	s_or_not1_b32 s7, vcc_lo, exec_lo
.LBB0_1733:                             ;   in Loop: Header=BB0_1731 Depth=2
	s_wait_xcnt 0x0
	s_or_b32 exec_lo, exec_lo, s12
	s_and_saveexec_b32 s12, s7
	s_cbranch_execz .LBB0_1735
; %bb.1734:                             ;   in Loop: Header=BB0_1731 Depth=2
	s_wait_loadcnt 0x0
	v_cmp_eq_u32_e32 vcc_lo, s4, v7
	v_cmp_eq_u32_e64 s0, s4, v9
	s_and_b32 s0, vcc_lo, s0
	s_delay_alu instid0(SALU_CYCLE_1)
	s_or_not1_b32 s0, s0, exec_lo
.LBB0_1735:                             ;   in Loop: Header=BB0_1731 Depth=2
	s_or_b32 exec_lo, exec_lo, s12
	s_delay_alu instid0(SALU_CYCLE_1) | instskip(NEXT) | instid1(SALU_CYCLE_1)
	s_and_b32 s0, exec_lo, s0
	s_or_b32 s6, s0, s6
	s_delay_alu instid0(SALU_CYCLE_1)
	s_and_not1_b32 exec_lo, exec_lo, s6
	s_cbranch_execnz .LBB0_1731
; %bb.1736:                             ;   in Loop: Header=BB0_1731 Depth=2
	s_or_b32 exec_lo, exec_lo, s6
	s_wait_loadcnt 0x0
	v_dual_mov_b32 v7, v8 :: v_dual_mov_b32 v1, 0
	s_mov_b32 s6, 0
	s_delay_alu instid0(VALU_DEP_1) | instskip(SKIP_1) | instid1(SALU_CYCLE_1)
	v_cmp_eq_u64_e32 vcc_lo, s[4:5], v[6:7]
	s_or_b32 s1, vcc_lo, s1
	s_and_not1_b32 exec_lo, exec_lo, s1
	s_cbranch_execnz .LBB0_1731
; %bb.1737:                             ;   in Loop: Header=BB0_1 Depth=1
	s_or_b32 exec_lo, exec_lo, s1
	s_add_co_i32 s4, s2, 0xf8
	s_mov_b32 s1, s3
	s_bfe_u32 s0, s4, 0x100003
	v_dual_mov_b32 v2, s4 :: v_dual_mov_b32 v3, s4
	s_mulk_i32 s0, 0x20c5
	v_dual_mov_b32 v5, s4 :: v_dual_mov_b32 v1, 0
	s_lshr_b32 s0, s0, 20
	s_mov_b32 s5, s3
	s_mulk_i32 s0, 0x3e8
	s_delay_alu instid0(SALU_CYCLE_1) | instskip(NEXT) | instid1(SALU_CYCLE_1)
	s_sub_co_i32 s0, s4, s0
	s_and_b32 s0, s0, 0xffff
	s_delay_alu instid0(SALU_CYCLE_1) | instskip(NEXT) | instid1(SALU_CYCLE_1)
	s_lshl_b32 s0, s0, 12
	v_add_nc_u64_e32 v[6:7], s[0:1], v[10:11]
	v_add_nc_u64_e32 v[14:15], s[0:1], v[12:13]
	s_mov_b32 s1, 0
	global_store_b128 v[6:7], v[2:5], off th:TH_STORE_NT
.LBB0_1738:                             ;   Parent Loop BB0_1 Depth=1
                                        ; =>  This Inner Loop Header: Depth=2
	s_wait_loadcnt 0x0
	global_load_b128 v[6:9], v[14:15], off th:TH_LOAD_NT
	v_add_nc_u32_e32 v1, 1, v1
	s_mov_b32 s0, -1
	s_mov_b32 s7, -1
	s_mov_b32 s12, exec_lo
	s_wait_xcnt 0x0
	v_cmpx_eq_u32_e32 0xf4240, v1
	s_cbranch_execz .LBB0_1740
; %bb.1739:                             ;   in Loop: Header=BB0_1738 Depth=2
	s_wait_loadcnt 0x0
	s_wait_storecnt 0x0
	global_load_b32 v1, v4, s[10:11] scope:SCOPE_SYS
	s_wait_loadcnt 0x0
	global_inv scope:SCOPE_SYS
	v_cmp_eq_u32_e32 vcc_lo, 0, v1
	v_mov_b32_e32 v1, 0
	s_or_not1_b32 s7, vcc_lo, exec_lo
.LBB0_1740:                             ;   in Loop: Header=BB0_1738 Depth=2
	s_wait_xcnt 0x0
	s_or_b32 exec_lo, exec_lo, s12
	s_and_saveexec_b32 s12, s7
	s_cbranch_execz .LBB0_1742
; %bb.1741:                             ;   in Loop: Header=BB0_1738 Depth=2
	s_wait_loadcnt 0x0
	v_cmp_eq_u32_e32 vcc_lo, s4, v7
	v_cmp_eq_u32_e64 s0, s4, v9
	s_and_b32 s0, vcc_lo, s0
	s_delay_alu instid0(SALU_CYCLE_1)
	s_or_not1_b32 s0, s0, exec_lo
.LBB0_1742:                             ;   in Loop: Header=BB0_1738 Depth=2
	s_or_b32 exec_lo, exec_lo, s12
	s_delay_alu instid0(SALU_CYCLE_1) | instskip(NEXT) | instid1(SALU_CYCLE_1)
	s_and_b32 s0, exec_lo, s0
	s_or_b32 s6, s0, s6
	s_delay_alu instid0(SALU_CYCLE_1)
	s_and_not1_b32 exec_lo, exec_lo, s6
	s_cbranch_execnz .LBB0_1738
; %bb.1743:                             ;   in Loop: Header=BB0_1738 Depth=2
	s_or_b32 exec_lo, exec_lo, s6
	s_wait_loadcnt 0x0
	v_dual_mov_b32 v7, v8 :: v_dual_mov_b32 v1, 0
	s_mov_b32 s6, 0
	s_delay_alu instid0(VALU_DEP_1) | instskip(SKIP_1) | instid1(SALU_CYCLE_1)
	v_cmp_eq_u64_e32 vcc_lo, s[4:5], v[6:7]
	s_or_b32 s1, vcc_lo, s1
	s_and_not1_b32 exec_lo, exec_lo, s1
	s_cbranch_execnz .LBB0_1738
; %bb.1744:                             ;   in Loop: Header=BB0_1 Depth=1
	s_or_b32 exec_lo, exec_lo, s1
	s_add_co_i32 s4, s2, 0xf9
	s_mov_b32 s1, s3
	s_bfe_u32 s0, s4, 0x100003
	v_dual_mov_b32 v2, s4 :: v_dual_mov_b32 v3, s4
	s_mulk_i32 s0, 0x20c5
	v_dual_mov_b32 v5, s4 :: v_dual_mov_b32 v1, 0
	s_lshr_b32 s0, s0, 20
	s_mov_b32 s5, s3
	s_mulk_i32 s0, 0x3e8
	s_delay_alu instid0(SALU_CYCLE_1) | instskip(NEXT) | instid1(SALU_CYCLE_1)
	s_sub_co_i32 s0, s4, s0
	s_and_b32 s0, s0, 0xffff
	s_delay_alu instid0(SALU_CYCLE_1) | instskip(NEXT) | instid1(SALU_CYCLE_1)
	s_lshl_b32 s0, s0, 12
	v_add_nc_u64_e32 v[6:7], s[0:1], v[10:11]
	v_add_nc_u64_e32 v[14:15], s[0:1], v[12:13]
	s_mov_b32 s1, 0
	global_store_b128 v[6:7], v[2:5], off th:TH_STORE_NT
.LBB0_1745:                             ;   Parent Loop BB0_1 Depth=1
                                        ; =>  This Inner Loop Header: Depth=2
	s_wait_loadcnt 0x0
	global_load_b128 v[6:9], v[14:15], off th:TH_LOAD_NT
	v_add_nc_u32_e32 v1, 1, v1
	s_mov_b32 s0, -1
	s_mov_b32 s7, -1
	s_mov_b32 s12, exec_lo
	s_wait_xcnt 0x0
	v_cmpx_eq_u32_e32 0xf4240, v1
	s_cbranch_execz .LBB0_1747
; %bb.1746:                             ;   in Loop: Header=BB0_1745 Depth=2
	s_wait_loadcnt 0x0
	s_wait_storecnt 0x0
	global_load_b32 v1, v4, s[10:11] scope:SCOPE_SYS
	s_wait_loadcnt 0x0
	global_inv scope:SCOPE_SYS
	v_cmp_eq_u32_e32 vcc_lo, 0, v1
	v_mov_b32_e32 v1, 0
	s_or_not1_b32 s7, vcc_lo, exec_lo
.LBB0_1747:                             ;   in Loop: Header=BB0_1745 Depth=2
	s_wait_xcnt 0x0
	s_or_b32 exec_lo, exec_lo, s12
	s_and_saveexec_b32 s12, s7
	s_cbranch_execz .LBB0_1749
; %bb.1748:                             ;   in Loop: Header=BB0_1745 Depth=2
	s_wait_loadcnt 0x0
	v_cmp_eq_u32_e32 vcc_lo, s4, v7
	v_cmp_eq_u32_e64 s0, s4, v9
	s_and_b32 s0, vcc_lo, s0
	s_delay_alu instid0(SALU_CYCLE_1)
	s_or_not1_b32 s0, s0, exec_lo
.LBB0_1749:                             ;   in Loop: Header=BB0_1745 Depth=2
	s_or_b32 exec_lo, exec_lo, s12
	s_delay_alu instid0(SALU_CYCLE_1) | instskip(NEXT) | instid1(SALU_CYCLE_1)
	s_and_b32 s0, exec_lo, s0
	s_or_b32 s6, s0, s6
	s_delay_alu instid0(SALU_CYCLE_1)
	s_and_not1_b32 exec_lo, exec_lo, s6
	s_cbranch_execnz .LBB0_1745
; %bb.1750:                             ;   in Loop: Header=BB0_1745 Depth=2
	s_or_b32 exec_lo, exec_lo, s6
	s_wait_loadcnt 0x0
	v_dual_mov_b32 v7, v8 :: v_dual_mov_b32 v1, 0
	s_mov_b32 s6, 0
	s_delay_alu instid0(VALU_DEP_1) | instskip(SKIP_1) | instid1(SALU_CYCLE_1)
	v_cmp_eq_u64_e32 vcc_lo, s[4:5], v[6:7]
	s_or_b32 s1, vcc_lo, s1
	s_and_not1_b32 exec_lo, exec_lo, s1
	s_cbranch_execnz .LBB0_1745
; %bb.1751:                             ;   in Loop: Header=BB0_1 Depth=1
	s_or_b32 exec_lo, exec_lo, s1
	s_addk_co_i32 s2, 0xfa
	s_delay_alu instid0(SALU_CYCLE_1)
	s_cmp_eq_u32 s2, 0x7d1
	s_cbranch_scc0 .LBB0_1
; %bb.1752:
	v_cmp_eq_u32_e32 vcc_lo, 0, v0
	s_mov_b32 s5, 0
                                        ; implicit-def: $sgpr2_sgpr3
	s_and_saveexec_b32 s0, vcc_lo
; %bb.1753:
	s_sendmsg_rtn_b64 s[2:3], sendmsg(MSG_RTN_GET_REALTIME)
; %bb.1754:
	s_or_b32 exec_lo, exec_lo, s0
	v_mov_b32_e32 v2, 0
	s_movk_i32 s4, 0x7d1
.LBB0_1755:                             ; =>This Loop Header: Depth=1
                                        ;     Child Loop BB0_1756 Depth 2
                                        ;     Child Loop BB0_1763 Depth 2
	;; [unrolled: 1-line block ×250, first 2 shown]
	s_delay_alu instid0(SALU_CYCLE_1)
	s_bfe_u32 s0, s4, 0x100003
	s_mov_b32 s1, s5
	s_mulk_i32 s0, 0x20c5
	v_dual_mov_b32 v0, s4 :: v_dual_mov_b32 v1, s4
	s_lshr_b32 s0, s0, 20
	v_dual_mov_b32 v3, s4 :: v_dual_mov_b32 v14, 0
	s_mulk_i32 s0, 0x3e8
	s_mov_b32 s6, 0
	s_sub_co_i32 s0, s4, s0
	s_mov_b32 s7, 0
	s_and_b32 s0, s0, 0xffff
	s_delay_alu instid0(SALU_CYCLE_1) | instskip(NEXT) | instid1(SALU_CYCLE_1)
	s_lshl_b32 s0, s0, 12
	v_add_nc_u64_e32 v[4:5], s[0:1], v[10:11]
	v_add_nc_u64_e32 v[8:9], s[0:1], v[12:13]
	global_store_b128 v[4:5], v[0:3], off th:TH_STORE_NT
.LBB0_1756:                             ;   Parent Loop BB0_1755 Depth=1
                                        ; =>  This Inner Loop Header: Depth=2
	s_wait_loadcnt 0x0
	global_load_b128 v[4:7], v[8:9], off th:TH_LOAD_NT
	v_add_nc_u32_e32 v14, 1, v14
	s_mov_b32 s1, -1
	s_mov_b32 s12, -1
	s_mov_b32 s13, exec_lo
	s_wait_xcnt 0x0
	v_cmpx_eq_u32_e32 0xf4240, v14
	s_cbranch_execz .LBB0_1758
; %bb.1757:                             ;   in Loop: Header=BB0_1756 Depth=2
	s_wait_loadcnt 0x0
	s_wait_storecnt 0x0
	global_load_b32 v0, v2, s[10:11] scope:SCOPE_SYS
	s_wait_loadcnt 0x0
	global_inv scope:SCOPE_SYS
	v_mov_b32_e32 v14, 0
	v_cmp_eq_u32_e64 s0, 0, v0
	s_or_not1_b32 s12, s0, exec_lo
.LBB0_1758:                             ;   in Loop: Header=BB0_1756 Depth=2
	s_wait_xcnt 0x0
	s_or_b32 exec_lo, exec_lo, s13
	s_and_saveexec_b32 s13, s12
	s_cbranch_execz .LBB0_1760
; %bb.1759:                             ;   in Loop: Header=BB0_1756 Depth=2
	s_wait_loadcnt 0x0
	v_cmp_eq_u32_e64 s0, s4, v5
	v_cmp_eq_u32_e64 s1, s4, v7
	s_and_b32 s0, s0, s1
	s_delay_alu instid0(SALU_CYCLE_1)
	s_or_not1_b32 s1, s0, exec_lo
.LBB0_1760:                             ;   in Loop: Header=BB0_1756 Depth=2
	s_or_b32 exec_lo, exec_lo, s13
	s_delay_alu instid0(SALU_CYCLE_1) | instskip(NEXT) | instid1(SALU_CYCLE_1)
	s_and_b32 s0, exec_lo, s1
	s_or_b32 s7, s0, s7
	s_delay_alu instid0(SALU_CYCLE_1)
	s_and_not1_b32 exec_lo, exec_lo, s7
	s_cbranch_execnz .LBB0_1756
; %bb.1761:                             ;   in Loop: Header=BB0_1756 Depth=2
	s_or_b32 exec_lo, exec_lo, s7
	s_wait_loadcnt 0x0
	v_dual_mov_b32 v5, v6 :: v_dual_mov_b32 v14, 0
	s_mov_b32 s7, 0
	s_delay_alu instid0(VALU_DEP_1) | instskip(SKIP_1) | instid1(SALU_CYCLE_1)
	v_cmp_eq_u64_e64 s0, s[4:5], v[4:5]
	s_or_b32 s6, s0, s6
	s_and_not1_b32 exec_lo, exec_lo, s6
	s_cbranch_execnz .LBB0_1756
; %bb.1762:                             ;   in Loop: Header=BB0_1755 Depth=1
	s_or_b32 exec_lo, exec_lo, s6
	s_add_co_i32 s6, s4, 1
	s_mov_b32 s1, s5
	s_bfe_u32 s0, s6, 0x100003
	v_dual_mov_b32 v0, s6 :: v_dual_mov_b32 v1, s6
	s_mulk_i32 s0, 0x20c5
	v_dual_mov_b32 v3, s6 :: v_dual_mov_b32 v14, 0
	s_lshr_b32 s0, s0, 20
	s_mov_b32 s7, s5
	s_mulk_i32 s0, 0x3e8
	s_mov_b32 s12, 0
	s_sub_co_i32 s0, s6, s0
	s_mov_b32 s13, 0
	s_and_b32 s0, s0, 0xffff
	s_delay_alu instid0(SALU_CYCLE_1) | instskip(NEXT) | instid1(SALU_CYCLE_1)
	s_lshl_b32 s0, s0, 12
	v_add_nc_u64_e32 v[4:5], s[0:1], v[10:11]
	v_add_nc_u64_e32 v[8:9], s[0:1], v[12:13]
	global_store_b128 v[4:5], v[0:3], off th:TH_STORE_NT
.LBB0_1763:                             ;   Parent Loop BB0_1755 Depth=1
                                        ; =>  This Inner Loop Header: Depth=2
	s_wait_loadcnt 0x0
	global_load_b128 v[4:7], v[8:9], off th:TH_LOAD_NT
	v_add_nc_u32_e32 v14, 1, v14
	s_mov_b32 s1, -1
	s_mov_b32 s14, -1
	s_mov_b32 s15, exec_lo
	s_wait_xcnt 0x0
	v_cmpx_eq_u32_e32 0xf4240, v14
	s_cbranch_execz .LBB0_1765
; %bb.1764:                             ;   in Loop: Header=BB0_1763 Depth=2
	s_wait_loadcnt 0x0
	s_wait_storecnt 0x0
	global_load_b32 v0, v2, s[10:11] scope:SCOPE_SYS
	s_wait_loadcnt 0x0
	global_inv scope:SCOPE_SYS
	v_mov_b32_e32 v14, 0
	v_cmp_eq_u32_e64 s0, 0, v0
	s_or_not1_b32 s14, s0, exec_lo
.LBB0_1765:                             ;   in Loop: Header=BB0_1763 Depth=2
	s_wait_xcnt 0x0
	s_or_b32 exec_lo, exec_lo, s15
	s_and_saveexec_b32 s15, s14
	s_cbranch_execz .LBB0_1767
; %bb.1766:                             ;   in Loop: Header=BB0_1763 Depth=2
	s_wait_loadcnt 0x0
	v_cmp_eq_u32_e64 s0, s6, v5
	v_cmp_eq_u32_e64 s1, s6, v7
	s_and_b32 s0, s0, s1
	s_delay_alu instid0(SALU_CYCLE_1)
	s_or_not1_b32 s1, s0, exec_lo
.LBB0_1767:                             ;   in Loop: Header=BB0_1763 Depth=2
	s_or_b32 exec_lo, exec_lo, s15
	s_delay_alu instid0(SALU_CYCLE_1) | instskip(NEXT) | instid1(SALU_CYCLE_1)
	s_and_b32 s0, exec_lo, s1
	s_or_b32 s13, s0, s13
	s_delay_alu instid0(SALU_CYCLE_1)
	s_and_not1_b32 exec_lo, exec_lo, s13
	s_cbranch_execnz .LBB0_1763
; %bb.1768:                             ;   in Loop: Header=BB0_1763 Depth=2
	s_or_b32 exec_lo, exec_lo, s13
	s_wait_loadcnt 0x0
	v_dual_mov_b32 v5, v6 :: v_dual_mov_b32 v14, 0
	s_mov_b32 s13, 0
	s_delay_alu instid0(VALU_DEP_1) | instskip(SKIP_1) | instid1(SALU_CYCLE_1)
	v_cmp_eq_u64_e64 s0, s[6:7], v[4:5]
	s_or_b32 s12, s0, s12
	s_and_not1_b32 exec_lo, exec_lo, s12
	s_cbranch_execnz .LBB0_1763
; %bb.1769:                             ;   in Loop: Header=BB0_1755 Depth=1
	s_or_b32 exec_lo, exec_lo, s12
	s_add_co_i32 s6, s4, 2
	s_mov_b32 s1, s5
	s_bfe_u32 s0, s6, 0x100003
	v_dual_mov_b32 v0, s6 :: v_dual_mov_b32 v1, s6
	s_mulk_i32 s0, 0x20c5
	v_dual_mov_b32 v3, s6 :: v_dual_mov_b32 v14, 0
	s_lshr_b32 s0, s0, 20
	s_mov_b32 s7, s5
	s_mulk_i32 s0, 0x3e8
	s_mov_b32 s12, 0
	s_sub_co_i32 s0, s6, s0
	s_delay_alu instid0(SALU_CYCLE_1) | instskip(NEXT) | instid1(SALU_CYCLE_1)
	s_and_b32 s0, s0, 0xffff
	s_lshl_b32 s0, s0, 12
	s_delay_alu instid0(SALU_CYCLE_1)
	v_add_nc_u64_e32 v[4:5], s[0:1], v[10:11]
	v_add_nc_u64_e32 v[8:9], s[0:1], v[12:13]
	global_store_b128 v[4:5], v[0:3], off th:TH_STORE_NT
.LBB0_1770:                             ;   Parent Loop BB0_1755 Depth=1
                                        ; =>  This Inner Loop Header: Depth=2
	s_wait_loadcnt 0x0
	global_load_b128 v[4:7], v[8:9], off th:TH_LOAD_NT
	v_add_nc_u32_e32 v14, 1, v14
	s_mov_b32 s1, -1
	s_mov_b32 s14, -1
	s_mov_b32 s15, exec_lo
	s_wait_xcnt 0x0
	v_cmpx_eq_u32_e32 0xf4240, v14
	s_cbranch_execz .LBB0_1772
; %bb.1771:                             ;   in Loop: Header=BB0_1770 Depth=2
	s_wait_loadcnt 0x0
	s_wait_storecnt 0x0
	global_load_b32 v0, v2, s[10:11] scope:SCOPE_SYS
	s_wait_loadcnt 0x0
	global_inv scope:SCOPE_SYS
	v_mov_b32_e32 v14, 0
	v_cmp_eq_u32_e64 s0, 0, v0
	s_or_not1_b32 s14, s0, exec_lo
.LBB0_1772:                             ;   in Loop: Header=BB0_1770 Depth=2
	s_wait_xcnt 0x0
	s_or_b32 exec_lo, exec_lo, s15
	s_and_saveexec_b32 s15, s14
	s_cbranch_execz .LBB0_1774
; %bb.1773:                             ;   in Loop: Header=BB0_1770 Depth=2
	s_wait_loadcnt 0x0
	v_cmp_eq_u32_e64 s0, s6, v5
	v_cmp_eq_u32_e64 s1, s6, v7
	s_and_b32 s0, s0, s1
	s_delay_alu instid0(SALU_CYCLE_1)
	s_or_not1_b32 s1, s0, exec_lo
.LBB0_1774:                             ;   in Loop: Header=BB0_1770 Depth=2
	s_or_b32 exec_lo, exec_lo, s15
	s_delay_alu instid0(SALU_CYCLE_1) | instskip(NEXT) | instid1(SALU_CYCLE_1)
	s_and_b32 s0, exec_lo, s1
	s_or_b32 s13, s0, s13
	s_delay_alu instid0(SALU_CYCLE_1)
	s_and_not1_b32 exec_lo, exec_lo, s13
	s_cbranch_execnz .LBB0_1770
; %bb.1775:                             ;   in Loop: Header=BB0_1770 Depth=2
	s_or_b32 exec_lo, exec_lo, s13
	s_wait_loadcnt 0x0
	v_dual_mov_b32 v5, v6 :: v_dual_mov_b32 v14, 0
	s_mov_b32 s13, 0
	s_delay_alu instid0(VALU_DEP_1) | instskip(SKIP_1) | instid1(SALU_CYCLE_1)
	v_cmp_eq_u64_e64 s0, s[6:7], v[4:5]
	s_or_b32 s12, s0, s12
	s_and_not1_b32 exec_lo, exec_lo, s12
	s_cbranch_execnz .LBB0_1770
; %bb.1776:                             ;   in Loop: Header=BB0_1755 Depth=1
	s_or_b32 exec_lo, exec_lo, s12
	s_add_co_i32 s6, s4, 3
	s_mov_b32 s1, s5
	s_bfe_u32 s0, s6, 0x100003
	v_dual_mov_b32 v0, s6 :: v_dual_mov_b32 v1, s6
	s_mulk_i32 s0, 0x20c5
	v_dual_mov_b32 v3, s6 :: v_dual_mov_b32 v14, 0
	s_lshr_b32 s0, s0, 20
	s_mov_b32 s7, s5
	s_mulk_i32 s0, 0x3e8
	s_mov_b32 s12, 0
	s_sub_co_i32 s0, s6, s0
	s_delay_alu instid0(SALU_CYCLE_1) | instskip(NEXT) | instid1(SALU_CYCLE_1)
	s_and_b32 s0, s0, 0xffff
	s_lshl_b32 s0, s0, 12
	s_delay_alu instid0(SALU_CYCLE_1)
	v_add_nc_u64_e32 v[4:5], s[0:1], v[10:11]
	v_add_nc_u64_e32 v[8:9], s[0:1], v[12:13]
	global_store_b128 v[4:5], v[0:3], off th:TH_STORE_NT
.LBB0_1777:                             ;   Parent Loop BB0_1755 Depth=1
                                        ; =>  This Inner Loop Header: Depth=2
	s_wait_loadcnt 0x0
	global_load_b128 v[4:7], v[8:9], off th:TH_LOAD_NT
	v_add_nc_u32_e32 v14, 1, v14
	s_mov_b32 s1, -1
	s_mov_b32 s14, -1
	s_mov_b32 s15, exec_lo
	s_wait_xcnt 0x0
	v_cmpx_eq_u32_e32 0xf4240, v14
	s_cbranch_execz .LBB0_1779
; %bb.1778:                             ;   in Loop: Header=BB0_1777 Depth=2
	s_wait_loadcnt 0x0
	s_wait_storecnt 0x0
	global_load_b32 v0, v2, s[10:11] scope:SCOPE_SYS
	s_wait_loadcnt 0x0
	global_inv scope:SCOPE_SYS
	v_mov_b32_e32 v14, 0
	v_cmp_eq_u32_e64 s0, 0, v0
	s_or_not1_b32 s14, s0, exec_lo
.LBB0_1779:                             ;   in Loop: Header=BB0_1777 Depth=2
	s_wait_xcnt 0x0
	s_or_b32 exec_lo, exec_lo, s15
	s_and_saveexec_b32 s15, s14
	s_cbranch_execz .LBB0_1781
; %bb.1780:                             ;   in Loop: Header=BB0_1777 Depth=2
	s_wait_loadcnt 0x0
	v_cmp_eq_u32_e64 s0, s6, v5
	v_cmp_eq_u32_e64 s1, s6, v7
	s_and_b32 s0, s0, s1
	s_delay_alu instid0(SALU_CYCLE_1)
	s_or_not1_b32 s1, s0, exec_lo
.LBB0_1781:                             ;   in Loop: Header=BB0_1777 Depth=2
	s_or_b32 exec_lo, exec_lo, s15
	s_delay_alu instid0(SALU_CYCLE_1) | instskip(NEXT) | instid1(SALU_CYCLE_1)
	s_and_b32 s0, exec_lo, s1
	s_or_b32 s13, s0, s13
	s_delay_alu instid0(SALU_CYCLE_1)
	s_and_not1_b32 exec_lo, exec_lo, s13
	s_cbranch_execnz .LBB0_1777
; %bb.1782:                             ;   in Loop: Header=BB0_1777 Depth=2
	s_or_b32 exec_lo, exec_lo, s13
	s_wait_loadcnt 0x0
	v_dual_mov_b32 v5, v6 :: v_dual_mov_b32 v14, 0
	s_mov_b32 s13, 0
	s_delay_alu instid0(VALU_DEP_1) | instskip(SKIP_1) | instid1(SALU_CYCLE_1)
	v_cmp_eq_u64_e64 s0, s[6:7], v[4:5]
	s_or_b32 s12, s0, s12
	s_and_not1_b32 exec_lo, exec_lo, s12
	s_cbranch_execnz .LBB0_1777
; %bb.1783:                             ;   in Loop: Header=BB0_1755 Depth=1
	s_or_b32 exec_lo, exec_lo, s12
	s_add_co_i32 s6, s4, 4
	s_mov_b32 s1, s5
	s_bfe_u32 s0, s6, 0x100003
	v_dual_mov_b32 v0, s6 :: v_dual_mov_b32 v1, s6
	s_mulk_i32 s0, 0x20c5
	v_dual_mov_b32 v3, s6 :: v_dual_mov_b32 v14, 0
	s_lshr_b32 s0, s0, 20
	s_mov_b32 s7, s5
	s_mulk_i32 s0, 0x3e8
	s_mov_b32 s12, 0
	s_sub_co_i32 s0, s6, s0
	s_delay_alu instid0(SALU_CYCLE_1) | instskip(NEXT) | instid1(SALU_CYCLE_1)
	s_and_b32 s0, s0, 0xffff
	s_lshl_b32 s0, s0, 12
	s_delay_alu instid0(SALU_CYCLE_1)
	v_add_nc_u64_e32 v[4:5], s[0:1], v[10:11]
	v_add_nc_u64_e32 v[8:9], s[0:1], v[12:13]
	global_store_b128 v[4:5], v[0:3], off th:TH_STORE_NT
.LBB0_1784:                             ;   Parent Loop BB0_1755 Depth=1
                                        ; =>  This Inner Loop Header: Depth=2
	s_wait_loadcnt 0x0
	global_load_b128 v[4:7], v[8:9], off th:TH_LOAD_NT
	v_add_nc_u32_e32 v14, 1, v14
	s_mov_b32 s1, -1
	s_mov_b32 s14, -1
	s_mov_b32 s15, exec_lo
	s_wait_xcnt 0x0
	v_cmpx_eq_u32_e32 0xf4240, v14
	s_cbranch_execz .LBB0_1786
; %bb.1785:                             ;   in Loop: Header=BB0_1784 Depth=2
	s_wait_loadcnt 0x0
	s_wait_storecnt 0x0
	global_load_b32 v0, v2, s[10:11] scope:SCOPE_SYS
	s_wait_loadcnt 0x0
	global_inv scope:SCOPE_SYS
	v_mov_b32_e32 v14, 0
	v_cmp_eq_u32_e64 s0, 0, v0
	s_or_not1_b32 s14, s0, exec_lo
.LBB0_1786:                             ;   in Loop: Header=BB0_1784 Depth=2
	s_wait_xcnt 0x0
	s_or_b32 exec_lo, exec_lo, s15
	s_and_saveexec_b32 s15, s14
	s_cbranch_execz .LBB0_1788
; %bb.1787:                             ;   in Loop: Header=BB0_1784 Depth=2
	s_wait_loadcnt 0x0
	v_cmp_eq_u32_e64 s0, s6, v5
	v_cmp_eq_u32_e64 s1, s6, v7
	s_and_b32 s0, s0, s1
	s_delay_alu instid0(SALU_CYCLE_1)
	s_or_not1_b32 s1, s0, exec_lo
.LBB0_1788:                             ;   in Loop: Header=BB0_1784 Depth=2
	s_or_b32 exec_lo, exec_lo, s15
	s_delay_alu instid0(SALU_CYCLE_1) | instskip(NEXT) | instid1(SALU_CYCLE_1)
	s_and_b32 s0, exec_lo, s1
	s_or_b32 s13, s0, s13
	s_delay_alu instid0(SALU_CYCLE_1)
	s_and_not1_b32 exec_lo, exec_lo, s13
	s_cbranch_execnz .LBB0_1784
; %bb.1789:                             ;   in Loop: Header=BB0_1784 Depth=2
	s_or_b32 exec_lo, exec_lo, s13
	s_wait_loadcnt 0x0
	v_dual_mov_b32 v5, v6 :: v_dual_mov_b32 v14, 0
	s_mov_b32 s13, 0
	s_delay_alu instid0(VALU_DEP_1) | instskip(SKIP_1) | instid1(SALU_CYCLE_1)
	v_cmp_eq_u64_e64 s0, s[6:7], v[4:5]
	s_or_b32 s12, s0, s12
	s_and_not1_b32 exec_lo, exec_lo, s12
	s_cbranch_execnz .LBB0_1784
; %bb.1790:                             ;   in Loop: Header=BB0_1755 Depth=1
	s_or_b32 exec_lo, exec_lo, s12
	s_add_co_i32 s6, s4, 5
	s_mov_b32 s1, s5
	s_bfe_u32 s0, s6, 0x100003
	v_dual_mov_b32 v0, s6 :: v_dual_mov_b32 v1, s6
	s_mulk_i32 s0, 0x20c5
	v_dual_mov_b32 v3, s6 :: v_dual_mov_b32 v14, 0
	s_lshr_b32 s0, s0, 20
	s_mov_b32 s7, s5
	s_mulk_i32 s0, 0x3e8
	s_mov_b32 s12, 0
	s_sub_co_i32 s0, s6, s0
	s_delay_alu instid0(SALU_CYCLE_1) | instskip(NEXT) | instid1(SALU_CYCLE_1)
	s_and_b32 s0, s0, 0xffff
	s_lshl_b32 s0, s0, 12
	s_delay_alu instid0(SALU_CYCLE_1)
	v_add_nc_u64_e32 v[4:5], s[0:1], v[10:11]
	v_add_nc_u64_e32 v[8:9], s[0:1], v[12:13]
	global_store_b128 v[4:5], v[0:3], off th:TH_STORE_NT
.LBB0_1791:                             ;   Parent Loop BB0_1755 Depth=1
                                        ; =>  This Inner Loop Header: Depth=2
	s_wait_loadcnt 0x0
	global_load_b128 v[4:7], v[8:9], off th:TH_LOAD_NT
	v_add_nc_u32_e32 v14, 1, v14
	s_mov_b32 s1, -1
	s_mov_b32 s14, -1
	s_mov_b32 s15, exec_lo
	s_wait_xcnt 0x0
	v_cmpx_eq_u32_e32 0xf4240, v14
	s_cbranch_execz .LBB0_1793
; %bb.1792:                             ;   in Loop: Header=BB0_1791 Depth=2
	s_wait_loadcnt 0x0
	s_wait_storecnt 0x0
	global_load_b32 v0, v2, s[10:11] scope:SCOPE_SYS
	s_wait_loadcnt 0x0
	global_inv scope:SCOPE_SYS
	v_mov_b32_e32 v14, 0
	v_cmp_eq_u32_e64 s0, 0, v0
	s_or_not1_b32 s14, s0, exec_lo
.LBB0_1793:                             ;   in Loop: Header=BB0_1791 Depth=2
	s_wait_xcnt 0x0
	s_or_b32 exec_lo, exec_lo, s15
	s_and_saveexec_b32 s15, s14
	s_cbranch_execz .LBB0_1795
; %bb.1794:                             ;   in Loop: Header=BB0_1791 Depth=2
	s_wait_loadcnt 0x0
	v_cmp_eq_u32_e64 s0, s6, v5
	v_cmp_eq_u32_e64 s1, s6, v7
	s_and_b32 s0, s0, s1
	s_delay_alu instid0(SALU_CYCLE_1)
	s_or_not1_b32 s1, s0, exec_lo
.LBB0_1795:                             ;   in Loop: Header=BB0_1791 Depth=2
	s_or_b32 exec_lo, exec_lo, s15
	s_delay_alu instid0(SALU_CYCLE_1) | instskip(NEXT) | instid1(SALU_CYCLE_1)
	s_and_b32 s0, exec_lo, s1
	s_or_b32 s13, s0, s13
	s_delay_alu instid0(SALU_CYCLE_1)
	s_and_not1_b32 exec_lo, exec_lo, s13
	s_cbranch_execnz .LBB0_1791
; %bb.1796:                             ;   in Loop: Header=BB0_1791 Depth=2
	s_or_b32 exec_lo, exec_lo, s13
	s_wait_loadcnt 0x0
	v_dual_mov_b32 v5, v6 :: v_dual_mov_b32 v14, 0
	s_mov_b32 s13, 0
	s_delay_alu instid0(VALU_DEP_1) | instskip(SKIP_1) | instid1(SALU_CYCLE_1)
	v_cmp_eq_u64_e64 s0, s[6:7], v[4:5]
	s_or_b32 s12, s0, s12
	s_and_not1_b32 exec_lo, exec_lo, s12
	s_cbranch_execnz .LBB0_1791
; %bb.1797:                             ;   in Loop: Header=BB0_1755 Depth=1
	s_or_b32 exec_lo, exec_lo, s12
	s_add_co_i32 s6, s4, 6
	s_mov_b32 s1, s5
	s_bfe_u32 s0, s6, 0x100003
	v_dual_mov_b32 v0, s6 :: v_dual_mov_b32 v1, s6
	s_mulk_i32 s0, 0x20c5
	v_dual_mov_b32 v3, s6 :: v_dual_mov_b32 v14, 0
	s_lshr_b32 s0, s0, 20
	s_mov_b32 s7, s5
	s_mulk_i32 s0, 0x3e8
	s_mov_b32 s12, 0
	s_sub_co_i32 s0, s6, s0
	s_delay_alu instid0(SALU_CYCLE_1) | instskip(NEXT) | instid1(SALU_CYCLE_1)
	s_and_b32 s0, s0, 0xffff
	s_lshl_b32 s0, s0, 12
	s_delay_alu instid0(SALU_CYCLE_1)
	v_add_nc_u64_e32 v[4:5], s[0:1], v[10:11]
	v_add_nc_u64_e32 v[8:9], s[0:1], v[12:13]
	global_store_b128 v[4:5], v[0:3], off th:TH_STORE_NT
.LBB0_1798:                             ;   Parent Loop BB0_1755 Depth=1
                                        ; =>  This Inner Loop Header: Depth=2
	s_wait_loadcnt 0x0
	global_load_b128 v[4:7], v[8:9], off th:TH_LOAD_NT
	v_add_nc_u32_e32 v14, 1, v14
	s_mov_b32 s1, -1
	s_mov_b32 s14, -1
	s_mov_b32 s15, exec_lo
	s_wait_xcnt 0x0
	v_cmpx_eq_u32_e32 0xf4240, v14
	s_cbranch_execz .LBB0_1800
; %bb.1799:                             ;   in Loop: Header=BB0_1798 Depth=2
	s_wait_loadcnt 0x0
	s_wait_storecnt 0x0
	global_load_b32 v0, v2, s[10:11] scope:SCOPE_SYS
	s_wait_loadcnt 0x0
	global_inv scope:SCOPE_SYS
	v_mov_b32_e32 v14, 0
	v_cmp_eq_u32_e64 s0, 0, v0
	s_or_not1_b32 s14, s0, exec_lo
.LBB0_1800:                             ;   in Loop: Header=BB0_1798 Depth=2
	s_wait_xcnt 0x0
	s_or_b32 exec_lo, exec_lo, s15
	s_and_saveexec_b32 s15, s14
	s_cbranch_execz .LBB0_1802
; %bb.1801:                             ;   in Loop: Header=BB0_1798 Depth=2
	s_wait_loadcnt 0x0
	v_cmp_eq_u32_e64 s0, s6, v5
	v_cmp_eq_u32_e64 s1, s6, v7
	s_and_b32 s0, s0, s1
	s_delay_alu instid0(SALU_CYCLE_1)
	s_or_not1_b32 s1, s0, exec_lo
.LBB0_1802:                             ;   in Loop: Header=BB0_1798 Depth=2
	s_or_b32 exec_lo, exec_lo, s15
	s_delay_alu instid0(SALU_CYCLE_1) | instskip(NEXT) | instid1(SALU_CYCLE_1)
	s_and_b32 s0, exec_lo, s1
	s_or_b32 s13, s0, s13
	s_delay_alu instid0(SALU_CYCLE_1)
	s_and_not1_b32 exec_lo, exec_lo, s13
	s_cbranch_execnz .LBB0_1798
; %bb.1803:                             ;   in Loop: Header=BB0_1798 Depth=2
	s_or_b32 exec_lo, exec_lo, s13
	s_wait_loadcnt 0x0
	v_dual_mov_b32 v5, v6 :: v_dual_mov_b32 v14, 0
	s_mov_b32 s13, 0
	s_delay_alu instid0(VALU_DEP_1) | instskip(SKIP_1) | instid1(SALU_CYCLE_1)
	v_cmp_eq_u64_e64 s0, s[6:7], v[4:5]
	s_or_b32 s12, s0, s12
	s_and_not1_b32 exec_lo, exec_lo, s12
	s_cbranch_execnz .LBB0_1798
; %bb.1804:                             ;   in Loop: Header=BB0_1755 Depth=1
	s_or_b32 exec_lo, exec_lo, s12
	s_add_co_i32 s6, s4, 7
	s_mov_b32 s1, s5
	s_bfe_u32 s0, s6, 0x100003
	v_dual_mov_b32 v0, s6 :: v_dual_mov_b32 v1, s6
	s_mulk_i32 s0, 0x20c5
	v_dual_mov_b32 v3, s6 :: v_dual_mov_b32 v14, 0
	s_lshr_b32 s0, s0, 20
	s_mov_b32 s7, s5
	s_mulk_i32 s0, 0x3e8
	s_mov_b32 s12, 0
	s_sub_co_i32 s0, s6, s0
	s_delay_alu instid0(SALU_CYCLE_1) | instskip(NEXT) | instid1(SALU_CYCLE_1)
	s_and_b32 s0, s0, 0xffff
	s_lshl_b32 s0, s0, 12
	s_delay_alu instid0(SALU_CYCLE_1)
	v_add_nc_u64_e32 v[4:5], s[0:1], v[10:11]
	v_add_nc_u64_e32 v[8:9], s[0:1], v[12:13]
	global_store_b128 v[4:5], v[0:3], off th:TH_STORE_NT
.LBB0_1805:                             ;   Parent Loop BB0_1755 Depth=1
                                        ; =>  This Inner Loop Header: Depth=2
	s_wait_loadcnt 0x0
	global_load_b128 v[4:7], v[8:9], off th:TH_LOAD_NT
	v_add_nc_u32_e32 v14, 1, v14
	s_mov_b32 s1, -1
	s_mov_b32 s14, -1
	s_mov_b32 s15, exec_lo
	s_wait_xcnt 0x0
	v_cmpx_eq_u32_e32 0xf4240, v14
	s_cbranch_execz .LBB0_1807
; %bb.1806:                             ;   in Loop: Header=BB0_1805 Depth=2
	s_wait_loadcnt 0x0
	s_wait_storecnt 0x0
	global_load_b32 v0, v2, s[10:11] scope:SCOPE_SYS
	s_wait_loadcnt 0x0
	global_inv scope:SCOPE_SYS
	v_mov_b32_e32 v14, 0
	v_cmp_eq_u32_e64 s0, 0, v0
	s_or_not1_b32 s14, s0, exec_lo
.LBB0_1807:                             ;   in Loop: Header=BB0_1805 Depth=2
	s_wait_xcnt 0x0
	s_or_b32 exec_lo, exec_lo, s15
	s_and_saveexec_b32 s15, s14
	s_cbranch_execz .LBB0_1809
; %bb.1808:                             ;   in Loop: Header=BB0_1805 Depth=2
	s_wait_loadcnt 0x0
	v_cmp_eq_u32_e64 s0, s6, v5
	v_cmp_eq_u32_e64 s1, s6, v7
	s_and_b32 s0, s0, s1
	s_delay_alu instid0(SALU_CYCLE_1)
	s_or_not1_b32 s1, s0, exec_lo
.LBB0_1809:                             ;   in Loop: Header=BB0_1805 Depth=2
	s_or_b32 exec_lo, exec_lo, s15
	s_delay_alu instid0(SALU_CYCLE_1) | instskip(NEXT) | instid1(SALU_CYCLE_1)
	s_and_b32 s0, exec_lo, s1
	s_or_b32 s13, s0, s13
	s_delay_alu instid0(SALU_CYCLE_1)
	s_and_not1_b32 exec_lo, exec_lo, s13
	s_cbranch_execnz .LBB0_1805
; %bb.1810:                             ;   in Loop: Header=BB0_1805 Depth=2
	s_or_b32 exec_lo, exec_lo, s13
	s_wait_loadcnt 0x0
	v_dual_mov_b32 v5, v6 :: v_dual_mov_b32 v14, 0
	s_mov_b32 s13, 0
	s_delay_alu instid0(VALU_DEP_1) | instskip(SKIP_1) | instid1(SALU_CYCLE_1)
	v_cmp_eq_u64_e64 s0, s[6:7], v[4:5]
	s_or_b32 s12, s0, s12
	s_and_not1_b32 exec_lo, exec_lo, s12
	s_cbranch_execnz .LBB0_1805
; %bb.1811:                             ;   in Loop: Header=BB0_1755 Depth=1
	s_or_b32 exec_lo, exec_lo, s12
	s_add_co_i32 s6, s4, 8
	s_mov_b32 s1, s5
	s_bfe_u32 s0, s6, 0x100003
	v_dual_mov_b32 v0, s6 :: v_dual_mov_b32 v1, s6
	s_mulk_i32 s0, 0x20c5
	v_dual_mov_b32 v3, s6 :: v_dual_mov_b32 v14, 0
	s_lshr_b32 s0, s0, 20
	s_mov_b32 s7, s5
	s_mulk_i32 s0, 0x3e8
	s_mov_b32 s12, 0
	s_sub_co_i32 s0, s6, s0
	s_delay_alu instid0(SALU_CYCLE_1) | instskip(NEXT) | instid1(SALU_CYCLE_1)
	s_and_b32 s0, s0, 0xffff
	s_lshl_b32 s0, s0, 12
	s_delay_alu instid0(SALU_CYCLE_1)
	v_add_nc_u64_e32 v[4:5], s[0:1], v[10:11]
	v_add_nc_u64_e32 v[8:9], s[0:1], v[12:13]
	global_store_b128 v[4:5], v[0:3], off th:TH_STORE_NT
.LBB0_1812:                             ;   Parent Loop BB0_1755 Depth=1
                                        ; =>  This Inner Loop Header: Depth=2
	s_wait_loadcnt 0x0
	global_load_b128 v[4:7], v[8:9], off th:TH_LOAD_NT
	v_add_nc_u32_e32 v14, 1, v14
	s_mov_b32 s1, -1
	s_mov_b32 s14, -1
	s_mov_b32 s15, exec_lo
	s_wait_xcnt 0x0
	v_cmpx_eq_u32_e32 0xf4240, v14
	s_cbranch_execz .LBB0_1814
; %bb.1813:                             ;   in Loop: Header=BB0_1812 Depth=2
	s_wait_loadcnt 0x0
	s_wait_storecnt 0x0
	global_load_b32 v0, v2, s[10:11] scope:SCOPE_SYS
	s_wait_loadcnt 0x0
	global_inv scope:SCOPE_SYS
	v_mov_b32_e32 v14, 0
	v_cmp_eq_u32_e64 s0, 0, v0
	s_or_not1_b32 s14, s0, exec_lo
.LBB0_1814:                             ;   in Loop: Header=BB0_1812 Depth=2
	s_wait_xcnt 0x0
	s_or_b32 exec_lo, exec_lo, s15
	s_and_saveexec_b32 s15, s14
	s_cbranch_execz .LBB0_1816
; %bb.1815:                             ;   in Loop: Header=BB0_1812 Depth=2
	s_wait_loadcnt 0x0
	v_cmp_eq_u32_e64 s0, s6, v5
	v_cmp_eq_u32_e64 s1, s6, v7
	s_and_b32 s0, s0, s1
	s_delay_alu instid0(SALU_CYCLE_1)
	s_or_not1_b32 s1, s0, exec_lo
.LBB0_1816:                             ;   in Loop: Header=BB0_1812 Depth=2
	s_or_b32 exec_lo, exec_lo, s15
	s_delay_alu instid0(SALU_CYCLE_1) | instskip(NEXT) | instid1(SALU_CYCLE_1)
	s_and_b32 s0, exec_lo, s1
	s_or_b32 s13, s0, s13
	s_delay_alu instid0(SALU_CYCLE_1)
	s_and_not1_b32 exec_lo, exec_lo, s13
	s_cbranch_execnz .LBB0_1812
; %bb.1817:                             ;   in Loop: Header=BB0_1812 Depth=2
	s_or_b32 exec_lo, exec_lo, s13
	s_wait_loadcnt 0x0
	v_dual_mov_b32 v5, v6 :: v_dual_mov_b32 v14, 0
	s_mov_b32 s13, 0
	s_delay_alu instid0(VALU_DEP_1) | instskip(SKIP_1) | instid1(SALU_CYCLE_1)
	v_cmp_eq_u64_e64 s0, s[6:7], v[4:5]
	s_or_b32 s12, s0, s12
	s_and_not1_b32 exec_lo, exec_lo, s12
	s_cbranch_execnz .LBB0_1812
; %bb.1818:                             ;   in Loop: Header=BB0_1755 Depth=1
	s_or_b32 exec_lo, exec_lo, s12
	s_add_co_i32 s6, s4, 9
	s_mov_b32 s1, s5
	s_bfe_u32 s0, s6, 0x100003
	v_dual_mov_b32 v0, s6 :: v_dual_mov_b32 v1, s6
	s_mulk_i32 s0, 0x20c5
	v_dual_mov_b32 v3, s6 :: v_dual_mov_b32 v14, 0
	s_lshr_b32 s0, s0, 20
	s_mov_b32 s7, s5
	s_mulk_i32 s0, 0x3e8
	s_mov_b32 s12, 0
	s_sub_co_i32 s0, s6, s0
	s_delay_alu instid0(SALU_CYCLE_1) | instskip(NEXT) | instid1(SALU_CYCLE_1)
	s_and_b32 s0, s0, 0xffff
	s_lshl_b32 s0, s0, 12
	s_delay_alu instid0(SALU_CYCLE_1)
	v_add_nc_u64_e32 v[4:5], s[0:1], v[10:11]
	v_add_nc_u64_e32 v[8:9], s[0:1], v[12:13]
	global_store_b128 v[4:5], v[0:3], off th:TH_STORE_NT
.LBB0_1819:                             ;   Parent Loop BB0_1755 Depth=1
                                        ; =>  This Inner Loop Header: Depth=2
	s_wait_loadcnt 0x0
	global_load_b128 v[4:7], v[8:9], off th:TH_LOAD_NT
	v_add_nc_u32_e32 v14, 1, v14
	s_mov_b32 s1, -1
	s_mov_b32 s14, -1
	s_mov_b32 s15, exec_lo
	s_wait_xcnt 0x0
	v_cmpx_eq_u32_e32 0xf4240, v14
	s_cbranch_execz .LBB0_1821
; %bb.1820:                             ;   in Loop: Header=BB0_1819 Depth=2
	s_wait_loadcnt 0x0
	s_wait_storecnt 0x0
	global_load_b32 v0, v2, s[10:11] scope:SCOPE_SYS
	s_wait_loadcnt 0x0
	global_inv scope:SCOPE_SYS
	v_mov_b32_e32 v14, 0
	v_cmp_eq_u32_e64 s0, 0, v0
	s_or_not1_b32 s14, s0, exec_lo
.LBB0_1821:                             ;   in Loop: Header=BB0_1819 Depth=2
	s_wait_xcnt 0x0
	s_or_b32 exec_lo, exec_lo, s15
	s_and_saveexec_b32 s15, s14
	s_cbranch_execz .LBB0_1823
; %bb.1822:                             ;   in Loop: Header=BB0_1819 Depth=2
	s_wait_loadcnt 0x0
	v_cmp_eq_u32_e64 s0, s6, v5
	v_cmp_eq_u32_e64 s1, s6, v7
	s_and_b32 s0, s0, s1
	s_delay_alu instid0(SALU_CYCLE_1)
	s_or_not1_b32 s1, s0, exec_lo
.LBB0_1823:                             ;   in Loop: Header=BB0_1819 Depth=2
	s_or_b32 exec_lo, exec_lo, s15
	s_delay_alu instid0(SALU_CYCLE_1) | instskip(NEXT) | instid1(SALU_CYCLE_1)
	s_and_b32 s0, exec_lo, s1
	s_or_b32 s13, s0, s13
	s_delay_alu instid0(SALU_CYCLE_1)
	s_and_not1_b32 exec_lo, exec_lo, s13
	s_cbranch_execnz .LBB0_1819
; %bb.1824:                             ;   in Loop: Header=BB0_1819 Depth=2
	s_or_b32 exec_lo, exec_lo, s13
	s_wait_loadcnt 0x0
	v_dual_mov_b32 v5, v6 :: v_dual_mov_b32 v14, 0
	s_mov_b32 s13, 0
	s_delay_alu instid0(VALU_DEP_1) | instskip(SKIP_1) | instid1(SALU_CYCLE_1)
	v_cmp_eq_u64_e64 s0, s[6:7], v[4:5]
	s_or_b32 s12, s0, s12
	s_and_not1_b32 exec_lo, exec_lo, s12
	s_cbranch_execnz .LBB0_1819
; %bb.1825:                             ;   in Loop: Header=BB0_1755 Depth=1
	s_or_b32 exec_lo, exec_lo, s12
	s_add_co_i32 s6, s4, 10
	s_mov_b32 s1, s5
	s_bfe_u32 s0, s6, 0x100003
	v_dual_mov_b32 v0, s6 :: v_dual_mov_b32 v1, s6
	s_mulk_i32 s0, 0x20c5
	v_dual_mov_b32 v3, s6 :: v_dual_mov_b32 v14, 0
	s_lshr_b32 s0, s0, 20
	s_mov_b32 s7, s5
	s_mulk_i32 s0, 0x3e8
	s_mov_b32 s12, 0
	s_sub_co_i32 s0, s6, s0
	s_delay_alu instid0(SALU_CYCLE_1) | instskip(NEXT) | instid1(SALU_CYCLE_1)
	s_and_b32 s0, s0, 0xffff
	s_lshl_b32 s0, s0, 12
	s_delay_alu instid0(SALU_CYCLE_1)
	v_add_nc_u64_e32 v[4:5], s[0:1], v[10:11]
	v_add_nc_u64_e32 v[8:9], s[0:1], v[12:13]
	global_store_b128 v[4:5], v[0:3], off th:TH_STORE_NT
.LBB0_1826:                             ;   Parent Loop BB0_1755 Depth=1
                                        ; =>  This Inner Loop Header: Depth=2
	s_wait_loadcnt 0x0
	global_load_b128 v[4:7], v[8:9], off th:TH_LOAD_NT
	v_add_nc_u32_e32 v14, 1, v14
	s_mov_b32 s1, -1
	s_mov_b32 s14, -1
	s_mov_b32 s15, exec_lo
	s_wait_xcnt 0x0
	v_cmpx_eq_u32_e32 0xf4240, v14
	s_cbranch_execz .LBB0_1828
; %bb.1827:                             ;   in Loop: Header=BB0_1826 Depth=2
	s_wait_loadcnt 0x0
	s_wait_storecnt 0x0
	global_load_b32 v0, v2, s[10:11] scope:SCOPE_SYS
	s_wait_loadcnt 0x0
	global_inv scope:SCOPE_SYS
	v_mov_b32_e32 v14, 0
	v_cmp_eq_u32_e64 s0, 0, v0
	s_or_not1_b32 s14, s0, exec_lo
.LBB0_1828:                             ;   in Loop: Header=BB0_1826 Depth=2
	s_wait_xcnt 0x0
	s_or_b32 exec_lo, exec_lo, s15
	s_and_saveexec_b32 s15, s14
	s_cbranch_execz .LBB0_1830
; %bb.1829:                             ;   in Loop: Header=BB0_1826 Depth=2
	s_wait_loadcnt 0x0
	v_cmp_eq_u32_e64 s0, s6, v5
	v_cmp_eq_u32_e64 s1, s6, v7
	s_and_b32 s0, s0, s1
	s_delay_alu instid0(SALU_CYCLE_1)
	s_or_not1_b32 s1, s0, exec_lo
.LBB0_1830:                             ;   in Loop: Header=BB0_1826 Depth=2
	s_or_b32 exec_lo, exec_lo, s15
	s_delay_alu instid0(SALU_CYCLE_1) | instskip(NEXT) | instid1(SALU_CYCLE_1)
	s_and_b32 s0, exec_lo, s1
	s_or_b32 s13, s0, s13
	s_delay_alu instid0(SALU_CYCLE_1)
	s_and_not1_b32 exec_lo, exec_lo, s13
	s_cbranch_execnz .LBB0_1826
; %bb.1831:                             ;   in Loop: Header=BB0_1826 Depth=2
	s_or_b32 exec_lo, exec_lo, s13
	s_wait_loadcnt 0x0
	v_dual_mov_b32 v5, v6 :: v_dual_mov_b32 v14, 0
	s_mov_b32 s13, 0
	s_delay_alu instid0(VALU_DEP_1) | instskip(SKIP_1) | instid1(SALU_CYCLE_1)
	v_cmp_eq_u64_e64 s0, s[6:7], v[4:5]
	s_or_b32 s12, s0, s12
	s_and_not1_b32 exec_lo, exec_lo, s12
	s_cbranch_execnz .LBB0_1826
; %bb.1832:                             ;   in Loop: Header=BB0_1755 Depth=1
	s_or_b32 exec_lo, exec_lo, s12
	s_add_co_i32 s6, s4, 11
	s_mov_b32 s1, s5
	s_bfe_u32 s0, s6, 0x100003
	v_dual_mov_b32 v0, s6 :: v_dual_mov_b32 v1, s6
	s_mulk_i32 s0, 0x20c5
	v_dual_mov_b32 v3, s6 :: v_dual_mov_b32 v14, 0
	s_lshr_b32 s0, s0, 20
	s_mov_b32 s7, s5
	s_mulk_i32 s0, 0x3e8
	s_mov_b32 s12, 0
	s_sub_co_i32 s0, s6, s0
	s_delay_alu instid0(SALU_CYCLE_1) | instskip(NEXT) | instid1(SALU_CYCLE_1)
	s_and_b32 s0, s0, 0xffff
	s_lshl_b32 s0, s0, 12
	s_delay_alu instid0(SALU_CYCLE_1)
	v_add_nc_u64_e32 v[4:5], s[0:1], v[10:11]
	v_add_nc_u64_e32 v[8:9], s[0:1], v[12:13]
	global_store_b128 v[4:5], v[0:3], off th:TH_STORE_NT
.LBB0_1833:                             ;   Parent Loop BB0_1755 Depth=1
                                        ; =>  This Inner Loop Header: Depth=2
	s_wait_loadcnt 0x0
	global_load_b128 v[4:7], v[8:9], off th:TH_LOAD_NT
	v_add_nc_u32_e32 v14, 1, v14
	s_mov_b32 s1, -1
	s_mov_b32 s14, -1
	s_mov_b32 s15, exec_lo
	s_wait_xcnt 0x0
	v_cmpx_eq_u32_e32 0xf4240, v14
	s_cbranch_execz .LBB0_1835
; %bb.1834:                             ;   in Loop: Header=BB0_1833 Depth=2
	s_wait_loadcnt 0x0
	s_wait_storecnt 0x0
	global_load_b32 v0, v2, s[10:11] scope:SCOPE_SYS
	s_wait_loadcnt 0x0
	global_inv scope:SCOPE_SYS
	v_mov_b32_e32 v14, 0
	v_cmp_eq_u32_e64 s0, 0, v0
	s_or_not1_b32 s14, s0, exec_lo
.LBB0_1835:                             ;   in Loop: Header=BB0_1833 Depth=2
	s_wait_xcnt 0x0
	s_or_b32 exec_lo, exec_lo, s15
	s_and_saveexec_b32 s15, s14
	s_cbranch_execz .LBB0_1837
; %bb.1836:                             ;   in Loop: Header=BB0_1833 Depth=2
	s_wait_loadcnt 0x0
	v_cmp_eq_u32_e64 s0, s6, v5
	v_cmp_eq_u32_e64 s1, s6, v7
	s_and_b32 s0, s0, s1
	s_delay_alu instid0(SALU_CYCLE_1)
	s_or_not1_b32 s1, s0, exec_lo
.LBB0_1837:                             ;   in Loop: Header=BB0_1833 Depth=2
	s_or_b32 exec_lo, exec_lo, s15
	s_delay_alu instid0(SALU_CYCLE_1) | instskip(NEXT) | instid1(SALU_CYCLE_1)
	s_and_b32 s0, exec_lo, s1
	s_or_b32 s13, s0, s13
	s_delay_alu instid0(SALU_CYCLE_1)
	s_and_not1_b32 exec_lo, exec_lo, s13
	s_cbranch_execnz .LBB0_1833
; %bb.1838:                             ;   in Loop: Header=BB0_1833 Depth=2
	s_or_b32 exec_lo, exec_lo, s13
	s_wait_loadcnt 0x0
	v_dual_mov_b32 v5, v6 :: v_dual_mov_b32 v14, 0
	s_mov_b32 s13, 0
	s_delay_alu instid0(VALU_DEP_1) | instskip(SKIP_1) | instid1(SALU_CYCLE_1)
	v_cmp_eq_u64_e64 s0, s[6:7], v[4:5]
	s_or_b32 s12, s0, s12
	s_and_not1_b32 exec_lo, exec_lo, s12
	s_cbranch_execnz .LBB0_1833
; %bb.1839:                             ;   in Loop: Header=BB0_1755 Depth=1
	s_or_b32 exec_lo, exec_lo, s12
	s_add_co_i32 s6, s4, 12
	s_mov_b32 s1, s5
	s_bfe_u32 s0, s6, 0x100003
	v_dual_mov_b32 v0, s6 :: v_dual_mov_b32 v1, s6
	s_mulk_i32 s0, 0x20c5
	v_dual_mov_b32 v3, s6 :: v_dual_mov_b32 v14, 0
	s_lshr_b32 s0, s0, 20
	s_mov_b32 s7, s5
	s_mulk_i32 s0, 0x3e8
	s_mov_b32 s12, 0
	s_sub_co_i32 s0, s6, s0
	s_delay_alu instid0(SALU_CYCLE_1) | instskip(NEXT) | instid1(SALU_CYCLE_1)
	s_and_b32 s0, s0, 0xffff
	s_lshl_b32 s0, s0, 12
	s_delay_alu instid0(SALU_CYCLE_1)
	v_add_nc_u64_e32 v[4:5], s[0:1], v[10:11]
	v_add_nc_u64_e32 v[8:9], s[0:1], v[12:13]
	global_store_b128 v[4:5], v[0:3], off th:TH_STORE_NT
.LBB0_1840:                             ;   Parent Loop BB0_1755 Depth=1
                                        ; =>  This Inner Loop Header: Depth=2
	s_wait_loadcnt 0x0
	global_load_b128 v[4:7], v[8:9], off th:TH_LOAD_NT
	v_add_nc_u32_e32 v14, 1, v14
	s_mov_b32 s1, -1
	s_mov_b32 s14, -1
	s_mov_b32 s15, exec_lo
	s_wait_xcnt 0x0
	v_cmpx_eq_u32_e32 0xf4240, v14
	s_cbranch_execz .LBB0_1842
; %bb.1841:                             ;   in Loop: Header=BB0_1840 Depth=2
	s_wait_loadcnt 0x0
	s_wait_storecnt 0x0
	global_load_b32 v0, v2, s[10:11] scope:SCOPE_SYS
	s_wait_loadcnt 0x0
	global_inv scope:SCOPE_SYS
	v_mov_b32_e32 v14, 0
	v_cmp_eq_u32_e64 s0, 0, v0
	s_or_not1_b32 s14, s0, exec_lo
.LBB0_1842:                             ;   in Loop: Header=BB0_1840 Depth=2
	s_wait_xcnt 0x0
	s_or_b32 exec_lo, exec_lo, s15
	s_and_saveexec_b32 s15, s14
	s_cbranch_execz .LBB0_1844
; %bb.1843:                             ;   in Loop: Header=BB0_1840 Depth=2
	s_wait_loadcnt 0x0
	v_cmp_eq_u32_e64 s0, s6, v5
	v_cmp_eq_u32_e64 s1, s6, v7
	s_and_b32 s0, s0, s1
	s_delay_alu instid0(SALU_CYCLE_1)
	s_or_not1_b32 s1, s0, exec_lo
.LBB0_1844:                             ;   in Loop: Header=BB0_1840 Depth=2
	s_or_b32 exec_lo, exec_lo, s15
	s_delay_alu instid0(SALU_CYCLE_1) | instskip(NEXT) | instid1(SALU_CYCLE_1)
	s_and_b32 s0, exec_lo, s1
	s_or_b32 s13, s0, s13
	s_delay_alu instid0(SALU_CYCLE_1)
	s_and_not1_b32 exec_lo, exec_lo, s13
	s_cbranch_execnz .LBB0_1840
; %bb.1845:                             ;   in Loop: Header=BB0_1840 Depth=2
	s_or_b32 exec_lo, exec_lo, s13
	s_wait_loadcnt 0x0
	v_dual_mov_b32 v5, v6 :: v_dual_mov_b32 v14, 0
	s_mov_b32 s13, 0
	s_delay_alu instid0(VALU_DEP_1) | instskip(SKIP_1) | instid1(SALU_CYCLE_1)
	v_cmp_eq_u64_e64 s0, s[6:7], v[4:5]
	s_or_b32 s12, s0, s12
	s_and_not1_b32 exec_lo, exec_lo, s12
	s_cbranch_execnz .LBB0_1840
; %bb.1846:                             ;   in Loop: Header=BB0_1755 Depth=1
	s_or_b32 exec_lo, exec_lo, s12
	s_add_co_i32 s6, s4, 13
	s_mov_b32 s1, s5
	s_bfe_u32 s0, s6, 0x100003
	v_dual_mov_b32 v0, s6 :: v_dual_mov_b32 v1, s6
	s_mulk_i32 s0, 0x20c5
	v_dual_mov_b32 v3, s6 :: v_dual_mov_b32 v14, 0
	s_lshr_b32 s0, s0, 20
	s_mov_b32 s7, s5
	s_mulk_i32 s0, 0x3e8
	s_mov_b32 s12, 0
	s_sub_co_i32 s0, s6, s0
	s_delay_alu instid0(SALU_CYCLE_1) | instskip(NEXT) | instid1(SALU_CYCLE_1)
	s_and_b32 s0, s0, 0xffff
	s_lshl_b32 s0, s0, 12
	s_delay_alu instid0(SALU_CYCLE_1)
	v_add_nc_u64_e32 v[4:5], s[0:1], v[10:11]
	v_add_nc_u64_e32 v[8:9], s[0:1], v[12:13]
	global_store_b128 v[4:5], v[0:3], off th:TH_STORE_NT
.LBB0_1847:                             ;   Parent Loop BB0_1755 Depth=1
                                        ; =>  This Inner Loop Header: Depth=2
	s_wait_loadcnt 0x0
	global_load_b128 v[4:7], v[8:9], off th:TH_LOAD_NT
	v_add_nc_u32_e32 v14, 1, v14
	s_mov_b32 s1, -1
	s_mov_b32 s14, -1
	s_mov_b32 s15, exec_lo
	s_wait_xcnt 0x0
	v_cmpx_eq_u32_e32 0xf4240, v14
	s_cbranch_execz .LBB0_1849
; %bb.1848:                             ;   in Loop: Header=BB0_1847 Depth=2
	s_wait_loadcnt 0x0
	s_wait_storecnt 0x0
	global_load_b32 v0, v2, s[10:11] scope:SCOPE_SYS
	s_wait_loadcnt 0x0
	global_inv scope:SCOPE_SYS
	v_mov_b32_e32 v14, 0
	v_cmp_eq_u32_e64 s0, 0, v0
	s_or_not1_b32 s14, s0, exec_lo
.LBB0_1849:                             ;   in Loop: Header=BB0_1847 Depth=2
	s_wait_xcnt 0x0
	s_or_b32 exec_lo, exec_lo, s15
	s_and_saveexec_b32 s15, s14
	s_cbranch_execz .LBB0_1851
; %bb.1850:                             ;   in Loop: Header=BB0_1847 Depth=2
	s_wait_loadcnt 0x0
	v_cmp_eq_u32_e64 s0, s6, v5
	v_cmp_eq_u32_e64 s1, s6, v7
	s_and_b32 s0, s0, s1
	s_delay_alu instid0(SALU_CYCLE_1)
	s_or_not1_b32 s1, s0, exec_lo
.LBB0_1851:                             ;   in Loop: Header=BB0_1847 Depth=2
	s_or_b32 exec_lo, exec_lo, s15
	s_delay_alu instid0(SALU_CYCLE_1) | instskip(NEXT) | instid1(SALU_CYCLE_1)
	s_and_b32 s0, exec_lo, s1
	s_or_b32 s13, s0, s13
	s_delay_alu instid0(SALU_CYCLE_1)
	s_and_not1_b32 exec_lo, exec_lo, s13
	s_cbranch_execnz .LBB0_1847
; %bb.1852:                             ;   in Loop: Header=BB0_1847 Depth=2
	s_or_b32 exec_lo, exec_lo, s13
	s_wait_loadcnt 0x0
	v_dual_mov_b32 v5, v6 :: v_dual_mov_b32 v14, 0
	s_mov_b32 s13, 0
	s_delay_alu instid0(VALU_DEP_1) | instskip(SKIP_1) | instid1(SALU_CYCLE_1)
	v_cmp_eq_u64_e64 s0, s[6:7], v[4:5]
	s_or_b32 s12, s0, s12
	s_and_not1_b32 exec_lo, exec_lo, s12
	s_cbranch_execnz .LBB0_1847
; %bb.1853:                             ;   in Loop: Header=BB0_1755 Depth=1
	s_or_b32 exec_lo, exec_lo, s12
	s_add_co_i32 s6, s4, 14
	s_mov_b32 s1, s5
	s_bfe_u32 s0, s6, 0x100003
	v_dual_mov_b32 v0, s6 :: v_dual_mov_b32 v1, s6
	s_mulk_i32 s0, 0x20c5
	v_dual_mov_b32 v3, s6 :: v_dual_mov_b32 v14, 0
	s_lshr_b32 s0, s0, 20
	s_mov_b32 s7, s5
	s_mulk_i32 s0, 0x3e8
	s_mov_b32 s12, 0
	s_sub_co_i32 s0, s6, s0
	s_delay_alu instid0(SALU_CYCLE_1) | instskip(NEXT) | instid1(SALU_CYCLE_1)
	s_and_b32 s0, s0, 0xffff
	s_lshl_b32 s0, s0, 12
	s_delay_alu instid0(SALU_CYCLE_1)
	v_add_nc_u64_e32 v[4:5], s[0:1], v[10:11]
	v_add_nc_u64_e32 v[8:9], s[0:1], v[12:13]
	global_store_b128 v[4:5], v[0:3], off th:TH_STORE_NT
.LBB0_1854:                             ;   Parent Loop BB0_1755 Depth=1
                                        ; =>  This Inner Loop Header: Depth=2
	s_wait_loadcnt 0x0
	global_load_b128 v[4:7], v[8:9], off th:TH_LOAD_NT
	v_add_nc_u32_e32 v14, 1, v14
	s_mov_b32 s1, -1
	s_mov_b32 s14, -1
	s_mov_b32 s15, exec_lo
	s_wait_xcnt 0x0
	v_cmpx_eq_u32_e32 0xf4240, v14
	s_cbranch_execz .LBB0_1856
; %bb.1855:                             ;   in Loop: Header=BB0_1854 Depth=2
	s_wait_loadcnt 0x0
	s_wait_storecnt 0x0
	global_load_b32 v0, v2, s[10:11] scope:SCOPE_SYS
	s_wait_loadcnt 0x0
	global_inv scope:SCOPE_SYS
	v_mov_b32_e32 v14, 0
	v_cmp_eq_u32_e64 s0, 0, v0
	s_or_not1_b32 s14, s0, exec_lo
.LBB0_1856:                             ;   in Loop: Header=BB0_1854 Depth=2
	s_wait_xcnt 0x0
	s_or_b32 exec_lo, exec_lo, s15
	s_and_saveexec_b32 s15, s14
	s_cbranch_execz .LBB0_1858
; %bb.1857:                             ;   in Loop: Header=BB0_1854 Depth=2
	s_wait_loadcnt 0x0
	v_cmp_eq_u32_e64 s0, s6, v5
	v_cmp_eq_u32_e64 s1, s6, v7
	s_and_b32 s0, s0, s1
	s_delay_alu instid0(SALU_CYCLE_1)
	s_or_not1_b32 s1, s0, exec_lo
.LBB0_1858:                             ;   in Loop: Header=BB0_1854 Depth=2
	s_or_b32 exec_lo, exec_lo, s15
	s_delay_alu instid0(SALU_CYCLE_1) | instskip(NEXT) | instid1(SALU_CYCLE_1)
	s_and_b32 s0, exec_lo, s1
	s_or_b32 s13, s0, s13
	s_delay_alu instid0(SALU_CYCLE_1)
	s_and_not1_b32 exec_lo, exec_lo, s13
	s_cbranch_execnz .LBB0_1854
; %bb.1859:                             ;   in Loop: Header=BB0_1854 Depth=2
	s_or_b32 exec_lo, exec_lo, s13
	s_wait_loadcnt 0x0
	v_dual_mov_b32 v5, v6 :: v_dual_mov_b32 v14, 0
	s_mov_b32 s13, 0
	s_delay_alu instid0(VALU_DEP_1) | instskip(SKIP_1) | instid1(SALU_CYCLE_1)
	v_cmp_eq_u64_e64 s0, s[6:7], v[4:5]
	s_or_b32 s12, s0, s12
	s_and_not1_b32 exec_lo, exec_lo, s12
	s_cbranch_execnz .LBB0_1854
; %bb.1860:                             ;   in Loop: Header=BB0_1755 Depth=1
	s_or_b32 exec_lo, exec_lo, s12
	s_add_co_i32 s6, s4, 15
	s_mov_b32 s1, s5
	s_bfe_u32 s0, s6, 0x100003
	v_dual_mov_b32 v0, s6 :: v_dual_mov_b32 v1, s6
	s_mulk_i32 s0, 0x20c5
	v_dual_mov_b32 v3, s6 :: v_dual_mov_b32 v14, 0
	s_lshr_b32 s0, s0, 20
	s_mov_b32 s7, s5
	s_mulk_i32 s0, 0x3e8
	s_mov_b32 s12, 0
	s_sub_co_i32 s0, s6, s0
	s_delay_alu instid0(SALU_CYCLE_1) | instskip(NEXT) | instid1(SALU_CYCLE_1)
	s_and_b32 s0, s0, 0xffff
	s_lshl_b32 s0, s0, 12
	s_delay_alu instid0(SALU_CYCLE_1)
	v_add_nc_u64_e32 v[4:5], s[0:1], v[10:11]
	v_add_nc_u64_e32 v[8:9], s[0:1], v[12:13]
	global_store_b128 v[4:5], v[0:3], off th:TH_STORE_NT
.LBB0_1861:                             ;   Parent Loop BB0_1755 Depth=1
                                        ; =>  This Inner Loop Header: Depth=2
	s_wait_loadcnt 0x0
	global_load_b128 v[4:7], v[8:9], off th:TH_LOAD_NT
	v_add_nc_u32_e32 v14, 1, v14
	s_mov_b32 s1, -1
	s_mov_b32 s14, -1
	s_mov_b32 s15, exec_lo
	s_wait_xcnt 0x0
	v_cmpx_eq_u32_e32 0xf4240, v14
	s_cbranch_execz .LBB0_1863
; %bb.1862:                             ;   in Loop: Header=BB0_1861 Depth=2
	s_wait_loadcnt 0x0
	s_wait_storecnt 0x0
	global_load_b32 v0, v2, s[10:11] scope:SCOPE_SYS
	s_wait_loadcnt 0x0
	global_inv scope:SCOPE_SYS
	v_mov_b32_e32 v14, 0
	v_cmp_eq_u32_e64 s0, 0, v0
	s_or_not1_b32 s14, s0, exec_lo
.LBB0_1863:                             ;   in Loop: Header=BB0_1861 Depth=2
	s_wait_xcnt 0x0
	s_or_b32 exec_lo, exec_lo, s15
	s_and_saveexec_b32 s15, s14
	s_cbranch_execz .LBB0_1865
; %bb.1864:                             ;   in Loop: Header=BB0_1861 Depth=2
	s_wait_loadcnt 0x0
	v_cmp_eq_u32_e64 s0, s6, v5
	v_cmp_eq_u32_e64 s1, s6, v7
	s_and_b32 s0, s0, s1
	s_delay_alu instid0(SALU_CYCLE_1)
	s_or_not1_b32 s1, s0, exec_lo
.LBB0_1865:                             ;   in Loop: Header=BB0_1861 Depth=2
	s_or_b32 exec_lo, exec_lo, s15
	s_delay_alu instid0(SALU_CYCLE_1) | instskip(NEXT) | instid1(SALU_CYCLE_1)
	s_and_b32 s0, exec_lo, s1
	s_or_b32 s13, s0, s13
	s_delay_alu instid0(SALU_CYCLE_1)
	s_and_not1_b32 exec_lo, exec_lo, s13
	s_cbranch_execnz .LBB0_1861
; %bb.1866:                             ;   in Loop: Header=BB0_1861 Depth=2
	s_or_b32 exec_lo, exec_lo, s13
	s_wait_loadcnt 0x0
	v_dual_mov_b32 v5, v6 :: v_dual_mov_b32 v14, 0
	s_mov_b32 s13, 0
	s_delay_alu instid0(VALU_DEP_1) | instskip(SKIP_1) | instid1(SALU_CYCLE_1)
	v_cmp_eq_u64_e64 s0, s[6:7], v[4:5]
	s_or_b32 s12, s0, s12
	s_and_not1_b32 exec_lo, exec_lo, s12
	s_cbranch_execnz .LBB0_1861
; %bb.1867:                             ;   in Loop: Header=BB0_1755 Depth=1
	s_or_b32 exec_lo, exec_lo, s12
	s_add_co_i32 s6, s4, 16
	s_mov_b32 s1, s5
	s_bfe_u32 s0, s6, 0x100003
	v_dual_mov_b32 v0, s6 :: v_dual_mov_b32 v1, s6
	s_mulk_i32 s0, 0x20c5
	v_dual_mov_b32 v3, s6 :: v_dual_mov_b32 v14, 0
	s_lshr_b32 s0, s0, 20
	s_mov_b32 s7, s5
	s_mulk_i32 s0, 0x3e8
	s_mov_b32 s12, 0
	s_sub_co_i32 s0, s6, s0
	s_delay_alu instid0(SALU_CYCLE_1) | instskip(NEXT) | instid1(SALU_CYCLE_1)
	s_and_b32 s0, s0, 0xffff
	s_lshl_b32 s0, s0, 12
	s_delay_alu instid0(SALU_CYCLE_1)
	v_add_nc_u64_e32 v[4:5], s[0:1], v[10:11]
	v_add_nc_u64_e32 v[8:9], s[0:1], v[12:13]
	global_store_b128 v[4:5], v[0:3], off th:TH_STORE_NT
.LBB0_1868:                             ;   Parent Loop BB0_1755 Depth=1
                                        ; =>  This Inner Loop Header: Depth=2
	s_wait_loadcnt 0x0
	global_load_b128 v[4:7], v[8:9], off th:TH_LOAD_NT
	v_add_nc_u32_e32 v14, 1, v14
	s_mov_b32 s1, -1
	s_mov_b32 s14, -1
	s_mov_b32 s15, exec_lo
	s_wait_xcnt 0x0
	v_cmpx_eq_u32_e32 0xf4240, v14
	s_cbranch_execz .LBB0_1870
; %bb.1869:                             ;   in Loop: Header=BB0_1868 Depth=2
	s_wait_loadcnt 0x0
	s_wait_storecnt 0x0
	global_load_b32 v0, v2, s[10:11] scope:SCOPE_SYS
	s_wait_loadcnt 0x0
	global_inv scope:SCOPE_SYS
	v_mov_b32_e32 v14, 0
	v_cmp_eq_u32_e64 s0, 0, v0
	s_or_not1_b32 s14, s0, exec_lo
.LBB0_1870:                             ;   in Loop: Header=BB0_1868 Depth=2
	s_wait_xcnt 0x0
	s_or_b32 exec_lo, exec_lo, s15
	s_and_saveexec_b32 s15, s14
	s_cbranch_execz .LBB0_1872
; %bb.1871:                             ;   in Loop: Header=BB0_1868 Depth=2
	s_wait_loadcnt 0x0
	v_cmp_eq_u32_e64 s0, s6, v5
	v_cmp_eq_u32_e64 s1, s6, v7
	s_and_b32 s0, s0, s1
	s_delay_alu instid0(SALU_CYCLE_1)
	s_or_not1_b32 s1, s0, exec_lo
.LBB0_1872:                             ;   in Loop: Header=BB0_1868 Depth=2
	s_or_b32 exec_lo, exec_lo, s15
	s_delay_alu instid0(SALU_CYCLE_1) | instskip(NEXT) | instid1(SALU_CYCLE_1)
	s_and_b32 s0, exec_lo, s1
	s_or_b32 s13, s0, s13
	s_delay_alu instid0(SALU_CYCLE_1)
	s_and_not1_b32 exec_lo, exec_lo, s13
	s_cbranch_execnz .LBB0_1868
; %bb.1873:                             ;   in Loop: Header=BB0_1868 Depth=2
	s_or_b32 exec_lo, exec_lo, s13
	s_wait_loadcnt 0x0
	v_dual_mov_b32 v5, v6 :: v_dual_mov_b32 v14, 0
	s_mov_b32 s13, 0
	s_delay_alu instid0(VALU_DEP_1) | instskip(SKIP_1) | instid1(SALU_CYCLE_1)
	v_cmp_eq_u64_e64 s0, s[6:7], v[4:5]
	s_or_b32 s12, s0, s12
	s_and_not1_b32 exec_lo, exec_lo, s12
	s_cbranch_execnz .LBB0_1868
; %bb.1874:                             ;   in Loop: Header=BB0_1755 Depth=1
	s_or_b32 exec_lo, exec_lo, s12
	s_add_co_i32 s6, s4, 17
	s_mov_b32 s1, s5
	s_bfe_u32 s0, s6, 0x100003
	v_dual_mov_b32 v0, s6 :: v_dual_mov_b32 v1, s6
	s_mulk_i32 s0, 0x20c5
	v_dual_mov_b32 v3, s6 :: v_dual_mov_b32 v14, 0
	s_lshr_b32 s0, s0, 20
	s_mov_b32 s7, s5
	s_mulk_i32 s0, 0x3e8
	s_mov_b32 s12, 0
	s_sub_co_i32 s0, s6, s0
	s_delay_alu instid0(SALU_CYCLE_1) | instskip(NEXT) | instid1(SALU_CYCLE_1)
	s_and_b32 s0, s0, 0xffff
	s_lshl_b32 s0, s0, 12
	s_delay_alu instid0(SALU_CYCLE_1)
	v_add_nc_u64_e32 v[4:5], s[0:1], v[10:11]
	v_add_nc_u64_e32 v[8:9], s[0:1], v[12:13]
	global_store_b128 v[4:5], v[0:3], off th:TH_STORE_NT
.LBB0_1875:                             ;   Parent Loop BB0_1755 Depth=1
                                        ; =>  This Inner Loop Header: Depth=2
	s_wait_loadcnt 0x0
	global_load_b128 v[4:7], v[8:9], off th:TH_LOAD_NT
	v_add_nc_u32_e32 v14, 1, v14
	s_mov_b32 s1, -1
	s_mov_b32 s14, -1
	s_mov_b32 s15, exec_lo
	s_wait_xcnt 0x0
	v_cmpx_eq_u32_e32 0xf4240, v14
	s_cbranch_execz .LBB0_1877
; %bb.1876:                             ;   in Loop: Header=BB0_1875 Depth=2
	s_wait_loadcnt 0x0
	s_wait_storecnt 0x0
	global_load_b32 v0, v2, s[10:11] scope:SCOPE_SYS
	s_wait_loadcnt 0x0
	global_inv scope:SCOPE_SYS
	v_mov_b32_e32 v14, 0
	v_cmp_eq_u32_e64 s0, 0, v0
	s_or_not1_b32 s14, s0, exec_lo
.LBB0_1877:                             ;   in Loop: Header=BB0_1875 Depth=2
	s_wait_xcnt 0x0
	s_or_b32 exec_lo, exec_lo, s15
	s_and_saveexec_b32 s15, s14
	s_cbranch_execz .LBB0_1879
; %bb.1878:                             ;   in Loop: Header=BB0_1875 Depth=2
	s_wait_loadcnt 0x0
	v_cmp_eq_u32_e64 s0, s6, v5
	v_cmp_eq_u32_e64 s1, s6, v7
	s_and_b32 s0, s0, s1
	s_delay_alu instid0(SALU_CYCLE_1)
	s_or_not1_b32 s1, s0, exec_lo
.LBB0_1879:                             ;   in Loop: Header=BB0_1875 Depth=2
	s_or_b32 exec_lo, exec_lo, s15
	s_delay_alu instid0(SALU_CYCLE_1) | instskip(NEXT) | instid1(SALU_CYCLE_1)
	s_and_b32 s0, exec_lo, s1
	s_or_b32 s13, s0, s13
	s_delay_alu instid0(SALU_CYCLE_1)
	s_and_not1_b32 exec_lo, exec_lo, s13
	s_cbranch_execnz .LBB0_1875
; %bb.1880:                             ;   in Loop: Header=BB0_1875 Depth=2
	s_or_b32 exec_lo, exec_lo, s13
	s_wait_loadcnt 0x0
	v_dual_mov_b32 v5, v6 :: v_dual_mov_b32 v14, 0
	s_mov_b32 s13, 0
	s_delay_alu instid0(VALU_DEP_1) | instskip(SKIP_1) | instid1(SALU_CYCLE_1)
	v_cmp_eq_u64_e64 s0, s[6:7], v[4:5]
	s_or_b32 s12, s0, s12
	s_and_not1_b32 exec_lo, exec_lo, s12
	s_cbranch_execnz .LBB0_1875
; %bb.1881:                             ;   in Loop: Header=BB0_1755 Depth=1
	s_or_b32 exec_lo, exec_lo, s12
	s_add_co_i32 s6, s4, 18
	s_mov_b32 s1, s5
	s_bfe_u32 s0, s6, 0x100003
	v_dual_mov_b32 v0, s6 :: v_dual_mov_b32 v1, s6
	s_mulk_i32 s0, 0x20c5
	v_dual_mov_b32 v3, s6 :: v_dual_mov_b32 v14, 0
	s_lshr_b32 s0, s0, 20
	s_mov_b32 s7, s5
	s_mulk_i32 s0, 0x3e8
	s_mov_b32 s12, 0
	s_sub_co_i32 s0, s6, s0
	s_delay_alu instid0(SALU_CYCLE_1) | instskip(NEXT) | instid1(SALU_CYCLE_1)
	s_and_b32 s0, s0, 0xffff
	s_lshl_b32 s0, s0, 12
	s_delay_alu instid0(SALU_CYCLE_1)
	v_add_nc_u64_e32 v[4:5], s[0:1], v[10:11]
	v_add_nc_u64_e32 v[8:9], s[0:1], v[12:13]
	global_store_b128 v[4:5], v[0:3], off th:TH_STORE_NT
.LBB0_1882:                             ;   Parent Loop BB0_1755 Depth=1
                                        ; =>  This Inner Loop Header: Depth=2
	s_wait_loadcnt 0x0
	global_load_b128 v[4:7], v[8:9], off th:TH_LOAD_NT
	v_add_nc_u32_e32 v14, 1, v14
	s_mov_b32 s1, -1
	s_mov_b32 s14, -1
	s_mov_b32 s15, exec_lo
	s_wait_xcnt 0x0
	v_cmpx_eq_u32_e32 0xf4240, v14
	s_cbranch_execz .LBB0_1884
; %bb.1883:                             ;   in Loop: Header=BB0_1882 Depth=2
	s_wait_loadcnt 0x0
	s_wait_storecnt 0x0
	global_load_b32 v0, v2, s[10:11] scope:SCOPE_SYS
	s_wait_loadcnt 0x0
	global_inv scope:SCOPE_SYS
	v_mov_b32_e32 v14, 0
	v_cmp_eq_u32_e64 s0, 0, v0
	s_or_not1_b32 s14, s0, exec_lo
.LBB0_1884:                             ;   in Loop: Header=BB0_1882 Depth=2
	s_wait_xcnt 0x0
	s_or_b32 exec_lo, exec_lo, s15
	s_and_saveexec_b32 s15, s14
	s_cbranch_execz .LBB0_1886
; %bb.1885:                             ;   in Loop: Header=BB0_1882 Depth=2
	s_wait_loadcnt 0x0
	v_cmp_eq_u32_e64 s0, s6, v5
	v_cmp_eq_u32_e64 s1, s6, v7
	s_and_b32 s0, s0, s1
	s_delay_alu instid0(SALU_CYCLE_1)
	s_or_not1_b32 s1, s0, exec_lo
.LBB0_1886:                             ;   in Loop: Header=BB0_1882 Depth=2
	s_or_b32 exec_lo, exec_lo, s15
	s_delay_alu instid0(SALU_CYCLE_1) | instskip(NEXT) | instid1(SALU_CYCLE_1)
	s_and_b32 s0, exec_lo, s1
	s_or_b32 s13, s0, s13
	s_delay_alu instid0(SALU_CYCLE_1)
	s_and_not1_b32 exec_lo, exec_lo, s13
	s_cbranch_execnz .LBB0_1882
; %bb.1887:                             ;   in Loop: Header=BB0_1882 Depth=2
	s_or_b32 exec_lo, exec_lo, s13
	s_wait_loadcnt 0x0
	v_dual_mov_b32 v5, v6 :: v_dual_mov_b32 v14, 0
	s_mov_b32 s13, 0
	s_delay_alu instid0(VALU_DEP_1) | instskip(SKIP_1) | instid1(SALU_CYCLE_1)
	v_cmp_eq_u64_e64 s0, s[6:7], v[4:5]
	s_or_b32 s12, s0, s12
	s_and_not1_b32 exec_lo, exec_lo, s12
	s_cbranch_execnz .LBB0_1882
; %bb.1888:                             ;   in Loop: Header=BB0_1755 Depth=1
	s_or_b32 exec_lo, exec_lo, s12
	s_add_co_i32 s6, s4, 19
	s_mov_b32 s1, s5
	s_bfe_u32 s0, s6, 0x100003
	v_dual_mov_b32 v0, s6 :: v_dual_mov_b32 v1, s6
	s_mulk_i32 s0, 0x20c5
	v_dual_mov_b32 v3, s6 :: v_dual_mov_b32 v14, 0
	s_lshr_b32 s0, s0, 20
	s_mov_b32 s7, s5
	s_mulk_i32 s0, 0x3e8
	s_mov_b32 s12, 0
	s_sub_co_i32 s0, s6, s0
	s_delay_alu instid0(SALU_CYCLE_1) | instskip(NEXT) | instid1(SALU_CYCLE_1)
	s_and_b32 s0, s0, 0xffff
	s_lshl_b32 s0, s0, 12
	s_delay_alu instid0(SALU_CYCLE_1)
	v_add_nc_u64_e32 v[4:5], s[0:1], v[10:11]
	v_add_nc_u64_e32 v[8:9], s[0:1], v[12:13]
	global_store_b128 v[4:5], v[0:3], off th:TH_STORE_NT
.LBB0_1889:                             ;   Parent Loop BB0_1755 Depth=1
                                        ; =>  This Inner Loop Header: Depth=2
	s_wait_loadcnt 0x0
	global_load_b128 v[4:7], v[8:9], off th:TH_LOAD_NT
	v_add_nc_u32_e32 v14, 1, v14
	s_mov_b32 s1, -1
	s_mov_b32 s14, -1
	s_mov_b32 s15, exec_lo
	s_wait_xcnt 0x0
	v_cmpx_eq_u32_e32 0xf4240, v14
	s_cbranch_execz .LBB0_1891
; %bb.1890:                             ;   in Loop: Header=BB0_1889 Depth=2
	s_wait_loadcnt 0x0
	s_wait_storecnt 0x0
	global_load_b32 v0, v2, s[10:11] scope:SCOPE_SYS
	s_wait_loadcnt 0x0
	global_inv scope:SCOPE_SYS
	v_mov_b32_e32 v14, 0
	v_cmp_eq_u32_e64 s0, 0, v0
	s_or_not1_b32 s14, s0, exec_lo
.LBB0_1891:                             ;   in Loop: Header=BB0_1889 Depth=2
	s_wait_xcnt 0x0
	s_or_b32 exec_lo, exec_lo, s15
	s_and_saveexec_b32 s15, s14
	s_cbranch_execz .LBB0_1893
; %bb.1892:                             ;   in Loop: Header=BB0_1889 Depth=2
	s_wait_loadcnt 0x0
	v_cmp_eq_u32_e64 s0, s6, v5
	v_cmp_eq_u32_e64 s1, s6, v7
	s_and_b32 s0, s0, s1
	s_delay_alu instid0(SALU_CYCLE_1)
	s_or_not1_b32 s1, s0, exec_lo
.LBB0_1893:                             ;   in Loop: Header=BB0_1889 Depth=2
	s_or_b32 exec_lo, exec_lo, s15
	s_delay_alu instid0(SALU_CYCLE_1) | instskip(NEXT) | instid1(SALU_CYCLE_1)
	s_and_b32 s0, exec_lo, s1
	s_or_b32 s13, s0, s13
	s_delay_alu instid0(SALU_CYCLE_1)
	s_and_not1_b32 exec_lo, exec_lo, s13
	s_cbranch_execnz .LBB0_1889
; %bb.1894:                             ;   in Loop: Header=BB0_1889 Depth=2
	s_or_b32 exec_lo, exec_lo, s13
	s_wait_loadcnt 0x0
	v_dual_mov_b32 v5, v6 :: v_dual_mov_b32 v14, 0
	s_mov_b32 s13, 0
	s_delay_alu instid0(VALU_DEP_1) | instskip(SKIP_1) | instid1(SALU_CYCLE_1)
	v_cmp_eq_u64_e64 s0, s[6:7], v[4:5]
	s_or_b32 s12, s0, s12
	s_and_not1_b32 exec_lo, exec_lo, s12
	s_cbranch_execnz .LBB0_1889
; %bb.1895:                             ;   in Loop: Header=BB0_1755 Depth=1
	s_or_b32 exec_lo, exec_lo, s12
	s_add_co_i32 s6, s4, 20
	s_mov_b32 s1, s5
	s_bfe_u32 s0, s6, 0x100003
	v_dual_mov_b32 v0, s6 :: v_dual_mov_b32 v1, s6
	s_mulk_i32 s0, 0x20c5
	v_dual_mov_b32 v3, s6 :: v_dual_mov_b32 v14, 0
	s_lshr_b32 s0, s0, 20
	s_mov_b32 s7, s5
	s_mulk_i32 s0, 0x3e8
	s_mov_b32 s12, 0
	s_sub_co_i32 s0, s6, s0
	s_delay_alu instid0(SALU_CYCLE_1) | instskip(NEXT) | instid1(SALU_CYCLE_1)
	s_and_b32 s0, s0, 0xffff
	s_lshl_b32 s0, s0, 12
	s_delay_alu instid0(SALU_CYCLE_1)
	v_add_nc_u64_e32 v[4:5], s[0:1], v[10:11]
	v_add_nc_u64_e32 v[8:9], s[0:1], v[12:13]
	global_store_b128 v[4:5], v[0:3], off th:TH_STORE_NT
.LBB0_1896:                             ;   Parent Loop BB0_1755 Depth=1
                                        ; =>  This Inner Loop Header: Depth=2
	s_wait_loadcnt 0x0
	global_load_b128 v[4:7], v[8:9], off th:TH_LOAD_NT
	v_add_nc_u32_e32 v14, 1, v14
	s_mov_b32 s1, -1
	s_mov_b32 s14, -1
	s_mov_b32 s15, exec_lo
	s_wait_xcnt 0x0
	v_cmpx_eq_u32_e32 0xf4240, v14
	s_cbranch_execz .LBB0_1898
; %bb.1897:                             ;   in Loop: Header=BB0_1896 Depth=2
	s_wait_loadcnt 0x0
	s_wait_storecnt 0x0
	global_load_b32 v0, v2, s[10:11] scope:SCOPE_SYS
	s_wait_loadcnt 0x0
	global_inv scope:SCOPE_SYS
	v_mov_b32_e32 v14, 0
	v_cmp_eq_u32_e64 s0, 0, v0
	s_or_not1_b32 s14, s0, exec_lo
.LBB0_1898:                             ;   in Loop: Header=BB0_1896 Depth=2
	s_wait_xcnt 0x0
	s_or_b32 exec_lo, exec_lo, s15
	s_and_saveexec_b32 s15, s14
	s_cbranch_execz .LBB0_1900
; %bb.1899:                             ;   in Loop: Header=BB0_1896 Depth=2
	s_wait_loadcnt 0x0
	v_cmp_eq_u32_e64 s0, s6, v5
	v_cmp_eq_u32_e64 s1, s6, v7
	s_and_b32 s0, s0, s1
	s_delay_alu instid0(SALU_CYCLE_1)
	s_or_not1_b32 s1, s0, exec_lo
.LBB0_1900:                             ;   in Loop: Header=BB0_1896 Depth=2
	s_or_b32 exec_lo, exec_lo, s15
	s_delay_alu instid0(SALU_CYCLE_1) | instskip(NEXT) | instid1(SALU_CYCLE_1)
	s_and_b32 s0, exec_lo, s1
	s_or_b32 s13, s0, s13
	s_delay_alu instid0(SALU_CYCLE_1)
	s_and_not1_b32 exec_lo, exec_lo, s13
	s_cbranch_execnz .LBB0_1896
; %bb.1901:                             ;   in Loop: Header=BB0_1896 Depth=2
	s_or_b32 exec_lo, exec_lo, s13
	s_wait_loadcnt 0x0
	v_dual_mov_b32 v5, v6 :: v_dual_mov_b32 v14, 0
	s_mov_b32 s13, 0
	s_delay_alu instid0(VALU_DEP_1) | instskip(SKIP_1) | instid1(SALU_CYCLE_1)
	v_cmp_eq_u64_e64 s0, s[6:7], v[4:5]
	s_or_b32 s12, s0, s12
	s_and_not1_b32 exec_lo, exec_lo, s12
	s_cbranch_execnz .LBB0_1896
; %bb.1902:                             ;   in Loop: Header=BB0_1755 Depth=1
	s_or_b32 exec_lo, exec_lo, s12
	s_add_co_i32 s6, s4, 21
	s_mov_b32 s1, s5
	s_bfe_u32 s0, s6, 0x100003
	v_dual_mov_b32 v0, s6 :: v_dual_mov_b32 v1, s6
	s_mulk_i32 s0, 0x20c5
	v_dual_mov_b32 v3, s6 :: v_dual_mov_b32 v14, 0
	s_lshr_b32 s0, s0, 20
	s_mov_b32 s7, s5
	s_mulk_i32 s0, 0x3e8
	s_mov_b32 s12, 0
	s_sub_co_i32 s0, s6, s0
	s_delay_alu instid0(SALU_CYCLE_1) | instskip(NEXT) | instid1(SALU_CYCLE_1)
	s_and_b32 s0, s0, 0xffff
	s_lshl_b32 s0, s0, 12
	s_delay_alu instid0(SALU_CYCLE_1)
	v_add_nc_u64_e32 v[4:5], s[0:1], v[10:11]
	v_add_nc_u64_e32 v[8:9], s[0:1], v[12:13]
	global_store_b128 v[4:5], v[0:3], off th:TH_STORE_NT
.LBB0_1903:                             ;   Parent Loop BB0_1755 Depth=1
                                        ; =>  This Inner Loop Header: Depth=2
	s_wait_loadcnt 0x0
	global_load_b128 v[4:7], v[8:9], off th:TH_LOAD_NT
	v_add_nc_u32_e32 v14, 1, v14
	s_mov_b32 s1, -1
	s_mov_b32 s14, -1
	s_mov_b32 s15, exec_lo
	s_wait_xcnt 0x0
	v_cmpx_eq_u32_e32 0xf4240, v14
	s_cbranch_execz .LBB0_1905
; %bb.1904:                             ;   in Loop: Header=BB0_1903 Depth=2
	s_wait_loadcnt 0x0
	s_wait_storecnt 0x0
	global_load_b32 v0, v2, s[10:11] scope:SCOPE_SYS
	s_wait_loadcnt 0x0
	global_inv scope:SCOPE_SYS
	v_mov_b32_e32 v14, 0
	v_cmp_eq_u32_e64 s0, 0, v0
	s_or_not1_b32 s14, s0, exec_lo
.LBB0_1905:                             ;   in Loop: Header=BB0_1903 Depth=2
	s_wait_xcnt 0x0
	s_or_b32 exec_lo, exec_lo, s15
	s_and_saveexec_b32 s15, s14
	s_cbranch_execz .LBB0_1907
; %bb.1906:                             ;   in Loop: Header=BB0_1903 Depth=2
	s_wait_loadcnt 0x0
	v_cmp_eq_u32_e64 s0, s6, v5
	v_cmp_eq_u32_e64 s1, s6, v7
	s_and_b32 s0, s0, s1
	s_delay_alu instid0(SALU_CYCLE_1)
	s_or_not1_b32 s1, s0, exec_lo
.LBB0_1907:                             ;   in Loop: Header=BB0_1903 Depth=2
	s_or_b32 exec_lo, exec_lo, s15
	s_delay_alu instid0(SALU_CYCLE_1) | instskip(NEXT) | instid1(SALU_CYCLE_1)
	s_and_b32 s0, exec_lo, s1
	s_or_b32 s13, s0, s13
	s_delay_alu instid0(SALU_CYCLE_1)
	s_and_not1_b32 exec_lo, exec_lo, s13
	s_cbranch_execnz .LBB0_1903
; %bb.1908:                             ;   in Loop: Header=BB0_1903 Depth=2
	s_or_b32 exec_lo, exec_lo, s13
	s_wait_loadcnt 0x0
	v_dual_mov_b32 v5, v6 :: v_dual_mov_b32 v14, 0
	s_mov_b32 s13, 0
	s_delay_alu instid0(VALU_DEP_1) | instskip(SKIP_1) | instid1(SALU_CYCLE_1)
	v_cmp_eq_u64_e64 s0, s[6:7], v[4:5]
	s_or_b32 s12, s0, s12
	s_and_not1_b32 exec_lo, exec_lo, s12
	s_cbranch_execnz .LBB0_1903
; %bb.1909:                             ;   in Loop: Header=BB0_1755 Depth=1
	s_or_b32 exec_lo, exec_lo, s12
	s_add_co_i32 s6, s4, 22
	s_mov_b32 s1, s5
	s_bfe_u32 s0, s6, 0x100003
	v_dual_mov_b32 v0, s6 :: v_dual_mov_b32 v1, s6
	s_mulk_i32 s0, 0x20c5
	v_dual_mov_b32 v3, s6 :: v_dual_mov_b32 v14, 0
	s_lshr_b32 s0, s0, 20
	s_mov_b32 s7, s5
	s_mulk_i32 s0, 0x3e8
	s_mov_b32 s12, 0
	s_sub_co_i32 s0, s6, s0
	s_delay_alu instid0(SALU_CYCLE_1) | instskip(NEXT) | instid1(SALU_CYCLE_1)
	s_and_b32 s0, s0, 0xffff
	s_lshl_b32 s0, s0, 12
	s_delay_alu instid0(SALU_CYCLE_1)
	v_add_nc_u64_e32 v[4:5], s[0:1], v[10:11]
	v_add_nc_u64_e32 v[8:9], s[0:1], v[12:13]
	global_store_b128 v[4:5], v[0:3], off th:TH_STORE_NT
.LBB0_1910:                             ;   Parent Loop BB0_1755 Depth=1
                                        ; =>  This Inner Loop Header: Depth=2
	s_wait_loadcnt 0x0
	global_load_b128 v[4:7], v[8:9], off th:TH_LOAD_NT
	v_add_nc_u32_e32 v14, 1, v14
	s_mov_b32 s1, -1
	s_mov_b32 s14, -1
	s_mov_b32 s15, exec_lo
	s_wait_xcnt 0x0
	v_cmpx_eq_u32_e32 0xf4240, v14
	s_cbranch_execz .LBB0_1912
; %bb.1911:                             ;   in Loop: Header=BB0_1910 Depth=2
	s_wait_loadcnt 0x0
	s_wait_storecnt 0x0
	global_load_b32 v0, v2, s[10:11] scope:SCOPE_SYS
	s_wait_loadcnt 0x0
	global_inv scope:SCOPE_SYS
	v_mov_b32_e32 v14, 0
	v_cmp_eq_u32_e64 s0, 0, v0
	s_or_not1_b32 s14, s0, exec_lo
.LBB0_1912:                             ;   in Loop: Header=BB0_1910 Depth=2
	s_wait_xcnt 0x0
	s_or_b32 exec_lo, exec_lo, s15
	s_and_saveexec_b32 s15, s14
	s_cbranch_execz .LBB0_1914
; %bb.1913:                             ;   in Loop: Header=BB0_1910 Depth=2
	s_wait_loadcnt 0x0
	v_cmp_eq_u32_e64 s0, s6, v5
	v_cmp_eq_u32_e64 s1, s6, v7
	s_and_b32 s0, s0, s1
	s_delay_alu instid0(SALU_CYCLE_1)
	s_or_not1_b32 s1, s0, exec_lo
.LBB0_1914:                             ;   in Loop: Header=BB0_1910 Depth=2
	s_or_b32 exec_lo, exec_lo, s15
	s_delay_alu instid0(SALU_CYCLE_1) | instskip(NEXT) | instid1(SALU_CYCLE_1)
	s_and_b32 s0, exec_lo, s1
	s_or_b32 s13, s0, s13
	s_delay_alu instid0(SALU_CYCLE_1)
	s_and_not1_b32 exec_lo, exec_lo, s13
	s_cbranch_execnz .LBB0_1910
; %bb.1915:                             ;   in Loop: Header=BB0_1910 Depth=2
	s_or_b32 exec_lo, exec_lo, s13
	s_wait_loadcnt 0x0
	v_dual_mov_b32 v5, v6 :: v_dual_mov_b32 v14, 0
	s_mov_b32 s13, 0
	s_delay_alu instid0(VALU_DEP_1) | instskip(SKIP_1) | instid1(SALU_CYCLE_1)
	v_cmp_eq_u64_e64 s0, s[6:7], v[4:5]
	s_or_b32 s12, s0, s12
	s_and_not1_b32 exec_lo, exec_lo, s12
	s_cbranch_execnz .LBB0_1910
; %bb.1916:                             ;   in Loop: Header=BB0_1755 Depth=1
	s_or_b32 exec_lo, exec_lo, s12
	s_add_co_i32 s6, s4, 23
	s_mov_b32 s1, s5
	s_bfe_u32 s0, s6, 0x100003
	v_dual_mov_b32 v0, s6 :: v_dual_mov_b32 v1, s6
	s_mulk_i32 s0, 0x20c5
	v_dual_mov_b32 v3, s6 :: v_dual_mov_b32 v14, 0
	s_lshr_b32 s0, s0, 20
	s_mov_b32 s7, s5
	s_mulk_i32 s0, 0x3e8
	s_mov_b32 s12, 0
	s_sub_co_i32 s0, s6, s0
	s_delay_alu instid0(SALU_CYCLE_1) | instskip(NEXT) | instid1(SALU_CYCLE_1)
	s_and_b32 s0, s0, 0xffff
	s_lshl_b32 s0, s0, 12
	s_delay_alu instid0(SALU_CYCLE_1)
	v_add_nc_u64_e32 v[4:5], s[0:1], v[10:11]
	v_add_nc_u64_e32 v[8:9], s[0:1], v[12:13]
	global_store_b128 v[4:5], v[0:3], off th:TH_STORE_NT
.LBB0_1917:                             ;   Parent Loop BB0_1755 Depth=1
                                        ; =>  This Inner Loop Header: Depth=2
	s_wait_loadcnt 0x0
	global_load_b128 v[4:7], v[8:9], off th:TH_LOAD_NT
	v_add_nc_u32_e32 v14, 1, v14
	s_mov_b32 s1, -1
	s_mov_b32 s14, -1
	s_mov_b32 s15, exec_lo
	s_wait_xcnt 0x0
	v_cmpx_eq_u32_e32 0xf4240, v14
	s_cbranch_execz .LBB0_1919
; %bb.1918:                             ;   in Loop: Header=BB0_1917 Depth=2
	s_wait_loadcnt 0x0
	s_wait_storecnt 0x0
	global_load_b32 v0, v2, s[10:11] scope:SCOPE_SYS
	s_wait_loadcnt 0x0
	global_inv scope:SCOPE_SYS
	v_mov_b32_e32 v14, 0
	v_cmp_eq_u32_e64 s0, 0, v0
	s_or_not1_b32 s14, s0, exec_lo
.LBB0_1919:                             ;   in Loop: Header=BB0_1917 Depth=2
	s_wait_xcnt 0x0
	s_or_b32 exec_lo, exec_lo, s15
	s_and_saveexec_b32 s15, s14
	s_cbranch_execz .LBB0_1921
; %bb.1920:                             ;   in Loop: Header=BB0_1917 Depth=2
	s_wait_loadcnt 0x0
	v_cmp_eq_u32_e64 s0, s6, v5
	v_cmp_eq_u32_e64 s1, s6, v7
	s_and_b32 s0, s0, s1
	s_delay_alu instid0(SALU_CYCLE_1)
	s_or_not1_b32 s1, s0, exec_lo
.LBB0_1921:                             ;   in Loop: Header=BB0_1917 Depth=2
	s_or_b32 exec_lo, exec_lo, s15
	s_delay_alu instid0(SALU_CYCLE_1) | instskip(NEXT) | instid1(SALU_CYCLE_1)
	s_and_b32 s0, exec_lo, s1
	s_or_b32 s13, s0, s13
	s_delay_alu instid0(SALU_CYCLE_1)
	s_and_not1_b32 exec_lo, exec_lo, s13
	s_cbranch_execnz .LBB0_1917
; %bb.1922:                             ;   in Loop: Header=BB0_1917 Depth=2
	s_or_b32 exec_lo, exec_lo, s13
	s_wait_loadcnt 0x0
	v_dual_mov_b32 v5, v6 :: v_dual_mov_b32 v14, 0
	s_mov_b32 s13, 0
	s_delay_alu instid0(VALU_DEP_1) | instskip(SKIP_1) | instid1(SALU_CYCLE_1)
	v_cmp_eq_u64_e64 s0, s[6:7], v[4:5]
	s_or_b32 s12, s0, s12
	s_and_not1_b32 exec_lo, exec_lo, s12
	s_cbranch_execnz .LBB0_1917
; %bb.1923:                             ;   in Loop: Header=BB0_1755 Depth=1
	s_or_b32 exec_lo, exec_lo, s12
	s_add_co_i32 s6, s4, 24
	s_mov_b32 s1, s5
	s_bfe_u32 s0, s6, 0x100003
	v_dual_mov_b32 v0, s6 :: v_dual_mov_b32 v1, s6
	s_mulk_i32 s0, 0x20c5
	v_dual_mov_b32 v3, s6 :: v_dual_mov_b32 v14, 0
	s_lshr_b32 s0, s0, 20
	s_mov_b32 s7, s5
	s_mulk_i32 s0, 0x3e8
	s_mov_b32 s12, 0
	s_sub_co_i32 s0, s6, s0
	s_delay_alu instid0(SALU_CYCLE_1) | instskip(NEXT) | instid1(SALU_CYCLE_1)
	s_and_b32 s0, s0, 0xffff
	s_lshl_b32 s0, s0, 12
	s_delay_alu instid0(SALU_CYCLE_1)
	v_add_nc_u64_e32 v[4:5], s[0:1], v[10:11]
	v_add_nc_u64_e32 v[8:9], s[0:1], v[12:13]
	global_store_b128 v[4:5], v[0:3], off th:TH_STORE_NT
.LBB0_1924:                             ;   Parent Loop BB0_1755 Depth=1
                                        ; =>  This Inner Loop Header: Depth=2
	s_wait_loadcnt 0x0
	global_load_b128 v[4:7], v[8:9], off th:TH_LOAD_NT
	v_add_nc_u32_e32 v14, 1, v14
	s_mov_b32 s1, -1
	s_mov_b32 s14, -1
	s_mov_b32 s15, exec_lo
	s_wait_xcnt 0x0
	v_cmpx_eq_u32_e32 0xf4240, v14
	s_cbranch_execz .LBB0_1926
; %bb.1925:                             ;   in Loop: Header=BB0_1924 Depth=2
	s_wait_loadcnt 0x0
	s_wait_storecnt 0x0
	global_load_b32 v0, v2, s[10:11] scope:SCOPE_SYS
	s_wait_loadcnt 0x0
	global_inv scope:SCOPE_SYS
	v_mov_b32_e32 v14, 0
	v_cmp_eq_u32_e64 s0, 0, v0
	s_or_not1_b32 s14, s0, exec_lo
.LBB0_1926:                             ;   in Loop: Header=BB0_1924 Depth=2
	s_wait_xcnt 0x0
	s_or_b32 exec_lo, exec_lo, s15
	s_and_saveexec_b32 s15, s14
	s_cbranch_execz .LBB0_1928
; %bb.1927:                             ;   in Loop: Header=BB0_1924 Depth=2
	s_wait_loadcnt 0x0
	v_cmp_eq_u32_e64 s0, s6, v5
	v_cmp_eq_u32_e64 s1, s6, v7
	s_and_b32 s0, s0, s1
	s_delay_alu instid0(SALU_CYCLE_1)
	s_or_not1_b32 s1, s0, exec_lo
.LBB0_1928:                             ;   in Loop: Header=BB0_1924 Depth=2
	s_or_b32 exec_lo, exec_lo, s15
	s_delay_alu instid0(SALU_CYCLE_1) | instskip(NEXT) | instid1(SALU_CYCLE_1)
	s_and_b32 s0, exec_lo, s1
	s_or_b32 s13, s0, s13
	s_delay_alu instid0(SALU_CYCLE_1)
	s_and_not1_b32 exec_lo, exec_lo, s13
	s_cbranch_execnz .LBB0_1924
; %bb.1929:                             ;   in Loop: Header=BB0_1924 Depth=2
	s_or_b32 exec_lo, exec_lo, s13
	s_wait_loadcnt 0x0
	v_dual_mov_b32 v5, v6 :: v_dual_mov_b32 v14, 0
	s_mov_b32 s13, 0
	s_delay_alu instid0(VALU_DEP_1) | instskip(SKIP_1) | instid1(SALU_CYCLE_1)
	v_cmp_eq_u64_e64 s0, s[6:7], v[4:5]
	s_or_b32 s12, s0, s12
	s_and_not1_b32 exec_lo, exec_lo, s12
	s_cbranch_execnz .LBB0_1924
; %bb.1930:                             ;   in Loop: Header=BB0_1755 Depth=1
	s_or_b32 exec_lo, exec_lo, s12
	s_add_co_i32 s6, s4, 25
	s_mov_b32 s1, s5
	s_bfe_u32 s0, s6, 0x100003
	v_dual_mov_b32 v0, s6 :: v_dual_mov_b32 v1, s6
	s_mulk_i32 s0, 0x20c5
	v_dual_mov_b32 v3, s6 :: v_dual_mov_b32 v14, 0
	s_lshr_b32 s0, s0, 20
	s_mov_b32 s7, s5
	s_mulk_i32 s0, 0x3e8
	s_mov_b32 s12, 0
	s_sub_co_i32 s0, s6, s0
	s_delay_alu instid0(SALU_CYCLE_1) | instskip(NEXT) | instid1(SALU_CYCLE_1)
	s_and_b32 s0, s0, 0xffff
	s_lshl_b32 s0, s0, 12
	s_delay_alu instid0(SALU_CYCLE_1)
	v_add_nc_u64_e32 v[4:5], s[0:1], v[10:11]
	v_add_nc_u64_e32 v[8:9], s[0:1], v[12:13]
	global_store_b128 v[4:5], v[0:3], off th:TH_STORE_NT
.LBB0_1931:                             ;   Parent Loop BB0_1755 Depth=1
                                        ; =>  This Inner Loop Header: Depth=2
	s_wait_loadcnt 0x0
	global_load_b128 v[4:7], v[8:9], off th:TH_LOAD_NT
	v_add_nc_u32_e32 v14, 1, v14
	s_mov_b32 s1, -1
	s_mov_b32 s14, -1
	s_mov_b32 s15, exec_lo
	s_wait_xcnt 0x0
	v_cmpx_eq_u32_e32 0xf4240, v14
	s_cbranch_execz .LBB0_1933
; %bb.1932:                             ;   in Loop: Header=BB0_1931 Depth=2
	s_wait_loadcnt 0x0
	s_wait_storecnt 0x0
	global_load_b32 v0, v2, s[10:11] scope:SCOPE_SYS
	s_wait_loadcnt 0x0
	global_inv scope:SCOPE_SYS
	v_mov_b32_e32 v14, 0
	v_cmp_eq_u32_e64 s0, 0, v0
	s_or_not1_b32 s14, s0, exec_lo
.LBB0_1933:                             ;   in Loop: Header=BB0_1931 Depth=2
	s_wait_xcnt 0x0
	s_or_b32 exec_lo, exec_lo, s15
	s_and_saveexec_b32 s15, s14
	s_cbranch_execz .LBB0_1935
; %bb.1934:                             ;   in Loop: Header=BB0_1931 Depth=2
	s_wait_loadcnt 0x0
	v_cmp_eq_u32_e64 s0, s6, v5
	v_cmp_eq_u32_e64 s1, s6, v7
	s_and_b32 s0, s0, s1
	s_delay_alu instid0(SALU_CYCLE_1)
	s_or_not1_b32 s1, s0, exec_lo
.LBB0_1935:                             ;   in Loop: Header=BB0_1931 Depth=2
	s_or_b32 exec_lo, exec_lo, s15
	s_delay_alu instid0(SALU_CYCLE_1) | instskip(NEXT) | instid1(SALU_CYCLE_1)
	s_and_b32 s0, exec_lo, s1
	s_or_b32 s13, s0, s13
	s_delay_alu instid0(SALU_CYCLE_1)
	s_and_not1_b32 exec_lo, exec_lo, s13
	s_cbranch_execnz .LBB0_1931
; %bb.1936:                             ;   in Loop: Header=BB0_1931 Depth=2
	s_or_b32 exec_lo, exec_lo, s13
	s_wait_loadcnt 0x0
	v_dual_mov_b32 v5, v6 :: v_dual_mov_b32 v14, 0
	s_mov_b32 s13, 0
	s_delay_alu instid0(VALU_DEP_1) | instskip(SKIP_1) | instid1(SALU_CYCLE_1)
	v_cmp_eq_u64_e64 s0, s[6:7], v[4:5]
	s_or_b32 s12, s0, s12
	s_and_not1_b32 exec_lo, exec_lo, s12
	s_cbranch_execnz .LBB0_1931
; %bb.1937:                             ;   in Loop: Header=BB0_1755 Depth=1
	s_or_b32 exec_lo, exec_lo, s12
	s_add_co_i32 s6, s4, 26
	s_mov_b32 s1, s5
	s_bfe_u32 s0, s6, 0x100003
	v_dual_mov_b32 v0, s6 :: v_dual_mov_b32 v1, s6
	s_mulk_i32 s0, 0x20c5
	v_dual_mov_b32 v3, s6 :: v_dual_mov_b32 v14, 0
	s_lshr_b32 s0, s0, 20
	s_mov_b32 s7, s5
	s_mulk_i32 s0, 0x3e8
	s_mov_b32 s12, 0
	s_sub_co_i32 s0, s6, s0
	s_delay_alu instid0(SALU_CYCLE_1) | instskip(NEXT) | instid1(SALU_CYCLE_1)
	s_and_b32 s0, s0, 0xffff
	s_lshl_b32 s0, s0, 12
	s_delay_alu instid0(SALU_CYCLE_1)
	v_add_nc_u64_e32 v[4:5], s[0:1], v[10:11]
	v_add_nc_u64_e32 v[8:9], s[0:1], v[12:13]
	global_store_b128 v[4:5], v[0:3], off th:TH_STORE_NT
.LBB0_1938:                             ;   Parent Loop BB0_1755 Depth=1
                                        ; =>  This Inner Loop Header: Depth=2
	s_wait_loadcnt 0x0
	global_load_b128 v[4:7], v[8:9], off th:TH_LOAD_NT
	v_add_nc_u32_e32 v14, 1, v14
	s_mov_b32 s1, -1
	s_mov_b32 s14, -1
	s_mov_b32 s15, exec_lo
	s_wait_xcnt 0x0
	v_cmpx_eq_u32_e32 0xf4240, v14
	s_cbranch_execz .LBB0_1940
; %bb.1939:                             ;   in Loop: Header=BB0_1938 Depth=2
	s_wait_loadcnt 0x0
	s_wait_storecnt 0x0
	global_load_b32 v0, v2, s[10:11] scope:SCOPE_SYS
	s_wait_loadcnt 0x0
	global_inv scope:SCOPE_SYS
	v_mov_b32_e32 v14, 0
	v_cmp_eq_u32_e64 s0, 0, v0
	s_or_not1_b32 s14, s0, exec_lo
.LBB0_1940:                             ;   in Loop: Header=BB0_1938 Depth=2
	s_wait_xcnt 0x0
	s_or_b32 exec_lo, exec_lo, s15
	s_and_saveexec_b32 s15, s14
	s_cbranch_execz .LBB0_1942
; %bb.1941:                             ;   in Loop: Header=BB0_1938 Depth=2
	s_wait_loadcnt 0x0
	v_cmp_eq_u32_e64 s0, s6, v5
	v_cmp_eq_u32_e64 s1, s6, v7
	s_and_b32 s0, s0, s1
	s_delay_alu instid0(SALU_CYCLE_1)
	s_or_not1_b32 s1, s0, exec_lo
.LBB0_1942:                             ;   in Loop: Header=BB0_1938 Depth=2
	s_or_b32 exec_lo, exec_lo, s15
	s_delay_alu instid0(SALU_CYCLE_1) | instskip(NEXT) | instid1(SALU_CYCLE_1)
	s_and_b32 s0, exec_lo, s1
	s_or_b32 s13, s0, s13
	s_delay_alu instid0(SALU_CYCLE_1)
	s_and_not1_b32 exec_lo, exec_lo, s13
	s_cbranch_execnz .LBB0_1938
; %bb.1943:                             ;   in Loop: Header=BB0_1938 Depth=2
	s_or_b32 exec_lo, exec_lo, s13
	s_wait_loadcnt 0x0
	v_dual_mov_b32 v5, v6 :: v_dual_mov_b32 v14, 0
	s_mov_b32 s13, 0
	s_delay_alu instid0(VALU_DEP_1) | instskip(SKIP_1) | instid1(SALU_CYCLE_1)
	v_cmp_eq_u64_e64 s0, s[6:7], v[4:5]
	s_or_b32 s12, s0, s12
	s_and_not1_b32 exec_lo, exec_lo, s12
	s_cbranch_execnz .LBB0_1938
; %bb.1944:                             ;   in Loop: Header=BB0_1755 Depth=1
	s_or_b32 exec_lo, exec_lo, s12
	s_add_co_i32 s6, s4, 27
	s_mov_b32 s1, s5
	s_bfe_u32 s0, s6, 0x100003
	v_dual_mov_b32 v0, s6 :: v_dual_mov_b32 v1, s6
	s_mulk_i32 s0, 0x20c5
	v_dual_mov_b32 v3, s6 :: v_dual_mov_b32 v14, 0
	s_lshr_b32 s0, s0, 20
	s_mov_b32 s7, s5
	s_mulk_i32 s0, 0x3e8
	s_mov_b32 s12, 0
	s_sub_co_i32 s0, s6, s0
	s_delay_alu instid0(SALU_CYCLE_1) | instskip(NEXT) | instid1(SALU_CYCLE_1)
	s_and_b32 s0, s0, 0xffff
	s_lshl_b32 s0, s0, 12
	s_delay_alu instid0(SALU_CYCLE_1)
	v_add_nc_u64_e32 v[4:5], s[0:1], v[10:11]
	v_add_nc_u64_e32 v[8:9], s[0:1], v[12:13]
	global_store_b128 v[4:5], v[0:3], off th:TH_STORE_NT
.LBB0_1945:                             ;   Parent Loop BB0_1755 Depth=1
                                        ; =>  This Inner Loop Header: Depth=2
	s_wait_loadcnt 0x0
	global_load_b128 v[4:7], v[8:9], off th:TH_LOAD_NT
	v_add_nc_u32_e32 v14, 1, v14
	s_mov_b32 s1, -1
	s_mov_b32 s14, -1
	s_mov_b32 s15, exec_lo
	s_wait_xcnt 0x0
	v_cmpx_eq_u32_e32 0xf4240, v14
	s_cbranch_execz .LBB0_1947
; %bb.1946:                             ;   in Loop: Header=BB0_1945 Depth=2
	s_wait_loadcnt 0x0
	s_wait_storecnt 0x0
	global_load_b32 v0, v2, s[10:11] scope:SCOPE_SYS
	s_wait_loadcnt 0x0
	global_inv scope:SCOPE_SYS
	v_mov_b32_e32 v14, 0
	v_cmp_eq_u32_e64 s0, 0, v0
	s_or_not1_b32 s14, s0, exec_lo
.LBB0_1947:                             ;   in Loop: Header=BB0_1945 Depth=2
	s_wait_xcnt 0x0
	s_or_b32 exec_lo, exec_lo, s15
	s_and_saveexec_b32 s15, s14
	s_cbranch_execz .LBB0_1949
; %bb.1948:                             ;   in Loop: Header=BB0_1945 Depth=2
	s_wait_loadcnt 0x0
	v_cmp_eq_u32_e64 s0, s6, v5
	v_cmp_eq_u32_e64 s1, s6, v7
	s_and_b32 s0, s0, s1
	s_delay_alu instid0(SALU_CYCLE_1)
	s_or_not1_b32 s1, s0, exec_lo
.LBB0_1949:                             ;   in Loop: Header=BB0_1945 Depth=2
	s_or_b32 exec_lo, exec_lo, s15
	s_delay_alu instid0(SALU_CYCLE_1) | instskip(NEXT) | instid1(SALU_CYCLE_1)
	s_and_b32 s0, exec_lo, s1
	s_or_b32 s13, s0, s13
	s_delay_alu instid0(SALU_CYCLE_1)
	s_and_not1_b32 exec_lo, exec_lo, s13
	s_cbranch_execnz .LBB0_1945
; %bb.1950:                             ;   in Loop: Header=BB0_1945 Depth=2
	s_or_b32 exec_lo, exec_lo, s13
	s_wait_loadcnt 0x0
	v_dual_mov_b32 v5, v6 :: v_dual_mov_b32 v14, 0
	s_mov_b32 s13, 0
	s_delay_alu instid0(VALU_DEP_1) | instskip(SKIP_1) | instid1(SALU_CYCLE_1)
	v_cmp_eq_u64_e64 s0, s[6:7], v[4:5]
	s_or_b32 s12, s0, s12
	s_and_not1_b32 exec_lo, exec_lo, s12
	s_cbranch_execnz .LBB0_1945
; %bb.1951:                             ;   in Loop: Header=BB0_1755 Depth=1
	s_or_b32 exec_lo, exec_lo, s12
	s_add_co_i32 s6, s4, 28
	s_mov_b32 s1, s5
	s_bfe_u32 s0, s6, 0x100003
	v_dual_mov_b32 v0, s6 :: v_dual_mov_b32 v1, s6
	s_mulk_i32 s0, 0x20c5
	v_dual_mov_b32 v3, s6 :: v_dual_mov_b32 v14, 0
	s_lshr_b32 s0, s0, 20
	s_mov_b32 s7, s5
	s_mulk_i32 s0, 0x3e8
	s_mov_b32 s12, 0
	s_sub_co_i32 s0, s6, s0
	s_delay_alu instid0(SALU_CYCLE_1) | instskip(NEXT) | instid1(SALU_CYCLE_1)
	s_and_b32 s0, s0, 0xffff
	s_lshl_b32 s0, s0, 12
	s_delay_alu instid0(SALU_CYCLE_1)
	v_add_nc_u64_e32 v[4:5], s[0:1], v[10:11]
	v_add_nc_u64_e32 v[8:9], s[0:1], v[12:13]
	global_store_b128 v[4:5], v[0:3], off th:TH_STORE_NT
.LBB0_1952:                             ;   Parent Loop BB0_1755 Depth=1
                                        ; =>  This Inner Loop Header: Depth=2
	s_wait_loadcnt 0x0
	global_load_b128 v[4:7], v[8:9], off th:TH_LOAD_NT
	v_add_nc_u32_e32 v14, 1, v14
	s_mov_b32 s1, -1
	s_mov_b32 s14, -1
	s_mov_b32 s15, exec_lo
	s_wait_xcnt 0x0
	v_cmpx_eq_u32_e32 0xf4240, v14
	s_cbranch_execz .LBB0_1954
; %bb.1953:                             ;   in Loop: Header=BB0_1952 Depth=2
	s_wait_loadcnt 0x0
	s_wait_storecnt 0x0
	global_load_b32 v0, v2, s[10:11] scope:SCOPE_SYS
	s_wait_loadcnt 0x0
	global_inv scope:SCOPE_SYS
	v_mov_b32_e32 v14, 0
	v_cmp_eq_u32_e64 s0, 0, v0
	s_or_not1_b32 s14, s0, exec_lo
.LBB0_1954:                             ;   in Loop: Header=BB0_1952 Depth=2
	s_wait_xcnt 0x0
	s_or_b32 exec_lo, exec_lo, s15
	s_and_saveexec_b32 s15, s14
	s_cbranch_execz .LBB0_1956
; %bb.1955:                             ;   in Loop: Header=BB0_1952 Depth=2
	s_wait_loadcnt 0x0
	v_cmp_eq_u32_e64 s0, s6, v5
	v_cmp_eq_u32_e64 s1, s6, v7
	s_and_b32 s0, s0, s1
	s_delay_alu instid0(SALU_CYCLE_1)
	s_or_not1_b32 s1, s0, exec_lo
.LBB0_1956:                             ;   in Loop: Header=BB0_1952 Depth=2
	s_or_b32 exec_lo, exec_lo, s15
	s_delay_alu instid0(SALU_CYCLE_1) | instskip(NEXT) | instid1(SALU_CYCLE_1)
	s_and_b32 s0, exec_lo, s1
	s_or_b32 s13, s0, s13
	s_delay_alu instid0(SALU_CYCLE_1)
	s_and_not1_b32 exec_lo, exec_lo, s13
	s_cbranch_execnz .LBB0_1952
; %bb.1957:                             ;   in Loop: Header=BB0_1952 Depth=2
	s_or_b32 exec_lo, exec_lo, s13
	s_wait_loadcnt 0x0
	v_dual_mov_b32 v5, v6 :: v_dual_mov_b32 v14, 0
	s_mov_b32 s13, 0
	s_delay_alu instid0(VALU_DEP_1) | instskip(SKIP_1) | instid1(SALU_CYCLE_1)
	v_cmp_eq_u64_e64 s0, s[6:7], v[4:5]
	s_or_b32 s12, s0, s12
	s_and_not1_b32 exec_lo, exec_lo, s12
	s_cbranch_execnz .LBB0_1952
; %bb.1958:                             ;   in Loop: Header=BB0_1755 Depth=1
	s_or_b32 exec_lo, exec_lo, s12
	s_add_co_i32 s6, s4, 29
	s_mov_b32 s1, s5
	s_bfe_u32 s0, s6, 0x100003
	v_dual_mov_b32 v0, s6 :: v_dual_mov_b32 v1, s6
	s_mulk_i32 s0, 0x20c5
	v_dual_mov_b32 v3, s6 :: v_dual_mov_b32 v14, 0
	s_lshr_b32 s0, s0, 20
	s_mov_b32 s7, s5
	s_mulk_i32 s0, 0x3e8
	s_mov_b32 s12, 0
	s_sub_co_i32 s0, s6, s0
	s_delay_alu instid0(SALU_CYCLE_1) | instskip(NEXT) | instid1(SALU_CYCLE_1)
	s_and_b32 s0, s0, 0xffff
	s_lshl_b32 s0, s0, 12
	s_delay_alu instid0(SALU_CYCLE_1)
	v_add_nc_u64_e32 v[4:5], s[0:1], v[10:11]
	v_add_nc_u64_e32 v[8:9], s[0:1], v[12:13]
	global_store_b128 v[4:5], v[0:3], off th:TH_STORE_NT
.LBB0_1959:                             ;   Parent Loop BB0_1755 Depth=1
                                        ; =>  This Inner Loop Header: Depth=2
	s_wait_loadcnt 0x0
	global_load_b128 v[4:7], v[8:9], off th:TH_LOAD_NT
	v_add_nc_u32_e32 v14, 1, v14
	s_mov_b32 s1, -1
	s_mov_b32 s14, -1
	s_mov_b32 s15, exec_lo
	s_wait_xcnt 0x0
	v_cmpx_eq_u32_e32 0xf4240, v14
	s_cbranch_execz .LBB0_1961
; %bb.1960:                             ;   in Loop: Header=BB0_1959 Depth=2
	s_wait_loadcnt 0x0
	s_wait_storecnt 0x0
	global_load_b32 v0, v2, s[10:11] scope:SCOPE_SYS
	s_wait_loadcnt 0x0
	global_inv scope:SCOPE_SYS
	v_mov_b32_e32 v14, 0
	v_cmp_eq_u32_e64 s0, 0, v0
	s_or_not1_b32 s14, s0, exec_lo
.LBB0_1961:                             ;   in Loop: Header=BB0_1959 Depth=2
	s_wait_xcnt 0x0
	s_or_b32 exec_lo, exec_lo, s15
	s_and_saveexec_b32 s15, s14
	s_cbranch_execz .LBB0_1963
; %bb.1962:                             ;   in Loop: Header=BB0_1959 Depth=2
	s_wait_loadcnt 0x0
	v_cmp_eq_u32_e64 s0, s6, v5
	v_cmp_eq_u32_e64 s1, s6, v7
	s_and_b32 s0, s0, s1
	s_delay_alu instid0(SALU_CYCLE_1)
	s_or_not1_b32 s1, s0, exec_lo
.LBB0_1963:                             ;   in Loop: Header=BB0_1959 Depth=2
	s_or_b32 exec_lo, exec_lo, s15
	s_delay_alu instid0(SALU_CYCLE_1) | instskip(NEXT) | instid1(SALU_CYCLE_1)
	s_and_b32 s0, exec_lo, s1
	s_or_b32 s13, s0, s13
	s_delay_alu instid0(SALU_CYCLE_1)
	s_and_not1_b32 exec_lo, exec_lo, s13
	s_cbranch_execnz .LBB0_1959
; %bb.1964:                             ;   in Loop: Header=BB0_1959 Depth=2
	s_or_b32 exec_lo, exec_lo, s13
	s_wait_loadcnt 0x0
	v_dual_mov_b32 v5, v6 :: v_dual_mov_b32 v14, 0
	s_mov_b32 s13, 0
	s_delay_alu instid0(VALU_DEP_1) | instskip(SKIP_1) | instid1(SALU_CYCLE_1)
	v_cmp_eq_u64_e64 s0, s[6:7], v[4:5]
	s_or_b32 s12, s0, s12
	s_and_not1_b32 exec_lo, exec_lo, s12
	s_cbranch_execnz .LBB0_1959
; %bb.1965:                             ;   in Loop: Header=BB0_1755 Depth=1
	s_or_b32 exec_lo, exec_lo, s12
	s_add_co_i32 s6, s4, 30
	s_mov_b32 s1, s5
	s_bfe_u32 s0, s6, 0x100003
	v_dual_mov_b32 v0, s6 :: v_dual_mov_b32 v1, s6
	s_mulk_i32 s0, 0x20c5
	v_dual_mov_b32 v3, s6 :: v_dual_mov_b32 v14, 0
	s_lshr_b32 s0, s0, 20
	s_mov_b32 s7, s5
	s_mulk_i32 s0, 0x3e8
	s_mov_b32 s12, 0
	s_sub_co_i32 s0, s6, s0
	s_delay_alu instid0(SALU_CYCLE_1) | instskip(NEXT) | instid1(SALU_CYCLE_1)
	s_and_b32 s0, s0, 0xffff
	s_lshl_b32 s0, s0, 12
	s_delay_alu instid0(SALU_CYCLE_1)
	v_add_nc_u64_e32 v[4:5], s[0:1], v[10:11]
	v_add_nc_u64_e32 v[8:9], s[0:1], v[12:13]
	global_store_b128 v[4:5], v[0:3], off th:TH_STORE_NT
.LBB0_1966:                             ;   Parent Loop BB0_1755 Depth=1
                                        ; =>  This Inner Loop Header: Depth=2
	s_wait_loadcnt 0x0
	global_load_b128 v[4:7], v[8:9], off th:TH_LOAD_NT
	v_add_nc_u32_e32 v14, 1, v14
	s_mov_b32 s1, -1
	s_mov_b32 s14, -1
	s_mov_b32 s15, exec_lo
	s_wait_xcnt 0x0
	v_cmpx_eq_u32_e32 0xf4240, v14
	s_cbranch_execz .LBB0_1968
; %bb.1967:                             ;   in Loop: Header=BB0_1966 Depth=2
	s_wait_loadcnt 0x0
	s_wait_storecnt 0x0
	global_load_b32 v0, v2, s[10:11] scope:SCOPE_SYS
	s_wait_loadcnt 0x0
	global_inv scope:SCOPE_SYS
	v_mov_b32_e32 v14, 0
	v_cmp_eq_u32_e64 s0, 0, v0
	s_or_not1_b32 s14, s0, exec_lo
.LBB0_1968:                             ;   in Loop: Header=BB0_1966 Depth=2
	s_wait_xcnt 0x0
	s_or_b32 exec_lo, exec_lo, s15
	s_and_saveexec_b32 s15, s14
	s_cbranch_execz .LBB0_1970
; %bb.1969:                             ;   in Loop: Header=BB0_1966 Depth=2
	s_wait_loadcnt 0x0
	v_cmp_eq_u32_e64 s0, s6, v5
	v_cmp_eq_u32_e64 s1, s6, v7
	s_and_b32 s0, s0, s1
	s_delay_alu instid0(SALU_CYCLE_1)
	s_or_not1_b32 s1, s0, exec_lo
.LBB0_1970:                             ;   in Loop: Header=BB0_1966 Depth=2
	s_or_b32 exec_lo, exec_lo, s15
	s_delay_alu instid0(SALU_CYCLE_1) | instskip(NEXT) | instid1(SALU_CYCLE_1)
	s_and_b32 s0, exec_lo, s1
	s_or_b32 s13, s0, s13
	s_delay_alu instid0(SALU_CYCLE_1)
	s_and_not1_b32 exec_lo, exec_lo, s13
	s_cbranch_execnz .LBB0_1966
; %bb.1971:                             ;   in Loop: Header=BB0_1966 Depth=2
	s_or_b32 exec_lo, exec_lo, s13
	s_wait_loadcnt 0x0
	v_dual_mov_b32 v5, v6 :: v_dual_mov_b32 v14, 0
	s_mov_b32 s13, 0
	s_delay_alu instid0(VALU_DEP_1) | instskip(SKIP_1) | instid1(SALU_CYCLE_1)
	v_cmp_eq_u64_e64 s0, s[6:7], v[4:5]
	s_or_b32 s12, s0, s12
	s_and_not1_b32 exec_lo, exec_lo, s12
	s_cbranch_execnz .LBB0_1966
; %bb.1972:                             ;   in Loop: Header=BB0_1755 Depth=1
	s_or_b32 exec_lo, exec_lo, s12
	s_add_co_i32 s6, s4, 31
	s_mov_b32 s1, s5
	s_bfe_u32 s0, s6, 0x100003
	v_dual_mov_b32 v0, s6 :: v_dual_mov_b32 v1, s6
	s_mulk_i32 s0, 0x20c5
	v_dual_mov_b32 v3, s6 :: v_dual_mov_b32 v14, 0
	s_lshr_b32 s0, s0, 20
	s_mov_b32 s7, s5
	s_mulk_i32 s0, 0x3e8
	s_mov_b32 s12, 0
	s_sub_co_i32 s0, s6, s0
	s_delay_alu instid0(SALU_CYCLE_1) | instskip(NEXT) | instid1(SALU_CYCLE_1)
	s_and_b32 s0, s0, 0xffff
	s_lshl_b32 s0, s0, 12
	s_delay_alu instid0(SALU_CYCLE_1)
	v_add_nc_u64_e32 v[4:5], s[0:1], v[10:11]
	v_add_nc_u64_e32 v[8:9], s[0:1], v[12:13]
	global_store_b128 v[4:5], v[0:3], off th:TH_STORE_NT
.LBB0_1973:                             ;   Parent Loop BB0_1755 Depth=1
                                        ; =>  This Inner Loop Header: Depth=2
	s_wait_loadcnt 0x0
	global_load_b128 v[4:7], v[8:9], off th:TH_LOAD_NT
	v_add_nc_u32_e32 v14, 1, v14
	s_mov_b32 s1, -1
	s_mov_b32 s14, -1
	s_mov_b32 s15, exec_lo
	s_wait_xcnt 0x0
	v_cmpx_eq_u32_e32 0xf4240, v14
	s_cbranch_execz .LBB0_1975
; %bb.1974:                             ;   in Loop: Header=BB0_1973 Depth=2
	s_wait_loadcnt 0x0
	s_wait_storecnt 0x0
	global_load_b32 v0, v2, s[10:11] scope:SCOPE_SYS
	s_wait_loadcnt 0x0
	global_inv scope:SCOPE_SYS
	v_mov_b32_e32 v14, 0
	v_cmp_eq_u32_e64 s0, 0, v0
	s_or_not1_b32 s14, s0, exec_lo
.LBB0_1975:                             ;   in Loop: Header=BB0_1973 Depth=2
	s_wait_xcnt 0x0
	s_or_b32 exec_lo, exec_lo, s15
	s_and_saveexec_b32 s15, s14
	s_cbranch_execz .LBB0_1977
; %bb.1976:                             ;   in Loop: Header=BB0_1973 Depth=2
	s_wait_loadcnt 0x0
	v_cmp_eq_u32_e64 s0, s6, v5
	v_cmp_eq_u32_e64 s1, s6, v7
	s_and_b32 s0, s0, s1
	s_delay_alu instid0(SALU_CYCLE_1)
	s_or_not1_b32 s1, s0, exec_lo
.LBB0_1977:                             ;   in Loop: Header=BB0_1973 Depth=2
	s_or_b32 exec_lo, exec_lo, s15
	s_delay_alu instid0(SALU_CYCLE_1) | instskip(NEXT) | instid1(SALU_CYCLE_1)
	s_and_b32 s0, exec_lo, s1
	s_or_b32 s13, s0, s13
	s_delay_alu instid0(SALU_CYCLE_1)
	s_and_not1_b32 exec_lo, exec_lo, s13
	s_cbranch_execnz .LBB0_1973
; %bb.1978:                             ;   in Loop: Header=BB0_1973 Depth=2
	s_or_b32 exec_lo, exec_lo, s13
	s_wait_loadcnt 0x0
	v_dual_mov_b32 v5, v6 :: v_dual_mov_b32 v14, 0
	s_mov_b32 s13, 0
	s_delay_alu instid0(VALU_DEP_1) | instskip(SKIP_1) | instid1(SALU_CYCLE_1)
	v_cmp_eq_u64_e64 s0, s[6:7], v[4:5]
	s_or_b32 s12, s0, s12
	s_and_not1_b32 exec_lo, exec_lo, s12
	s_cbranch_execnz .LBB0_1973
; %bb.1979:                             ;   in Loop: Header=BB0_1755 Depth=1
	s_or_b32 exec_lo, exec_lo, s12
	s_add_co_i32 s6, s4, 32
	s_mov_b32 s1, s5
	s_bfe_u32 s0, s6, 0x100003
	v_dual_mov_b32 v0, s6 :: v_dual_mov_b32 v1, s6
	s_mulk_i32 s0, 0x20c5
	v_dual_mov_b32 v3, s6 :: v_dual_mov_b32 v14, 0
	s_lshr_b32 s0, s0, 20
	s_mov_b32 s7, s5
	s_mulk_i32 s0, 0x3e8
	s_mov_b32 s12, 0
	s_sub_co_i32 s0, s6, s0
	s_delay_alu instid0(SALU_CYCLE_1) | instskip(NEXT) | instid1(SALU_CYCLE_1)
	s_and_b32 s0, s0, 0xffff
	s_lshl_b32 s0, s0, 12
	s_delay_alu instid0(SALU_CYCLE_1)
	v_add_nc_u64_e32 v[4:5], s[0:1], v[10:11]
	v_add_nc_u64_e32 v[8:9], s[0:1], v[12:13]
	global_store_b128 v[4:5], v[0:3], off th:TH_STORE_NT
.LBB0_1980:                             ;   Parent Loop BB0_1755 Depth=1
                                        ; =>  This Inner Loop Header: Depth=2
	s_wait_loadcnt 0x0
	global_load_b128 v[4:7], v[8:9], off th:TH_LOAD_NT
	v_add_nc_u32_e32 v14, 1, v14
	s_mov_b32 s1, -1
	s_mov_b32 s14, -1
	s_mov_b32 s15, exec_lo
	s_wait_xcnt 0x0
	v_cmpx_eq_u32_e32 0xf4240, v14
	s_cbranch_execz .LBB0_1982
; %bb.1981:                             ;   in Loop: Header=BB0_1980 Depth=2
	s_wait_loadcnt 0x0
	s_wait_storecnt 0x0
	global_load_b32 v0, v2, s[10:11] scope:SCOPE_SYS
	s_wait_loadcnt 0x0
	global_inv scope:SCOPE_SYS
	v_mov_b32_e32 v14, 0
	v_cmp_eq_u32_e64 s0, 0, v0
	s_or_not1_b32 s14, s0, exec_lo
.LBB0_1982:                             ;   in Loop: Header=BB0_1980 Depth=2
	s_wait_xcnt 0x0
	s_or_b32 exec_lo, exec_lo, s15
	s_and_saveexec_b32 s15, s14
	s_cbranch_execz .LBB0_1984
; %bb.1983:                             ;   in Loop: Header=BB0_1980 Depth=2
	s_wait_loadcnt 0x0
	v_cmp_eq_u32_e64 s0, s6, v5
	v_cmp_eq_u32_e64 s1, s6, v7
	s_and_b32 s0, s0, s1
	s_delay_alu instid0(SALU_CYCLE_1)
	s_or_not1_b32 s1, s0, exec_lo
.LBB0_1984:                             ;   in Loop: Header=BB0_1980 Depth=2
	s_or_b32 exec_lo, exec_lo, s15
	s_delay_alu instid0(SALU_CYCLE_1) | instskip(NEXT) | instid1(SALU_CYCLE_1)
	s_and_b32 s0, exec_lo, s1
	s_or_b32 s13, s0, s13
	s_delay_alu instid0(SALU_CYCLE_1)
	s_and_not1_b32 exec_lo, exec_lo, s13
	s_cbranch_execnz .LBB0_1980
; %bb.1985:                             ;   in Loop: Header=BB0_1980 Depth=2
	s_or_b32 exec_lo, exec_lo, s13
	s_wait_loadcnt 0x0
	v_dual_mov_b32 v5, v6 :: v_dual_mov_b32 v14, 0
	s_mov_b32 s13, 0
	s_delay_alu instid0(VALU_DEP_1) | instskip(SKIP_1) | instid1(SALU_CYCLE_1)
	v_cmp_eq_u64_e64 s0, s[6:7], v[4:5]
	s_or_b32 s12, s0, s12
	s_and_not1_b32 exec_lo, exec_lo, s12
	s_cbranch_execnz .LBB0_1980
; %bb.1986:                             ;   in Loop: Header=BB0_1755 Depth=1
	s_or_b32 exec_lo, exec_lo, s12
	s_add_co_i32 s6, s4, 33
	s_mov_b32 s1, s5
	s_bfe_u32 s0, s6, 0x100003
	v_dual_mov_b32 v0, s6 :: v_dual_mov_b32 v1, s6
	s_mulk_i32 s0, 0x20c5
	v_dual_mov_b32 v3, s6 :: v_dual_mov_b32 v14, 0
	s_lshr_b32 s0, s0, 20
	s_mov_b32 s7, s5
	s_mulk_i32 s0, 0x3e8
	s_mov_b32 s12, 0
	s_sub_co_i32 s0, s6, s0
	s_delay_alu instid0(SALU_CYCLE_1) | instskip(NEXT) | instid1(SALU_CYCLE_1)
	s_and_b32 s0, s0, 0xffff
	s_lshl_b32 s0, s0, 12
	s_delay_alu instid0(SALU_CYCLE_1)
	v_add_nc_u64_e32 v[4:5], s[0:1], v[10:11]
	v_add_nc_u64_e32 v[8:9], s[0:1], v[12:13]
	global_store_b128 v[4:5], v[0:3], off th:TH_STORE_NT
.LBB0_1987:                             ;   Parent Loop BB0_1755 Depth=1
                                        ; =>  This Inner Loop Header: Depth=2
	s_wait_loadcnt 0x0
	global_load_b128 v[4:7], v[8:9], off th:TH_LOAD_NT
	v_add_nc_u32_e32 v14, 1, v14
	s_mov_b32 s1, -1
	s_mov_b32 s14, -1
	s_mov_b32 s15, exec_lo
	s_wait_xcnt 0x0
	v_cmpx_eq_u32_e32 0xf4240, v14
	s_cbranch_execz .LBB0_1989
; %bb.1988:                             ;   in Loop: Header=BB0_1987 Depth=2
	s_wait_loadcnt 0x0
	s_wait_storecnt 0x0
	global_load_b32 v0, v2, s[10:11] scope:SCOPE_SYS
	s_wait_loadcnt 0x0
	global_inv scope:SCOPE_SYS
	v_mov_b32_e32 v14, 0
	v_cmp_eq_u32_e64 s0, 0, v0
	s_or_not1_b32 s14, s0, exec_lo
.LBB0_1989:                             ;   in Loop: Header=BB0_1987 Depth=2
	s_wait_xcnt 0x0
	s_or_b32 exec_lo, exec_lo, s15
	s_and_saveexec_b32 s15, s14
	s_cbranch_execz .LBB0_1991
; %bb.1990:                             ;   in Loop: Header=BB0_1987 Depth=2
	s_wait_loadcnt 0x0
	v_cmp_eq_u32_e64 s0, s6, v5
	v_cmp_eq_u32_e64 s1, s6, v7
	s_and_b32 s0, s0, s1
	s_delay_alu instid0(SALU_CYCLE_1)
	s_or_not1_b32 s1, s0, exec_lo
.LBB0_1991:                             ;   in Loop: Header=BB0_1987 Depth=2
	s_or_b32 exec_lo, exec_lo, s15
	s_delay_alu instid0(SALU_CYCLE_1) | instskip(NEXT) | instid1(SALU_CYCLE_1)
	s_and_b32 s0, exec_lo, s1
	s_or_b32 s13, s0, s13
	s_delay_alu instid0(SALU_CYCLE_1)
	s_and_not1_b32 exec_lo, exec_lo, s13
	s_cbranch_execnz .LBB0_1987
; %bb.1992:                             ;   in Loop: Header=BB0_1987 Depth=2
	s_or_b32 exec_lo, exec_lo, s13
	s_wait_loadcnt 0x0
	v_dual_mov_b32 v5, v6 :: v_dual_mov_b32 v14, 0
	s_mov_b32 s13, 0
	s_delay_alu instid0(VALU_DEP_1) | instskip(SKIP_1) | instid1(SALU_CYCLE_1)
	v_cmp_eq_u64_e64 s0, s[6:7], v[4:5]
	s_or_b32 s12, s0, s12
	s_and_not1_b32 exec_lo, exec_lo, s12
	s_cbranch_execnz .LBB0_1987
; %bb.1993:                             ;   in Loop: Header=BB0_1755 Depth=1
	s_or_b32 exec_lo, exec_lo, s12
	s_add_co_i32 s6, s4, 34
	s_mov_b32 s1, s5
	s_bfe_u32 s0, s6, 0x100003
	v_dual_mov_b32 v0, s6 :: v_dual_mov_b32 v1, s6
	s_mulk_i32 s0, 0x20c5
	v_dual_mov_b32 v3, s6 :: v_dual_mov_b32 v14, 0
	s_lshr_b32 s0, s0, 20
	s_mov_b32 s7, s5
	s_mulk_i32 s0, 0x3e8
	s_mov_b32 s12, 0
	s_sub_co_i32 s0, s6, s0
	s_delay_alu instid0(SALU_CYCLE_1) | instskip(NEXT) | instid1(SALU_CYCLE_1)
	s_and_b32 s0, s0, 0xffff
	s_lshl_b32 s0, s0, 12
	s_delay_alu instid0(SALU_CYCLE_1)
	v_add_nc_u64_e32 v[4:5], s[0:1], v[10:11]
	v_add_nc_u64_e32 v[8:9], s[0:1], v[12:13]
	global_store_b128 v[4:5], v[0:3], off th:TH_STORE_NT
.LBB0_1994:                             ;   Parent Loop BB0_1755 Depth=1
                                        ; =>  This Inner Loop Header: Depth=2
	s_wait_loadcnt 0x0
	global_load_b128 v[4:7], v[8:9], off th:TH_LOAD_NT
	v_add_nc_u32_e32 v14, 1, v14
	s_mov_b32 s1, -1
	s_mov_b32 s14, -1
	s_mov_b32 s15, exec_lo
	s_wait_xcnt 0x0
	v_cmpx_eq_u32_e32 0xf4240, v14
	s_cbranch_execz .LBB0_1996
; %bb.1995:                             ;   in Loop: Header=BB0_1994 Depth=2
	s_wait_loadcnt 0x0
	s_wait_storecnt 0x0
	global_load_b32 v0, v2, s[10:11] scope:SCOPE_SYS
	s_wait_loadcnt 0x0
	global_inv scope:SCOPE_SYS
	v_mov_b32_e32 v14, 0
	v_cmp_eq_u32_e64 s0, 0, v0
	s_or_not1_b32 s14, s0, exec_lo
.LBB0_1996:                             ;   in Loop: Header=BB0_1994 Depth=2
	s_wait_xcnt 0x0
	s_or_b32 exec_lo, exec_lo, s15
	s_and_saveexec_b32 s15, s14
	s_cbranch_execz .LBB0_1998
; %bb.1997:                             ;   in Loop: Header=BB0_1994 Depth=2
	s_wait_loadcnt 0x0
	v_cmp_eq_u32_e64 s0, s6, v5
	v_cmp_eq_u32_e64 s1, s6, v7
	s_and_b32 s0, s0, s1
	s_delay_alu instid0(SALU_CYCLE_1)
	s_or_not1_b32 s1, s0, exec_lo
.LBB0_1998:                             ;   in Loop: Header=BB0_1994 Depth=2
	s_or_b32 exec_lo, exec_lo, s15
	s_delay_alu instid0(SALU_CYCLE_1) | instskip(NEXT) | instid1(SALU_CYCLE_1)
	s_and_b32 s0, exec_lo, s1
	s_or_b32 s13, s0, s13
	s_delay_alu instid0(SALU_CYCLE_1)
	s_and_not1_b32 exec_lo, exec_lo, s13
	s_cbranch_execnz .LBB0_1994
; %bb.1999:                             ;   in Loop: Header=BB0_1994 Depth=2
	s_or_b32 exec_lo, exec_lo, s13
	s_wait_loadcnt 0x0
	v_dual_mov_b32 v5, v6 :: v_dual_mov_b32 v14, 0
	s_mov_b32 s13, 0
	s_delay_alu instid0(VALU_DEP_1) | instskip(SKIP_1) | instid1(SALU_CYCLE_1)
	v_cmp_eq_u64_e64 s0, s[6:7], v[4:5]
	s_or_b32 s12, s0, s12
	s_and_not1_b32 exec_lo, exec_lo, s12
	s_cbranch_execnz .LBB0_1994
; %bb.2000:                             ;   in Loop: Header=BB0_1755 Depth=1
	s_or_b32 exec_lo, exec_lo, s12
	s_add_co_i32 s6, s4, 35
	s_mov_b32 s1, s5
	s_bfe_u32 s0, s6, 0x100003
	v_dual_mov_b32 v0, s6 :: v_dual_mov_b32 v1, s6
	s_mulk_i32 s0, 0x20c5
	v_dual_mov_b32 v3, s6 :: v_dual_mov_b32 v14, 0
	s_lshr_b32 s0, s0, 20
	s_mov_b32 s7, s5
	s_mulk_i32 s0, 0x3e8
	s_mov_b32 s12, 0
	s_sub_co_i32 s0, s6, s0
	s_delay_alu instid0(SALU_CYCLE_1) | instskip(NEXT) | instid1(SALU_CYCLE_1)
	s_and_b32 s0, s0, 0xffff
	s_lshl_b32 s0, s0, 12
	s_delay_alu instid0(SALU_CYCLE_1)
	v_add_nc_u64_e32 v[4:5], s[0:1], v[10:11]
	v_add_nc_u64_e32 v[8:9], s[0:1], v[12:13]
	global_store_b128 v[4:5], v[0:3], off th:TH_STORE_NT
.LBB0_2001:                             ;   Parent Loop BB0_1755 Depth=1
                                        ; =>  This Inner Loop Header: Depth=2
	s_wait_loadcnt 0x0
	global_load_b128 v[4:7], v[8:9], off th:TH_LOAD_NT
	v_add_nc_u32_e32 v14, 1, v14
	s_mov_b32 s1, -1
	s_mov_b32 s14, -1
	s_mov_b32 s15, exec_lo
	s_wait_xcnt 0x0
	v_cmpx_eq_u32_e32 0xf4240, v14
	s_cbranch_execz .LBB0_2003
; %bb.2002:                             ;   in Loop: Header=BB0_2001 Depth=2
	s_wait_loadcnt 0x0
	s_wait_storecnt 0x0
	global_load_b32 v0, v2, s[10:11] scope:SCOPE_SYS
	s_wait_loadcnt 0x0
	global_inv scope:SCOPE_SYS
	v_mov_b32_e32 v14, 0
	v_cmp_eq_u32_e64 s0, 0, v0
	s_or_not1_b32 s14, s0, exec_lo
.LBB0_2003:                             ;   in Loop: Header=BB0_2001 Depth=2
	s_wait_xcnt 0x0
	s_or_b32 exec_lo, exec_lo, s15
	s_and_saveexec_b32 s15, s14
	s_cbranch_execz .LBB0_2005
; %bb.2004:                             ;   in Loop: Header=BB0_2001 Depth=2
	s_wait_loadcnt 0x0
	v_cmp_eq_u32_e64 s0, s6, v5
	v_cmp_eq_u32_e64 s1, s6, v7
	s_and_b32 s0, s0, s1
	s_delay_alu instid0(SALU_CYCLE_1)
	s_or_not1_b32 s1, s0, exec_lo
.LBB0_2005:                             ;   in Loop: Header=BB0_2001 Depth=2
	s_or_b32 exec_lo, exec_lo, s15
	s_delay_alu instid0(SALU_CYCLE_1) | instskip(NEXT) | instid1(SALU_CYCLE_1)
	s_and_b32 s0, exec_lo, s1
	s_or_b32 s13, s0, s13
	s_delay_alu instid0(SALU_CYCLE_1)
	s_and_not1_b32 exec_lo, exec_lo, s13
	s_cbranch_execnz .LBB0_2001
; %bb.2006:                             ;   in Loop: Header=BB0_2001 Depth=2
	s_or_b32 exec_lo, exec_lo, s13
	s_wait_loadcnt 0x0
	v_dual_mov_b32 v5, v6 :: v_dual_mov_b32 v14, 0
	s_mov_b32 s13, 0
	s_delay_alu instid0(VALU_DEP_1) | instskip(SKIP_1) | instid1(SALU_CYCLE_1)
	v_cmp_eq_u64_e64 s0, s[6:7], v[4:5]
	s_or_b32 s12, s0, s12
	s_and_not1_b32 exec_lo, exec_lo, s12
	s_cbranch_execnz .LBB0_2001
; %bb.2007:                             ;   in Loop: Header=BB0_1755 Depth=1
	s_or_b32 exec_lo, exec_lo, s12
	s_add_co_i32 s6, s4, 36
	s_mov_b32 s1, s5
	s_bfe_u32 s0, s6, 0x100003
	v_dual_mov_b32 v0, s6 :: v_dual_mov_b32 v1, s6
	s_mulk_i32 s0, 0x20c5
	v_dual_mov_b32 v3, s6 :: v_dual_mov_b32 v14, 0
	s_lshr_b32 s0, s0, 20
	s_mov_b32 s7, s5
	s_mulk_i32 s0, 0x3e8
	s_mov_b32 s12, 0
	s_sub_co_i32 s0, s6, s0
	s_delay_alu instid0(SALU_CYCLE_1) | instskip(NEXT) | instid1(SALU_CYCLE_1)
	s_and_b32 s0, s0, 0xffff
	s_lshl_b32 s0, s0, 12
	s_delay_alu instid0(SALU_CYCLE_1)
	v_add_nc_u64_e32 v[4:5], s[0:1], v[10:11]
	v_add_nc_u64_e32 v[8:9], s[0:1], v[12:13]
	global_store_b128 v[4:5], v[0:3], off th:TH_STORE_NT
.LBB0_2008:                             ;   Parent Loop BB0_1755 Depth=1
                                        ; =>  This Inner Loop Header: Depth=2
	s_wait_loadcnt 0x0
	global_load_b128 v[4:7], v[8:9], off th:TH_LOAD_NT
	v_add_nc_u32_e32 v14, 1, v14
	s_mov_b32 s1, -1
	s_mov_b32 s14, -1
	s_mov_b32 s15, exec_lo
	s_wait_xcnt 0x0
	v_cmpx_eq_u32_e32 0xf4240, v14
	s_cbranch_execz .LBB0_2010
; %bb.2009:                             ;   in Loop: Header=BB0_2008 Depth=2
	s_wait_loadcnt 0x0
	s_wait_storecnt 0x0
	global_load_b32 v0, v2, s[10:11] scope:SCOPE_SYS
	s_wait_loadcnt 0x0
	global_inv scope:SCOPE_SYS
	v_mov_b32_e32 v14, 0
	v_cmp_eq_u32_e64 s0, 0, v0
	s_or_not1_b32 s14, s0, exec_lo
.LBB0_2010:                             ;   in Loop: Header=BB0_2008 Depth=2
	s_wait_xcnt 0x0
	s_or_b32 exec_lo, exec_lo, s15
	s_and_saveexec_b32 s15, s14
	s_cbranch_execz .LBB0_2012
; %bb.2011:                             ;   in Loop: Header=BB0_2008 Depth=2
	s_wait_loadcnt 0x0
	v_cmp_eq_u32_e64 s0, s6, v5
	v_cmp_eq_u32_e64 s1, s6, v7
	s_and_b32 s0, s0, s1
	s_delay_alu instid0(SALU_CYCLE_1)
	s_or_not1_b32 s1, s0, exec_lo
.LBB0_2012:                             ;   in Loop: Header=BB0_2008 Depth=2
	s_or_b32 exec_lo, exec_lo, s15
	s_delay_alu instid0(SALU_CYCLE_1) | instskip(NEXT) | instid1(SALU_CYCLE_1)
	s_and_b32 s0, exec_lo, s1
	s_or_b32 s13, s0, s13
	s_delay_alu instid0(SALU_CYCLE_1)
	s_and_not1_b32 exec_lo, exec_lo, s13
	s_cbranch_execnz .LBB0_2008
; %bb.2013:                             ;   in Loop: Header=BB0_2008 Depth=2
	s_or_b32 exec_lo, exec_lo, s13
	s_wait_loadcnt 0x0
	v_dual_mov_b32 v5, v6 :: v_dual_mov_b32 v14, 0
	s_mov_b32 s13, 0
	s_delay_alu instid0(VALU_DEP_1) | instskip(SKIP_1) | instid1(SALU_CYCLE_1)
	v_cmp_eq_u64_e64 s0, s[6:7], v[4:5]
	s_or_b32 s12, s0, s12
	s_and_not1_b32 exec_lo, exec_lo, s12
	s_cbranch_execnz .LBB0_2008
; %bb.2014:                             ;   in Loop: Header=BB0_1755 Depth=1
	s_or_b32 exec_lo, exec_lo, s12
	s_add_co_i32 s6, s4, 37
	s_mov_b32 s1, s5
	s_bfe_u32 s0, s6, 0x100003
	v_dual_mov_b32 v0, s6 :: v_dual_mov_b32 v1, s6
	s_mulk_i32 s0, 0x20c5
	v_dual_mov_b32 v3, s6 :: v_dual_mov_b32 v14, 0
	s_lshr_b32 s0, s0, 20
	s_mov_b32 s7, s5
	s_mulk_i32 s0, 0x3e8
	s_mov_b32 s12, 0
	s_sub_co_i32 s0, s6, s0
	s_delay_alu instid0(SALU_CYCLE_1) | instskip(NEXT) | instid1(SALU_CYCLE_1)
	s_and_b32 s0, s0, 0xffff
	s_lshl_b32 s0, s0, 12
	s_delay_alu instid0(SALU_CYCLE_1)
	v_add_nc_u64_e32 v[4:5], s[0:1], v[10:11]
	v_add_nc_u64_e32 v[8:9], s[0:1], v[12:13]
	global_store_b128 v[4:5], v[0:3], off th:TH_STORE_NT
.LBB0_2015:                             ;   Parent Loop BB0_1755 Depth=1
                                        ; =>  This Inner Loop Header: Depth=2
	s_wait_loadcnt 0x0
	global_load_b128 v[4:7], v[8:9], off th:TH_LOAD_NT
	v_add_nc_u32_e32 v14, 1, v14
	s_mov_b32 s1, -1
	s_mov_b32 s14, -1
	s_mov_b32 s15, exec_lo
	s_wait_xcnt 0x0
	v_cmpx_eq_u32_e32 0xf4240, v14
	s_cbranch_execz .LBB0_2017
; %bb.2016:                             ;   in Loop: Header=BB0_2015 Depth=2
	s_wait_loadcnt 0x0
	s_wait_storecnt 0x0
	global_load_b32 v0, v2, s[10:11] scope:SCOPE_SYS
	s_wait_loadcnt 0x0
	global_inv scope:SCOPE_SYS
	v_mov_b32_e32 v14, 0
	v_cmp_eq_u32_e64 s0, 0, v0
	s_or_not1_b32 s14, s0, exec_lo
.LBB0_2017:                             ;   in Loop: Header=BB0_2015 Depth=2
	s_wait_xcnt 0x0
	s_or_b32 exec_lo, exec_lo, s15
	s_and_saveexec_b32 s15, s14
	s_cbranch_execz .LBB0_2019
; %bb.2018:                             ;   in Loop: Header=BB0_2015 Depth=2
	s_wait_loadcnt 0x0
	v_cmp_eq_u32_e64 s0, s6, v5
	v_cmp_eq_u32_e64 s1, s6, v7
	s_and_b32 s0, s0, s1
	s_delay_alu instid0(SALU_CYCLE_1)
	s_or_not1_b32 s1, s0, exec_lo
.LBB0_2019:                             ;   in Loop: Header=BB0_2015 Depth=2
	s_or_b32 exec_lo, exec_lo, s15
	s_delay_alu instid0(SALU_CYCLE_1) | instskip(NEXT) | instid1(SALU_CYCLE_1)
	s_and_b32 s0, exec_lo, s1
	s_or_b32 s13, s0, s13
	s_delay_alu instid0(SALU_CYCLE_1)
	s_and_not1_b32 exec_lo, exec_lo, s13
	s_cbranch_execnz .LBB0_2015
; %bb.2020:                             ;   in Loop: Header=BB0_2015 Depth=2
	s_or_b32 exec_lo, exec_lo, s13
	s_wait_loadcnt 0x0
	v_dual_mov_b32 v5, v6 :: v_dual_mov_b32 v14, 0
	s_mov_b32 s13, 0
	s_delay_alu instid0(VALU_DEP_1) | instskip(SKIP_1) | instid1(SALU_CYCLE_1)
	v_cmp_eq_u64_e64 s0, s[6:7], v[4:5]
	s_or_b32 s12, s0, s12
	s_and_not1_b32 exec_lo, exec_lo, s12
	s_cbranch_execnz .LBB0_2015
; %bb.2021:                             ;   in Loop: Header=BB0_1755 Depth=1
	s_or_b32 exec_lo, exec_lo, s12
	s_add_co_i32 s6, s4, 38
	s_mov_b32 s1, s5
	s_bfe_u32 s0, s6, 0x100003
	v_dual_mov_b32 v0, s6 :: v_dual_mov_b32 v1, s6
	s_mulk_i32 s0, 0x20c5
	v_dual_mov_b32 v3, s6 :: v_dual_mov_b32 v14, 0
	s_lshr_b32 s0, s0, 20
	s_mov_b32 s7, s5
	s_mulk_i32 s0, 0x3e8
	s_mov_b32 s12, 0
	s_sub_co_i32 s0, s6, s0
	s_delay_alu instid0(SALU_CYCLE_1) | instskip(NEXT) | instid1(SALU_CYCLE_1)
	s_and_b32 s0, s0, 0xffff
	s_lshl_b32 s0, s0, 12
	s_delay_alu instid0(SALU_CYCLE_1)
	v_add_nc_u64_e32 v[4:5], s[0:1], v[10:11]
	v_add_nc_u64_e32 v[8:9], s[0:1], v[12:13]
	global_store_b128 v[4:5], v[0:3], off th:TH_STORE_NT
.LBB0_2022:                             ;   Parent Loop BB0_1755 Depth=1
                                        ; =>  This Inner Loop Header: Depth=2
	s_wait_loadcnt 0x0
	global_load_b128 v[4:7], v[8:9], off th:TH_LOAD_NT
	v_add_nc_u32_e32 v14, 1, v14
	s_mov_b32 s1, -1
	s_mov_b32 s14, -1
	s_mov_b32 s15, exec_lo
	s_wait_xcnt 0x0
	v_cmpx_eq_u32_e32 0xf4240, v14
	s_cbranch_execz .LBB0_2024
; %bb.2023:                             ;   in Loop: Header=BB0_2022 Depth=2
	s_wait_loadcnt 0x0
	s_wait_storecnt 0x0
	global_load_b32 v0, v2, s[10:11] scope:SCOPE_SYS
	s_wait_loadcnt 0x0
	global_inv scope:SCOPE_SYS
	v_mov_b32_e32 v14, 0
	v_cmp_eq_u32_e64 s0, 0, v0
	s_or_not1_b32 s14, s0, exec_lo
.LBB0_2024:                             ;   in Loop: Header=BB0_2022 Depth=2
	s_wait_xcnt 0x0
	s_or_b32 exec_lo, exec_lo, s15
	s_and_saveexec_b32 s15, s14
	s_cbranch_execz .LBB0_2026
; %bb.2025:                             ;   in Loop: Header=BB0_2022 Depth=2
	s_wait_loadcnt 0x0
	v_cmp_eq_u32_e64 s0, s6, v5
	v_cmp_eq_u32_e64 s1, s6, v7
	s_and_b32 s0, s0, s1
	s_delay_alu instid0(SALU_CYCLE_1)
	s_or_not1_b32 s1, s0, exec_lo
.LBB0_2026:                             ;   in Loop: Header=BB0_2022 Depth=2
	s_or_b32 exec_lo, exec_lo, s15
	s_delay_alu instid0(SALU_CYCLE_1) | instskip(NEXT) | instid1(SALU_CYCLE_1)
	s_and_b32 s0, exec_lo, s1
	s_or_b32 s13, s0, s13
	s_delay_alu instid0(SALU_CYCLE_1)
	s_and_not1_b32 exec_lo, exec_lo, s13
	s_cbranch_execnz .LBB0_2022
; %bb.2027:                             ;   in Loop: Header=BB0_2022 Depth=2
	s_or_b32 exec_lo, exec_lo, s13
	s_wait_loadcnt 0x0
	v_dual_mov_b32 v5, v6 :: v_dual_mov_b32 v14, 0
	s_mov_b32 s13, 0
	s_delay_alu instid0(VALU_DEP_1) | instskip(SKIP_1) | instid1(SALU_CYCLE_1)
	v_cmp_eq_u64_e64 s0, s[6:7], v[4:5]
	s_or_b32 s12, s0, s12
	s_and_not1_b32 exec_lo, exec_lo, s12
	s_cbranch_execnz .LBB0_2022
; %bb.2028:                             ;   in Loop: Header=BB0_1755 Depth=1
	s_or_b32 exec_lo, exec_lo, s12
	s_add_co_i32 s6, s4, 39
	s_mov_b32 s1, s5
	s_bfe_u32 s0, s6, 0x100003
	v_dual_mov_b32 v0, s6 :: v_dual_mov_b32 v1, s6
	s_mulk_i32 s0, 0x20c5
	v_dual_mov_b32 v3, s6 :: v_dual_mov_b32 v14, 0
	s_lshr_b32 s0, s0, 20
	s_mov_b32 s7, s5
	s_mulk_i32 s0, 0x3e8
	s_mov_b32 s12, 0
	s_sub_co_i32 s0, s6, s0
	s_delay_alu instid0(SALU_CYCLE_1) | instskip(NEXT) | instid1(SALU_CYCLE_1)
	s_and_b32 s0, s0, 0xffff
	s_lshl_b32 s0, s0, 12
	s_delay_alu instid0(SALU_CYCLE_1)
	v_add_nc_u64_e32 v[4:5], s[0:1], v[10:11]
	v_add_nc_u64_e32 v[8:9], s[0:1], v[12:13]
	global_store_b128 v[4:5], v[0:3], off th:TH_STORE_NT
.LBB0_2029:                             ;   Parent Loop BB0_1755 Depth=1
                                        ; =>  This Inner Loop Header: Depth=2
	s_wait_loadcnt 0x0
	global_load_b128 v[4:7], v[8:9], off th:TH_LOAD_NT
	v_add_nc_u32_e32 v14, 1, v14
	s_mov_b32 s1, -1
	s_mov_b32 s14, -1
	s_mov_b32 s15, exec_lo
	s_wait_xcnt 0x0
	v_cmpx_eq_u32_e32 0xf4240, v14
	s_cbranch_execz .LBB0_2031
; %bb.2030:                             ;   in Loop: Header=BB0_2029 Depth=2
	s_wait_loadcnt 0x0
	s_wait_storecnt 0x0
	global_load_b32 v0, v2, s[10:11] scope:SCOPE_SYS
	s_wait_loadcnt 0x0
	global_inv scope:SCOPE_SYS
	v_mov_b32_e32 v14, 0
	v_cmp_eq_u32_e64 s0, 0, v0
	s_or_not1_b32 s14, s0, exec_lo
.LBB0_2031:                             ;   in Loop: Header=BB0_2029 Depth=2
	s_wait_xcnt 0x0
	s_or_b32 exec_lo, exec_lo, s15
	s_and_saveexec_b32 s15, s14
	s_cbranch_execz .LBB0_2033
; %bb.2032:                             ;   in Loop: Header=BB0_2029 Depth=2
	s_wait_loadcnt 0x0
	v_cmp_eq_u32_e64 s0, s6, v5
	v_cmp_eq_u32_e64 s1, s6, v7
	s_and_b32 s0, s0, s1
	s_delay_alu instid0(SALU_CYCLE_1)
	s_or_not1_b32 s1, s0, exec_lo
.LBB0_2033:                             ;   in Loop: Header=BB0_2029 Depth=2
	s_or_b32 exec_lo, exec_lo, s15
	s_delay_alu instid0(SALU_CYCLE_1) | instskip(NEXT) | instid1(SALU_CYCLE_1)
	s_and_b32 s0, exec_lo, s1
	s_or_b32 s13, s0, s13
	s_delay_alu instid0(SALU_CYCLE_1)
	s_and_not1_b32 exec_lo, exec_lo, s13
	s_cbranch_execnz .LBB0_2029
; %bb.2034:                             ;   in Loop: Header=BB0_2029 Depth=2
	s_or_b32 exec_lo, exec_lo, s13
	s_wait_loadcnt 0x0
	v_dual_mov_b32 v5, v6 :: v_dual_mov_b32 v14, 0
	s_mov_b32 s13, 0
	s_delay_alu instid0(VALU_DEP_1) | instskip(SKIP_1) | instid1(SALU_CYCLE_1)
	v_cmp_eq_u64_e64 s0, s[6:7], v[4:5]
	s_or_b32 s12, s0, s12
	s_and_not1_b32 exec_lo, exec_lo, s12
	s_cbranch_execnz .LBB0_2029
; %bb.2035:                             ;   in Loop: Header=BB0_1755 Depth=1
	s_or_b32 exec_lo, exec_lo, s12
	s_add_co_i32 s6, s4, 40
	s_mov_b32 s1, s5
	s_bfe_u32 s0, s6, 0x100003
	v_dual_mov_b32 v0, s6 :: v_dual_mov_b32 v1, s6
	s_mulk_i32 s0, 0x20c5
	v_dual_mov_b32 v3, s6 :: v_dual_mov_b32 v14, 0
	s_lshr_b32 s0, s0, 20
	s_mov_b32 s7, s5
	s_mulk_i32 s0, 0x3e8
	s_mov_b32 s12, 0
	s_sub_co_i32 s0, s6, s0
	s_delay_alu instid0(SALU_CYCLE_1) | instskip(NEXT) | instid1(SALU_CYCLE_1)
	s_and_b32 s0, s0, 0xffff
	s_lshl_b32 s0, s0, 12
	s_delay_alu instid0(SALU_CYCLE_1)
	v_add_nc_u64_e32 v[4:5], s[0:1], v[10:11]
	v_add_nc_u64_e32 v[8:9], s[0:1], v[12:13]
	global_store_b128 v[4:5], v[0:3], off th:TH_STORE_NT
.LBB0_2036:                             ;   Parent Loop BB0_1755 Depth=1
                                        ; =>  This Inner Loop Header: Depth=2
	s_wait_loadcnt 0x0
	global_load_b128 v[4:7], v[8:9], off th:TH_LOAD_NT
	v_add_nc_u32_e32 v14, 1, v14
	s_mov_b32 s1, -1
	s_mov_b32 s14, -1
	s_mov_b32 s15, exec_lo
	s_wait_xcnt 0x0
	v_cmpx_eq_u32_e32 0xf4240, v14
	s_cbranch_execz .LBB0_2038
; %bb.2037:                             ;   in Loop: Header=BB0_2036 Depth=2
	s_wait_loadcnt 0x0
	s_wait_storecnt 0x0
	global_load_b32 v0, v2, s[10:11] scope:SCOPE_SYS
	s_wait_loadcnt 0x0
	global_inv scope:SCOPE_SYS
	v_mov_b32_e32 v14, 0
	v_cmp_eq_u32_e64 s0, 0, v0
	s_or_not1_b32 s14, s0, exec_lo
.LBB0_2038:                             ;   in Loop: Header=BB0_2036 Depth=2
	s_wait_xcnt 0x0
	s_or_b32 exec_lo, exec_lo, s15
	s_and_saveexec_b32 s15, s14
	s_cbranch_execz .LBB0_2040
; %bb.2039:                             ;   in Loop: Header=BB0_2036 Depth=2
	s_wait_loadcnt 0x0
	v_cmp_eq_u32_e64 s0, s6, v5
	v_cmp_eq_u32_e64 s1, s6, v7
	s_and_b32 s0, s0, s1
	s_delay_alu instid0(SALU_CYCLE_1)
	s_or_not1_b32 s1, s0, exec_lo
.LBB0_2040:                             ;   in Loop: Header=BB0_2036 Depth=2
	s_or_b32 exec_lo, exec_lo, s15
	s_delay_alu instid0(SALU_CYCLE_1) | instskip(NEXT) | instid1(SALU_CYCLE_1)
	s_and_b32 s0, exec_lo, s1
	s_or_b32 s13, s0, s13
	s_delay_alu instid0(SALU_CYCLE_1)
	s_and_not1_b32 exec_lo, exec_lo, s13
	s_cbranch_execnz .LBB0_2036
; %bb.2041:                             ;   in Loop: Header=BB0_2036 Depth=2
	s_or_b32 exec_lo, exec_lo, s13
	s_wait_loadcnt 0x0
	v_dual_mov_b32 v5, v6 :: v_dual_mov_b32 v14, 0
	s_mov_b32 s13, 0
	s_delay_alu instid0(VALU_DEP_1) | instskip(SKIP_1) | instid1(SALU_CYCLE_1)
	v_cmp_eq_u64_e64 s0, s[6:7], v[4:5]
	s_or_b32 s12, s0, s12
	s_and_not1_b32 exec_lo, exec_lo, s12
	s_cbranch_execnz .LBB0_2036
; %bb.2042:                             ;   in Loop: Header=BB0_1755 Depth=1
	s_or_b32 exec_lo, exec_lo, s12
	s_add_co_i32 s6, s4, 41
	s_mov_b32 s1, s5
	s_bfe_u32 s0, s6, 0x100003
	v_dual_mov_b32 v0, s6 :: v_dual_mov_b32 v1, s6
	s_mulk_i32 s0, 0x20c5
	v_dual_mov_b32 v3, s6 :: v_dual_mov_b32 v14, 0
	s_lshr_b32 s0, s0, 20
	s_mov_b32 s7, s5
	s_mulk_i32 s0, 0x3e8
	s_mov_b32 s12, 0
	s_sub_co_i32 s0, s6, s0
	s_delay_alu instid0(SALU_CYCLE_1) | instskip(NEXT) | instid1(SALU_CYCLE_1)
	s_and_b32 s0, s0, 0xffff
	s_lshl_b32 s0, s0, 12
	s_delay_alu instid0(SALU_CYCLE_1)
	v_add_nc_u64_e32 v[4:5], s[0:1], v[10:11]
	v_add_nc_u64_e32 v[8:9], s[0:1], v[12:13]
	global_store_b128 v[4:5], v[0:3], off th:TH_STORE_NT
.LBB0_2043:                             ;   Parent Loop BB0_1755 Depth=1
                                        ; =>  This Inner Loop Header: Depth=2
	s_wait_loadcnt 0x0
	global_load_b128 v[4:7], v[8:9], off th:TH_LOAD_NT
	v_add_nc_u32_e32 v14, 1, v14
	s_mov_b32 s1, -1
	s_mov_b32 s14, -1
	s_mov_b32 s15, exec_lo
	s_wait_xcnt 0x0
	v_cmpx_eq_u32_e32 0xf4240, v14
	s_cbranch_execz .LBB0_2045
; %bb.2044:                             ;   in Loop: Header=BB0_2043 Depth=2
	s_wait_loadcnt 0x0
	s_wait_storecnt 0x0
	global_load_b32 v0, v2, s[10:11] scope:SCOPE_SYS
	s_wait_loadcnt 0x0
	global_inv scope:SCOPE_SYS
	v_mov_b32_e32 v14, 0
	v_cmp_eq_u32_e64 s0, 0, v0
	s_or_not1_b32 s14, s0, exec_lo
.LBB0_2045:                             ;   in Loop: Header=BB0_2043 Depth=2
	s_wait_xcnt 0x0
	s_or_b32 exec_lo, exec_lo, s15
	s_and_saveexec_b32 s15, s14
	s_cbranch_execz .LBB0_2047
; %bb.2046:                             ;   in Loop: Header=BB0_2043 Depth=2
	s_wait_loadcnt 0x0
	v_cmp_eq_u32_e64 s0, s6, v5
	v_cmp_eq_u32_e64 s1, s6, v7
	s_and_b32 s0, s0, s1
	s_delay_alu instid0(SALU_CYCLE_1)
	s_or_not1_b32 s1, s0, exec_lo
.LBB0_2047:                             ;   in Loop: Header=BB0_2043 Depth=2
	s_or_b32 exec_lo, exec_lo, s15
	s_delay_alu instid0(SALU_CYCLE_1) | instskip(NEXT) | instid1(SALU_CYCLE_1)
	s_and_b32 s0, exec_lo, s1
	s_or_b32 s13, s0, s13
	s_delay_alu instid0(SALU_CYCLE_1)
	s_and_not1_b32 exec_lo, exec_lo, s13
	s_cbranch_execnz .LBB0_2043
; %bb.2048:                             ;   in Loop: Header=BB0_2043 Depth=2
	s_or_b32 exec_lo, exec_lo, s13
	s_wait_loadcnt 0x0
	v_dual_mov_b32 v5, v6 :: v_dual_mov_b32 v14, 0
	s_mov_b32 s13, 0
	s_delay_alu instid0(VALU_DEP_1) | instskip(SKIP_1) | instid1(SALU_CYCLE_1)
	v_cmp_eq_u64_e64 s0, s[6:7], v[4:5]
	s_or_b32 s12, s0, s12
	s_and_not1_b32 exec_lo, exec_lo, s12
	s_cbranch_execnz .LBB0_2043
; %bb.2049:                             ;   in Loop: Header=BB0_1755 Depth=1
	s_or_b32 exec_lo, exec_lo, s12
	s_add_co_i32 s6, s4, 42
	s_mov_b32 s1, s5
	s_bfe_u32 s0, s6, 0x100003
	v_dual_mov_b32 v0, s6 :: v_dual_mov_b32 v1, s6
	s_mulk_i32 s0, 0x20c5
	v_dual_mov_b32 v3, s6 :: v_dual_mov_b32 v14, 0
	s_lshr_b32 s0, s0, 20
	s_mov_b32 s7, s5
	s_mulk_i32 s0, 0x3e8
	s_mov_b32 s12, 0
	s_sub_co_i32 s0, s6, s0
	s_delay_alu instid0(SALU_CYCLE_1) | instskip(NEXT) | instid1(SALU_CYCLE_1)
	s_and_b32 s0, s0, 0xffff
	s_lshl_b32 s0, s0, 12
	s_delay_alu instid0(SALU_CYCLE_1)
	v_add_nc_u64_e32 v[4:5], s[0:1], v[10:11]
	v_add_nc_u64_e32 v[8:9], s[0:1], v[12:13]
	global_store_b128 v[4:5], v[0:3], off th:TH_STORE_NT
.LBB0_2050:                             ;   Parent Loop BB0_1755 Depth=1
                                        ; =>  This Inner Loop Header: Depth=2
	s_wait_loadcnt 0x0
	global_load_b128 v[4:7], v[8:9], off th:TH_LOAD_NT
	v_add_nc_u32_e32 v14, 1, v14
	s_mov_b32 s1, -1
	s_mov_b32 s14, -1
	s_mov_b32 s15, exec_lo
	s_wait_xcnt 0x0
	v_cmpx_eq_u32_e32 0xf4240, v14
	s_cbranch_execz .LBB0_2052
; %bb.2051:                             ;   in Loop: Header=BB0_2050 Depth=2
	s_wait_loadcnt 0x0
	s_wait_storecnt 0x0
	global_load_b32 v0, v2, s[10:11] scope:SCOPE_SYS
	s_wait_loadcnt 0x0
	global_inv scope:SCOPE_SYS
	v_mov_b32_e32 v14, 0
	v_cmp_eq_u32_e64 s0, 0, v0
	s_or_not1_b32 s14, s0, exec_lo
.LBB0_2052:                             ;   in Loop: Header=BB0_2050 Depth=2
	s_wait_xcnt 0x0
	s_or_b32 exec_lo, exec_lo, s15
	s_and_saveexec_b32 s15, s14
	s_cbranch_execz .LBB0_2054
; %bb.2053:                             ;   in Loop: Header=BB0_2050 Depth=2
	s_wait_loadcnt 0x0
	v_cmp_eq_u32_e64 s0, s6, v5
	v_cmp_eq_u32_e64 s1, s6, v7
	s_and_b32 s0, s0, s1
	s_delay_alu instid0(SALU_CYCLE_1)
	s_or_not1_b32 s1, s0, exec_lo
.LBB0_2054:                             ;   in Loop: Header=BB0_2050 Depth=2
	s_or_b32 exec_lo, exec_lo, s15
	s_delay_alu instid0(SALU_CYCLE_1) | instskip(NEXT) | instid1(SALU_CYCLE_1)
	s_and_b32 s0, exec_lo, s1
	s_or_b32 s13, s0, s13
	s_delay_alu instid0(SALU_CYCLE_1)
	s_and_not1_b32 exec_lo, exec_lo, s13
	s_cbranch_execnz .LBB0_2050
; %bb.2055:                             ;   in Loop: Header=BB0_2050 Depth=2
	s_or_b32 exec_lo, exec_lo, s13
	s_wait_loadcnt 0x0
	v_dual_mov_b32 v5, v6 :: v_dual_mov_b32 v14, 0
	s_mov_b32 s13, 0
	s_delay_alu instid0(VALU_DEP_1) | instskip(SKIP_1) | instid1(SALU_CYCLE_1)
	v_cmp_eq_u64_e64 s0, s[6:7], v[4:5]
	s_or_b32 s12, s0, s12
	s_and_not1_b32 exec_lo, exec_lo, s12
	s_cbranch_execnz .LBB0_2050
; %bb.2056:                             ;   in Loop: Header=BB0_1755 Depth=1
	s_or_b32 exec_lo, exec_lo, s12
	s_add_co_i32 s6, s4, 43
	s_mov_b32 s1, s5
	s_bfe_u32 s0, s6, 0x100003
	v_dual_mov_b32 v0, s6 :: v_dual_mov_b32 v1, s6
	s_mulk_i32 s0, 0x20c5
	v_dual_mov_b32 v3, s6 :: v_dual_mov_b32 v14, 0
	s_lshr_b32 s0, s0, 20
	s_mov_b32 s7, s5
	s_mulk_i32 s0, 0x3e8
	s_mov_b32 s12, 0
	s_sub_co_i32 s0, s6, s0
	s_delay_alu instid0(SALU_CYCLE_1) | instskip(NEXT) | instid1(SALU_CYCLE_1)
	s_and_b32 s0, s0, 0xffff
	s_lshl_b32 s0, s0, 12
	s_delay_alu instid0(SALU_CYCLE_1)
	v_add_nc_u64_e32 v[4:5], s[0:1], v[10:11]
	v_add_nc_u64_e32 v[8:9], s[0:1], v[12:13]
	global_store_b128 v[4:5], v[0:3], off th:TH_STORE_NT
.LBB0_2057:                             ;   Parent Loop BB0_1755 Depth=1
                                        ; =>  This Inner Loop Header: Depth=2
	s_wait_loadcnt 0x0
	global_load_b128 v[4:7], v[8:9], off th:TH_LOAD_NT
	v_add_nc_u32_e32 v14, 1, v14
	s_mov_b32 s1, -1
	s_mov_b32 s14, -1
	s_mov_b32 s15, exec_lo
	s_wait_xcnt 0x0
	v_cmpx_eq_u32_e32 0xf4240, v14
	s_cbranch_execz .LBB0_2059
; %bb.2058:                             ;   in Loop: Header=BB0_2057 Depth=2
	s_wait_loadcnt 0x0
	s_wait_storecnt 0x0
	global_load_b32 v0, v2, s[10:11] scope:SCOPE_SYS
	s_wait_loadcnt 0x0
	global_inv scope:SCOPE_SYS
	v_mov_b32_e32 v14, 0
	v_cmp_eq_u32_e64 s0, 0, v0
	s_or_not1_b32 s14, s0, exec_lo
.LBB0_2059:                             ;   in Loop: Header=BB0_2057 Depth=2
	s_wait_xcnt 0x0
	s_or_b32 exec_lo, exec_lo, s15
	s_and_saveexec_b32 s15, s14
	s_cbranch_execz .LBB0_2061
; %bb.2060:                             ;   in Loop: Header=BB0_2057 Depth=2
	s_wait_loadcnt 0x0
	v_cmp_eq_u32_e64 s0, s6, v5
	v_cmp_eq_u32_e64 s1, s6, v7
	s_and_b32 s0, s0, s1
	s_delay_alu instid0(SALU_CYCLE_1)
	s_or_not1_b32 s1, s0, exec_lo
.LBB0_2061:                             ;   in Loop: Header=BB0_2057 Depth=2
	s_or_b32 exec_lo, exec_lo, s15
	s_delay_alu instid0(SALU_CYCLE_1) | instskip(NEXT) | instid1(SALU_CYCLE_1)
	s_and_b32 s0, exec_lo, s1
	s_or_b32 s13, s0, s13
	s_delay_alu instid0(SALU_CYCLE_1)
	s_and_not1_b32 exec_lo, exec_lo, s13
	s_cbranch_execnz .LBB0_2057
; %bb.2062:                             ;   in Loop: Header=BB0_2057 Depth=2
	s_or_b32 exec_lo, exec_lo, s13
	s_wait_loadcnt 0x0
	v_dual_mov_b32 v5, v6 :: v_dual_mov_b32 v14, 0
	s_mov_b32 s13, 0
	s_delay_alu instid0(VALU_DEP_1) | instskip(SKIP_1) | instid1(SALU_CYCLE_1)
	v_cmp_eq_u64_e64 s0, s[6:7], v[4:5]
	s_or_b32 s12, s0, s12
	s_and_not1_b32 exec_lo, exec_lo, s12
	s_cbranch_execnz .LBB0_2057
; %bb.2063:                             ;   in Loop: Header=BB0_1755 Depth=1
	s_or_b32 exec_lo, exec_lo, s12
	s_add_co_i32 s6, s4, 44
	s_mov_b32 s1, s5
	s_bfe_u32 s0, s6, 0x100003
	v_dual_mov_b32 v0, s6 :: v_dual_mov_b32 v1, s6
	s_mulk_i32 s0, 0x20c5
	v_dual_mov_b32 v3, s6 :: v_dual_mov_b32 v14, 0
	s_lshr_b32 s0, s0, 20
	s_mov_b32 s7, s5
	s_mulk_i32 s0, 0x3e8
	s_mov_b32 s12, 0
	s_sub_co_i32 s0, s6, s0
	s_delay_alu instid0(SALU_CYCLE_1) | instskip(NEXT) | instid1(SALU_CYCLE_1)
	s_and_b32 s0, s0, 0xffff
	s_lshl_b32 s0, s0, 12
	s_delay_alu instid0(SALU_CYCLE_1)
	v_add_nc_u64_e32 v[4:5], s[0:1], v[10:11]
	v_add_nc_u64_e32 v[8:9], s[0:1], v[12:13]
	global_store_b128 v[4:5], v[0:3], off th:TH_STORE_NT
.LBB0_2064:                             ;   Parent Loop BB0_1755 Depth=1
                                        ; =>  This Inner Loop Header: Depth=2
	s_wait_loadcnt 0x0
	global_load_b128 v[4:7], v[8:9], off th:TH_LOAD_NT
	v_add_nc_u32_e32 v14, 1, v14
	s_mov_b32 s1, -1
	s_mov_b32 s14, -1
	s_mov_b32 s15, exec_lo
	s_wait_xcnt 0x0
	v_cmpx_eq_u32_e32 0xf4240, v14
	s_cbranch_execz .LBB0_2066
; %bb.2065:                             ;   in Loop: Header=BB0_2064 Depth=2
	s_wait_loadcnt 0x0
	s_wait_storecnt 0x0
	global_load_b32 v0, v2, s[10:11] scope:SCOPE_SYS
	s_wait_loadcnt 0x0
	global_inv scope:SCOPE_SYS
	v_mov_b32_e32 v14, 0
	v_cmp_eq_u32_e64 s0, 0, v0
	s_or_not1_b32 s14, s0, exec_lo
.LBB0_2066:                             ;   in Loop: Header=BB0_2064 Depth=2
	s_wait_xcnt 0x0
	s_or_b32 exec_lo, exec_lo, s15
	s_and_saveexec_b32 s15, s14
	s_cbranch_execz .LBB0_2068
; %bb.2067:                             ;   in Loop: Header=BB0_2064 Depth=2
	s_wait_loadcnt 0x0
	v_cmp_eq_u32_e64 s0, s6, v5
	v_cmp_eq_u32_e64 s1, s6, v7
	s_and_b32 s0, s0, s1
	s_delay_alu instid0(SALU_CYCLE_1)
	s_or_not1_b32 s1, s0, exec_lo
.LBB0_2068:                             ;   in Loop: Header=BB0_2064 Depth=2
	s_or_b32 exec_lo, exec_lo, s15
	s_delay_alu instid0(SALU_CYCLE_1) | instskip(NEXT) | instid1(SALU_CYCLE_1)
	s_and_b32 s0, exec_lo, s1
	s_or_b32 s13, s0, s13
	s_delay_alu instid0(SALU_CYCLE_1)
	s_and_not1_b32 exec_lo, exec_lo, s13
	s_cbranch_execnz .LBB0_2064
; %bb.2069:                             ;   in Loop: Header=BB0_2064 Depth=2
	s_or_b32 exec_lo, exec_lo, s13
	s_wait_loadcnt 0x0
	v_dual_mov_b32 v5, v6 :: v_dual_mov_b32 v14, 0
	s_mov_b32 s13, 0
	s_delay_alu instid0(VALU_DEP_1) | instskip(SKIP_1) | instid1(SALU_CYCLE_1)
	v_cmp_eq_u64_e64 s0, s[6:7], v[4:5]
	s_or_b32 s12, s0, s12
	s_and_not1_b32 exec_lo, exec_lo, s12
	s_cbranch_execnz .LBB0_2064
; %bb.2070:                             ;   in Loop: Header=BB0_1755 Depth=1
	s_or_b32 exec_lo, exec_lo, s12
	s_add_co_i32 s6, s4, 45
	s_mov_b32 s1, s5
	s_bfe_u32 s0, s6, 0x100003
	v_dual_mov_b32 v0, s6 :: v_dual_mov_b32 v1, s6
	s_mulk_i32 s0, 0x20c5
	v_dual_mov_b32 v3, s6 :: v_dual_mov_b32 v14, 0
	s_lshr_b32 s0, s0, 20
	s_mov_b32 s7, s5
	s_mulk_i32 s0, 0x3e8
	s_mov_b32 s12, 0
	s_sub_co_i32 s0, s6, s0
	s_delay_alu instid0(SALU_CYCLE_1) | instskip(NEXT) | instid1(SALU_CYCLE_1)
	s_and_b32 s0, s0, 0xffff
	s_lshl_b32 s0, s0, 12
	s_delay_alu instid0(SALU_CYCLE_1)
	v_add_nc_u64_e32 v[4:5], s[0:1], v[10:11]
	v_add_nc_u64_e32 v[8:9], s[0:1], v[12:13]
	global_store_b128 v[4:5], v[0:3], off th:TH_STORE_NT
.LBB0_2071:                             ;   Parent Loop BB0_1755 Depth=1
                                        ; =>  This Inner Loop Header: Depth=2
	s_wait_loadcnt 0x0
	global_load_b128 v[4:7], v[8:9], off th:TH_LOAD_NT
	v_add_nc_u32_e32 v14, 1, v14
	s_mov_b32 s1, -1
	s_mov_b32 s14, -1
	s_mov_b32 s15, exec_lo
	s_wait_xcnt 0x0
	v_cmpx_eq_u32_e32 0xf4240, v14
	s_cbranch_execz .LBB0_2073
; %bb.2072:                             ;   in Loop: Header=BB0_2071 Depth=2
	s_wait_loadcnt 0x0
	s_wait_storecnt 0x0
	global_load_b32 v0, v2, s[10:11] scope:SCOPE_SYS
	s_wait_loadcnt 0x0
	global_inv scope:SCOPE_SYS
	v_mov_b32_e32 v14, 0
	v_cmp_eq_u32_e64 s0, 0, v0
	s_or_not1_b32 s14, s0, exec_lo
.LBB0_2073:                             ;   in Loop: Header=BB0_2071 Depth=2
	s_wait_xcnt 0x0
	s_or_b32 exec_lo, exec_lo, s15
	s_and_saveexec_b32 s15, s14
	s_cbranch_execz .LBB0_2075
; %bb.2074:                             ;   in Loop: Header=BB0_2071 Depth=2
	s_wait_loadcnt 0x0
	v_cmp_eq_u32_e64 s0, s6, v5
	v_cmp_eq_u32_e64 s1, s6, v7
	s_and_b32 s0, s0, s1
	s_delay_alu instid0(SALU_CYCLE_1)
	s_or_not1_b32 s1, s0, exec_lo
.LBB0_2075:                             ;   in Loop: Header=BB0_2071 Depth=2
	s_or_b32 exec_lo, exec_lo, s15
	s_delay_alu instid0(SALU_CYCLE_1) | instskip(NEXT) | instid1(SALU_CYCLE_1)
	s_and_b32 s0, exec_lo, s1
	s_or_b32 s13, s0, s13
	s_delay_alu instid0(SALU_CYCLE_1)
	s_and_not1_b32 exec_lo, exec_lo, s13
	s_cbranch_execnz .LBB0_2071
; %bb.2076:                             ;   in Loop: Header=BB0_2071 Depth=2
	s_or_b32 exec_lo, exec_lo, s13
	s_wait_loadcnt 0x0
	v_dual_mov_b32 v5, v6 :: v_dual_mov_b32 v14, 0
	s_mov_b32 s13, 0
	s_delay_alu instid0(VALU_DEP_1) | instskip(SKIP_1) | instid1(SALU_CYCLE_1)
	v_cmp_eq_u64_e64 s0, s[6:7], v[4:5]
	s_or_b32 s12, s0, s12
	s_and_not1_b32 exec_lo, exec_lo, s12
	s_cbranch_execnz .LBB0_2071
; %bb.2077:                             ;   in Loop: Header=BB0_1755 Depth=1
	s_or_b32 exec_lo, exec_lo, s12
	s_add_co_i32 s6, s4, 46
	s_mov_b32 s1, s5
	s_bfe_u32 s0, s6, 0x100003
	v_dual_mov_b32 v0, s6 :: v_dual_mov_b32 v1, s6
	s_mulk_i32 s0, 0x20c5
	v_dual_mov_b32 v3, s6 :: v_dual_mov_b32 v14, 0
	s_lshr_b32 s0, s0, 20
	s_mov_b32 s7, s5
	s_mulk_i32 s0, 0x3e8
	s_mov_b32 s12, 0
	s_sub_co_i32 s0, s6, s0
	s_delay_alu instid0(SALU_CYCLE_1) | instskip(NEXT) | instid1(SALU_CYCLE_1)
	s_and_b32 s0, s0, 0xffff
	s_lshl_b32 s0, s0, 12
	s_delay_alu instid0(SALU_CYCLE_1)
	v_add_nc_u64_e32 v[4:5], s[0:1], v[10:11]
	v_add_nc_u64_e32 v[8:9], s[0:1], v[12:13]
	global_store_b128 v[4:5], v[0:3], off th:TH_STORE_NT
.LBB0_2078:                             ;   Parent Loop BB0_1755 Depth=1
                                        ; =>  This Inner Loop Header: Depth=2
	s_wait_loadcnt 0x0
	global_load_b128 v[4:7], v[8:9], off th:TH_LOAD_NT
	v_add_nc_u32_e32 v14, 1, v14
	s_mov_b32 s1, -1
	s_mov_b32 s14, -1
	s_mov_b32 s15, exec_lo
	s_wait_xcnt 0x0
	v_cmpx_eq_u32_e32 0xf4240, v14
	s_cbranch_execz .LBB0_2080
; %bb.2079:                             ;   in Loop: Header=BB0_2078 Depth=2
	s_wait_loadcnt 0x0
	s_wait_storecnt 0x0
	global_load_b32 v0, v2, s[10:11] scope:SCOPE_SYS
	s_wait_loadcnt 0x0
	global_inv scope:SCOPE_SYS
	v_mov_b32_e32 v14, 0
	v_cmp_eq_u32_e64 s0, 0, v0
	s_or_not1_b32 s14, s0, exec_lo
.LBB0_2080:                             ;   in Loop: Header=BB0_2078 Depth=2
	s_wait_xcnt 0x0
	s_or_b32 exec_lo, exec_lo, s15
	s_and_saveexec_b32 s15, s14
	s_cbranch_execz .LBB0_2082
; %bb.2081:                             ;   in Loop: Header=BB0_2078 Depth=2
	s_wait_loadcnt 0x0
	v_cmp_eq_u32_e64 s0, s6, v5
	v_cmp_eq_u32_e64 s1, s6, v7
	s_and_b32 s0, s0, s1
	s_delay_alu instid0(SALU_CYCLE_1)
	s_or_not1_b32 s1, s0, exec_lo
.LBB0_2082:                             ;   in Loop: Header=BB0_2078 Depth=2
	s_or_b32 exec_lo, exec_lo, s15
	s_delay_alu instid0(SALU_CYCLE_1) | instskip(NEXT) | instid1(SALU_CYCLE_1)
	s_and_b32 s0, exec_lo, s1
	s_or_b32 s13, s0, s13
	s_delay_alu instid0(SALU_CYCLE_1)
	s_and_not1_b32 exec_lo, exec_lo, s13
	s_cbranch_execnz .LBB0_2078
; %bb.2083:                             ;   in Loop: Header=BB0_2078 Depth=2
	s_or_b32 exec_lo, exec_lo, s13
	s_wait_loadcnt 0x0
	v_dual_mov_b32 v5, v6 :: v_dual_mov_b32 v14, 0
	s_mov_b32 s13, 0
	s_delay_alu instid0(VALU_DEP_1) | instskip(SKIP_1) | instid1(SALU_CYCLE_1)
	v_cmp_eq_u64_e64 s0, s[6:7], v[4:5]
	s_or_b32 s12, s0, s12
	s_and_not1_b32 exec_lo, exec_lo, s12
	s_cbranch_execnz .LBB0_2078
; %bb.2084:                             ;   in Loop: Header=BB0_1755 Depth=1
	s_or_b32 exec_lo, exec_lo, s12
	s_add_co_i32 s6, s4, 47
	s_mov_b32 s1, s5
	s_bfe_u32 s0, s6, 0x100003
	v_dual_mov_b32 v0, s6 :: v_dual_mov_b32 v1, s6
	s_mulk_i32 s0, 0x20c5
	v_dual_mov_b32 v3, s6 :: v_dual_mov_b32 v14, 0
	s_lshr_b32 s0, s0, 20
	s_mov_b32 s7, s5
	s_mulk_i32 s0, 0x3e8
	s_mov_b32 s12, 0
	s_sub_co_i32 s0, s6, s0
	s_delay_alu instid0(SALU_CYCLE_1) | instskip(NEXT) | instid1(SALU_CYCLE_1)
	s_and_b32 s0, s0, 0xffff
	s_lshl_b32 s0, s0, 12
	s_delay_alu instid0(SALU_CYCLE_1)
	v_add_nc_u64_e32 v[4:5], s[0:1], v[10:11]
	v_add_nc_u64_e32 v[8:9], s[0:1], v[12:13]
	global_store_b128 v[4:5], v[0:3], off th:TH_STORE_NT
.LBB0_2085:                             ;   Parent Loop BB0_1755 Depth=1
                                        ; =>  This Inner Loop Header: Depth=2
	s_wait_loadcnt 0x0
	global_load_b128 v[4:7], v[8:9], off th:TH_LOAD_NT
	v_add_nc_u32_e32 v14, 1, v14
	s_mov_b32 s1, -1
	s_mov_b32 s14, -1
	s_mov_b32 s15, exec_lo
	s_wait_xcnt 0x0
	v_cmpx_eq_u32_e32 0xf4240, v14
	s_cbranch_execz .LBB0_2087
; %bb.2086:                             ;   in Loop: Header=BB0_2085 Depth=2
	s_wait_loadcnt 0x0
	s_wait_storecnt 0x0
	global_load_b32 v0, v2, s[10:11] scope:SCOPE_SYS
	s_wait_loadcnt 0x0
	global_inv scope:SCOPE_SYS
	v_mov_b32_e32 v14, 0
	v_cmp_eq_u32_e64 s0, 0, v0
	s_or_not1_b32 s14, s0, exec_lo
.LBB0_2087:                             ;   in Loop: Header=BB0_2085 Depth=2
	s_wait_xcnt 0x0
	s_or_b32 exec_lo, exec_lo, s15
	s_and_saveexec_b32 s15, s14
	s_cbranch_execz .LBB0_2089
; %bb.2088:                             ;   in Loop: Header=BB0_2085 Depth=2
	s_wait_loadcnt 0x0
	v_cmp_eq_u32_e64 s0, s6, v5
	v_cmp_eq_u32_e64 s1, s6, v7
	s_and_b32 s0, s0, s1
	s_delay_alu instid0(SALU_CYCLE_1)
	s_or_not1_b32 s1, s0, exec_lo
.LBB0_2089:                             ;   in Loop: Header=BB0_2085 Depth=2
	s_or_b32 exec_lo, exec_lo, s15
	s_delay_alu instid0(SALU_CYCLE_1) | instskip(NEXT) | instid1(SALU_CYCLE_1)
	s_and_b32 s0, exec_lo, s1
	s_or_b32 s13, s0, s13
	s_delay_alu instid0(SALU_CYCLE_1)
	s_and_not1_b32 exec_lo, exec_lo, s13
	s_cbranch_execnz .LBB0_2085
; %bb.2090:                             ;   in Loop: Header=BB0_2085 Depth=2
	s_or_b32 exec_lo, exec_lo, s13
	s_wait_loadcnt 0x0
	v_dual_mov_b32 v5, v6 :: v_dual_mov_b32 v14, 0
	s_mov_b32 s13, 0
	s_delay_alu instid0(VALU_DEP_1) | instskip(SKIP_1) | instid1(SALU_CYCLE_1)
	v_cmp_eq_u64_e64 s0, s[6:7], v[4:5]
	s_or_b32 s12, s0, s12
	s_and_not1_b32 exec_lo, exec_lo, s12
	s_cbranch_execnz .LBB0_2085
; %bb.2091:                             ;   in Loop: Header=BB0_1755 Depth=1
	s_or_b32 exec_lo, exec_lo, s12
	s_add_co_i32 s6, s4, 48
	s_mov_b32 s1, s5
	s_bfe_u32 s0, s6, 0x100003
	v_dual_mov_b32 v0, s6 :: v_dual_mov_b32 v1, s6
	s_mulk_i32 s0, 0x20c5
	v_dual_mov_b32 v3, s6 :: v_dual_mov_b32 v14, 0
	s_lshr_b32 s0, s0, 20
	s_mov_b32 s7, s5
	s_mulk_i32 s0, 0x3e8
	s_mov_b32 s12, 0
	s_sub_co_i32 s0, s6, s0
	s_delay_alu instid0(SALU_CYCLE_1) | instskip(NEXT) | instid1(SALU_CYCLE_1)
	s_and_b32 s0, s0, 0xffff
	s_lshl_b32 s0, s0, 12
	s_delay_alu instid0(SALU_CYCLE_1)
	v_add_nc_u64_e32 v[4:5], s[0:1], v[10:11]
	v_add_nc_u64_e32 v[8:9], s[0:1], v[12:13]
	global_store_b128 v[4:5], v[0:3], off th:TH_STORE_NT
.LBB0_2092:                             ;   Parent Loop BB0_1755 Depth=1
                                        ; =>  This Inner Loop Header: Depth=2
	s_wait_loadcnt 0x0
	global_load_b128 v[4:7], v[8:9], off th:TH_LOAD_NT
	v_add_nc_u32_e32 v14, 1, v14
	s_mov_b32 s1, -1
	s_mov_b32 s14, -1
	s_mov_b32 s15, exec_lo
	s_wait_xcnt 0x0
	v_cmpx_eq_u32_e32 0xf4240, v14
	s_cbranch_execz .LBB0_2094
; %bb.2093:                             ;   in Loop: Header=BB0_2092 Depth=2
	s_wait_loadcnt 0x0
	s_wait_storecnt 0x0
	global_load_b32 v0, v2, s[10:11] scope:SCOPE_SYS
	s_wait_loadcnt 0x0
	global_inv scope:SCOPE_SYS
	v_mov_b32_e32 v14, 0
	v_cmp_eq_u32_e64 s0, 0, v0
	s_or_not1_b32 s14, s0, exec_lo
.LBB0_2094:                             ;   in Loop: Header=BB0_2092 Depth=2
	s_wait_xcnt 0x0
	s_or_b32 exec_lo, exec_lo, s15
	s_and_saveexec_b32 s15, s14
	s_cbranch_execz .LBB0_2096
; %bb.2095:                             ;   in Loop: Header=BB0_2092 Depth=2
	s_wait_loadcnt 0x0
	v_cmp_eq_u32_e64 s0, s6, v5
	v_cmp_eq_u32_e64 s1, s6, v7
	s_and_b32 s0, s0, s1
	s_delay_alu instid0(SALU_CYCLE_1)
	s_or_not1_b32 s1, s0, exec_lo
.LBB0_2096:                             ;   in Loop: Header=BB0_2092 Depth=2
	s_or_b32 exec_lo, exec_lo, s15
	s_delay_alu instid0(SALU_CYCLE_1) | instskip(NEXT) | instid1(SALU_CYCLE_1)
	s_and_b32 s0, exec_lo, s1
	s_or_b32 s13, s0, s13
	s_delay_alu instid0(SALU_CYCLE_1)
	s_and_not1_b32 exec_lo, exec_lo, s13
	s_cbranch_execnz .LBB0_2092
; %bb.2097:                             ;   in Loop: Header=BB0_2092 Depth=2
	s_or_b32 exec_lo, exec_lo, s13
	s_wait_loadcnt 0x0
	v_dual_mov_b32 v5, v6 :: v_dual_mov_b32 v14, 0
	s_mov_b32 s13, 0
	s_delay_alu instid0(VALU_DEP_1) | instskip(SKIP_1) | instid1(SALU_CYCLE_1)
	v_cmp_eq_u64_e64 s0, s[6:7], v[4:5]
	s_or_b32 s12, s0, s12
	s_and_not1_b32 exec_lo, exec_lo, s12
	s_cbranch_execnz .LBB0_2092
; %bb.2098:                             ;   in Loop: Header=BB0_1755 Depth=1
	s_or_b32 exec_lo, exec_lo, s12
	s_add_co_i32 s6, s4, 49
	s_mov_b32 s1, s5
	s_bfe_u32 s0, s6, 0x100003
	v_dual_mov_b32 v0, s6 :: v_dual_mov_b32 v1, s6
	s_mulk_i32 s0, 0x20c5
	v_dual_mov_b32 v3, s6 :: v_dual_mov_b32 v14, 0
	s_lshr_b32 s0, s0, 20
	s_mov_b32 s7, s5
	s_mulk_i32 s0, 0x3e8
	s_mov_b32 s12, 0
	s_sub_co_i32 s0, s6, s0
	s_delay_alu instid0(SALU_CYCLE_1) | instskip(NEXT) | instid1(SALU_CYCLE_1)
	s_and_b32 s0, s0, 0xffff
	s_lshl_b32 s0, s0, 12
	s_delay_alu instid0(SALU_CYCLE_1)
	v_add_nc_u64_e32 v[4:5], s[0:1], v[10:11]
	v_add_nc_u64_e32 v[8:9], s[0:1], v[12:13]
	global_store_b128 v[4:5], v[0:3], off th:TH_STORE_NT
.LBB0_2099:                             ;   Parent Loop BB0_1755 Depth=1
                                        ; =>  This Inner Loop Header: Depth=2
	s_wait_loadcnt 0x0
	global_load_b128 v[4:7], v[8:9], off th:TH_LOAD_NT
	v_add_nc_u32_e32 v14, 1, v14
	s_mov_b32 s1, -1
	s_mov_b32 s14, -1
	s_mov_b32 s15, exec_lo
	s_wait_xcnt 0x0
	v_cmpx_eq_u32_e32 0xf4240, v14
	s_cbranch_execz .LBB0_2101
; %bb.2100:                             ;   in Loop: Header=BB0_2099 Depth=2
	s_wait_loadcnt 0x0
	s_wait_storecnt 0x0
	global_load_b32 v0, v2, s[10:11] scope:SCOPE_SYS
	s_wait_loadcnt 0x0
	global_inv scope:SCOPE_SYS
	v_mov_b32_e32 v14, 0
	v_cmp_eq_u32_e64 s0, 0, v0
	s_or_not1_b32 s14, s0, exec_lo
.LBB0_2101:                             ;   in Loop: Header=BB0_2099 Depth=2
	s_wait_xcnt 0x0
	s_or_b32 exec_lo, exec_lo, s15
	s_and_saveexec_b32 s15, s14
	s_cbranch_execz .LBB0_2103
; %bb.2102:                             ;   in Loop: Header=BB0_2099 Depth=2
	s_wait_loadcnt 0x0
	v_cmp_eq_u32_e64 s0, s6, v5
	v_cmp_eq_u32_e64 s1, s6, v7
	s_and_b32 s0, s0, s1
	s_delay_alu instid0(SALU_CYCLE_1)
	s_or_not1_b32 s1, s0, exec_lo
.LBB0_2103:                             ;   in Loop: Header=BB0_2099 Depth=2
	s_or_b32 exec_lo, exec_lo, s15
	s_delay_alu instid0(SALU_CYCLE_1) | instskip(NEXT) | instid1(SALU_CYCLE_1)
	s_and_b32 s0, exec_lo, s1
	s_or_b32 s13, s0, s13
	s_delay_alu instid0(SALU_CYCLE_1)
	s_and_not1_b32 exec_lo, exec_lo, s13
	s_cbranch_execnz .LBB0_2099
; %bb.2104:                             ;   in Loop: Header=BB0_2099 Depth=2
	s_or_b32 exec_lo, exec_lo, s13
	s_wait_loadcnt 0x0
	v_dual_mov_b32 v5, v6 :: v_dual_mov_b32 v14, 0
	s_mov_b32 s13, 0
	s_delay_alu instid0(VALU_DEP_1) | instskip(SKIP_1) | instid1(SALU_CYCLE_1)
	v_cmp_eq_u64_e64 s0, s[6:7], v[4:5]
	s_or_b32 s12, s0, s12
	s_and_not1_b32 exec_lo, exec_lo, s12
	s_cbranch_execnz .LBB0_2099
; %bb.2105:                             ;   in Loop: Header=BB0_1755 Depth=1
	s_or_b32 exec_lo, exec_lo, s12
	s_add_co_i32 s6, s4, 50
	s_mov_b32 s1, s5
	s_bfe_u32 s0, s6, 0x100003
	v_dual_mov_b32 v0, s6 :: v_dual_mov_b32 v1, s6
	s_mulk_i32 s0, 0x20c5
	v_dual_mov_b32 v3, s6 :: v_dual_mov_b32 v14, 0
	s_lshr_b32 s0, s0, 20
	s_mov_b32 s7, s5
	s_mulk_i32 s0, 0x3e8
	s_mov_b32 s12, 0
	s_sub_co_i32 s0, s6, s0
	s_delay_alu instid0(SALU_CYCLE_1) | instskip(NEXT) | instid1(SALU_CYCLE_1)
	s_and_b32 s0, s0, 0xffff
	s_lshl_b32 s0, s0, 12
	s_delay_alu instid0(SALU_CYCLE_1)
	v_add_nc_u64_e32 v[4:5], s[0:1], v[10:11]
	v_add_nc_u64_e32 v[8:9], s[0:1], v[12:13]
	global_store_b128 v[4:5], v[0:3], off th:TH_STORE_NT
.LBB0_2106:                             ;   Parent Loop BB0_1755 Depth=1
                                        ; =>  This Inner Loop Header: Depth=2
	s_wait_loadcnt 0x0
	global_load_b128 v[4:7], v[8:9], off th:TH_LOAD_NT
	v_add_nc_u32_e32 v14, 1, v14
	s_mov_b32 s1, -1
	s_mov_b32 s14, -1
	s_mov_b32 s15, exec_lo
	s_wait_xcnt 0x0
	v_cmpx_eq_u32_e32 0xf4240, v14
	s_cbranch_execz .LBB0_2108
; %bb.2107:                             ;   in Loop: Header=BB0_2106 Depth=2
	s_wait_loadcnt 0x0
	s_wait_storecnt 0x0
	global_load_b32 v0, v2, s[10:11] scope:SCOPE_SYS
	s_wait_loadcnt 0x0
	global_inv scope:SCOPE_SYS
	v_mov_b32_e32 v14, 0
	v_cmp_eq_u32_e64 s0, 0, v0
	s_or_not1_b32 s14, s0, exec_lo
.LBB0_2108:                             ;   in Loop: Header=BB0_2106 Depth=2
	s_wait_xcnt 0x0
	s_or_b32 exec_lo, exec_lo, s15
	s_and_saveexec_b32 s15, s14
	s_cbranch_execz .LBB0_2110
; %bb.2109:                             ;   in Loop: Header=BB0_2106 Depth=2
	s_wait_loadcnt 0x0
	v_cmp_eq_u32_e64 s0, s6, v5
	v_cmp_eq_u32_e64 s1, s6, v7
	s_and_b32 s0, s0, s1
	s_delay_alu instid0(SALU_CYCLE_1)
	s_or_not1_b32 s1, s0, exec_lo
.LBB0_2110:                             ;   in Loop: Header=BB0_2106 Depth=2
	s_or_b32 exec_lo, exec_lo, s15
	s_delay_alu instid0(SALU_CYCLE_1) | instskip(NEXT) | instid1(SALU_CYCLE_1)
	s_and_b32 s0, exec_lo, s1
	s_or_b32 s13, s0, s13
	s_delay_alu instid0(SALU_CYCLE_1)
	s_and_not1_b32 exec_lo, exec_lo, s13
	s_cbranch_execnz .LBB0_2106
; %bb.2111:                             ;   in Loop: Header=BB0_2106 Depth=2
	s_or_b32 exec_lo, exec_lo, s13
	s_wait_loadcnt 0x0
	v_dual_mov_b32 v5, v6 :: v_dual_mov_b32 v14, 0
	s_mov_b32 s13, 0
	s_delay_alu instid0(VALU_DEP_1) | instskip(SKIP_1) | instid1(SALU_CYCLE_1)
	v_cmp_eq_u64_e64 s0, s[6:7], v[4:5]
	s_or_b32 s12, s0, s12
	s_and_not1_b32 exec_lo, exec_lo, s12
	s_cbranch_execnz .LBB0_2106
; %bb.2112:                             ;   in Loop: Header=BB0_1755 Depth=1
	s_or_b32 exec_lo, exec_lo, s12
	s_add_co_i32 s6, s4, 51
	s_mov_b32 s1, s5
	s_bfe_u32 s0, s6, 0x100003
	v_dual_mov_b32 v0, s6 :: v_dual_mov_b32 v1, s6
	s_mulk_i32 s0, 0x20c5
	v_dual_mov_b32 v3, s6 :: v_dual_mov_b32 v14, 0
	s_lshr_b32 s0, s0, 20
	s_mov_b32 s7, s5
	s_mulk_i32 s0, 0x3e8
	s_mov_b32 s12, 0
	s_sub_co_i32 s0, s6, s0
	s_delay_alu instid0(SALU_CYCLE_1) | instskip(NEXT) | instid1(SALU_CYCLE_1)
	s_and_b32 s0, s0, 0xffff
	s_lshl_b32 s0, s0, 12
	s_delay_alu instid0(SALU_CYCLE_1)
	v_add_nc_u64_e32 v[4:5], s[0:1], v[10:11]
	v_add_nc_u64_e32 v[8:9], s[0:1], v[12:13]
	global_store_b128 v[4:5], v[0:3], off th:TH_STORE_NT
.LBB0_2113:                             ;   Parent Loop BB0_1755 Depth=1
                                        ; =>  This Inner Loop Header: Depth=2
	s_wait_loadcnt 0x0
	global_load_b128 v[4:7], v[8:9], off th:TH_LOAD_NT
	v_add_nc_u32_e32 v14, 1, v14
	s_mov_b32 s1, -1
	s_mov_b32 s14, -1
	s_mov_b32 s15, exec_lo
	s_wait_xcnt 0x0
	v_cmpx_eq_u32_e32 0xf4240, v14
	s_cbranch_execz .LBB0_2115
; %bb.2114:                             ;   in Loop: Header=BB0_2113 Depth=2
	s_wait_loadcnt 0x0
	s_wait_storecnt 0x0
	global_load_b32 v0, v2, s[10:11] scope:SCOPE_SYS
	s_wait_loadcnt 0x0
	global_inv scope:SCOPE_SYS
	v_mov_b32_e32 v14, 0
	v_cmp_eq_u32_e64 s0, 0, v0
	s_or_not1_b32 s14, s0, exec_lo
.LBB0_2115:                             ;   in Loop: Header=BB0_2113 Depth=2
	s_wait_xcnt 0x0
	s_or_b32 exec_lo, exec_lo, s15
	s_and_saveexec_b32 s15, s14
	s_cbranch_execz .LBB0_2117
; %bb.2116:                             ;   in Loop: Header=BB0_2113 Depth=2
	s_wait_loadcnt 0x0
	v_cmp_eq_u32_e64 s0, s6, v5
	v_cmp_eq_u32_e64 s1, s6, v7
	s_and_b32 s0, s0, s1
	s_delay_alu instid0(SALU_CYCLE_1)
	s_or_not1_b32 s1, s0, exec_lo
.LBB0_2117:                             ;   in Loop: Header=BB0_2113 Depth=2
	s_or_b32 exec_lo, exec_lo, s15
	s_delay_alu instid0(SALU_CYCLE_1) | instskip(NEXT) | instid1(SALU_CYCLE_1)
	s_and_b32 s0, exec_lo, s1
	s_or_b32 s13, s0, s13
	s_delay_alu instid0(SALU_CYCLE_1)
	s_and_not1_b32 exec_lo, exec_lo, s13
	s_cbranch_execnz .LBB0_2113
; %bb.2118:                             ;   in Loop: Header=BB0_2113 Depth=2
	s_or_b32 exec_lo, exec_lo, s13
	s_wait_loadcnt 0x0
	v_dual_mov_b32 v5, v6 :: v_dual_mov_b32 v14, 0
	s_mov_b32 s13, 0
	s_delay_alu instid0(VALU_DEP_1) | instskip(SKIP_1) | instid1(SALU_CYCLE_1)
	v_cmp_eq_u64_e64 s0, s[6:7], v[4:5]
	s_or_b32 s12, s0, s12
	s_and_not1_b32 exec_lo, exec_lo, s12
	s_cbranch_execnz .LBB0_2113
; %bb.2119:                             ;   in Loop: Header=BB0_1755 Depth=1
	s_or_b32 exec_lo, exec_lo, s12
	s_add_co_i32 s6, s4, 52
	s_mov_b32 s1, s5
	s_bfe_u32 s0, s6, 0x100003
	v_dual_mov_b32 v0, s6 :: v_dual_mov_b32 v1, s6
	s_mulk_i32 s0, 0x20c5
	v_dual_mov_b32 v3, s6 :: v_dual_mov_b32 v14, 0
	s_lshr_b32 s0, s0, 20
	s_mov_b32 s7, s5
	s_mulk_i32 s0, 0x3e8
	s_mov_b32 s12, 0
	s_sub_co_i32 s0, s6, s0
	s_delay_alu instid0(SALU_CYCLE_1) | instskip(NEXT) | instid1(SALU_CYCLE_1)
	s_and_b32 s0, s0, 0xffff
	s_lshl_b32 s0, s0, 12
	s_delay_alu instid0(SALU_CYCLE_1)
	v_add_nc_u64_e32 v[4:5], s[0:1], v[10:11]
	v_add_nc_u64_e32 v[8:9], s[0:1], v[12:13]
	global_store_b128 v[4:5], v[0:3], off th:TH_STORE_NT
.LBB0_2120:                             ;   Parent Loop BB0_1755 Depth=1
                                        ; =>  This Inner Loop Header: Depth=2
	s_wait_loadcnt 0x0
	global_load_b128 v[4:7], v[8:9], off th:TH_LOAD_NT
	v_add_nc_u32_e32 v14, 1, v14
	s_mov_b32 s1, -1
	s_mov_b32 s14, -1
	s_mov_b32 s15, exec_lo
	s_wait_xcnt 0x0
	v_cmpx_eq_u32_e32 0xf4240, v14
	s_cbranch_execz .LBB0_2122
; %bb.2121:                             ;   in Loop: Header=BB0_2120 Depth=2
	s_wait_loadcnt 0x0
	s_wait_storecnt 0x0
	global_load_b32 v0, v2, s[10:11] scope:SCOPE_SYS
	s_wait_loadcnt 0x0
	global_inv scope:SCOPE_SYS
	v_mov_b32_e32 v14, 0
	v_cmp_eq_u32_e64 s0, 0, v0
	s_or_not1_b32 s14, s0, exec_lo
.LBB0_2122:                             ;   in Loop: Header=BB0_2120 Depth=2
	s_wait_xcnt 0x0
	s_or_b32 exec_lo, exec_lo, s15
	s_and_saveexec_b32 s15, s14
	s_cbranch_execz .LBB0_2124
; %bb.2123:                             ;   in Loop: Header=BB0_2120 Depth=2
	s_wait_loadcnt 0x0
	v_cmp_eq_u32_e64 s0, s6, v5
	v_cmp_eq_u32_e64 s1, s6, v7
	s_and_b32 s0, s0, s1
	s_delay_alu instid0(SALU_CYCLE_1)
	s_or_not1_b32 s1, s0, exec_lo
.LBB0_2124:                             ;   in Loop: Header=BB0_2120 Depth=2
	s_or_b32 exec_lo, exec_lo, s15
	s_delay_alu instid0(SALU_CYCLE_1) | instskip(NEXT) | instid1(SALU_CYCLE_1)
	s_and_b32 s0, exec_lo, s1
	s_or_b32 s13, s0, s13
	s_delay_alu instid0(SALU_CYCLE_1)
	s_and_not1_b32 exec_lo, exec_lo, s13
	s_cbranch_execnz .LBB0_2120
; %bb.2125:                             ;   in Loop: Header=BB0_2120 Depth=2
	s_or_b32 exec_lo, exec_lo, s13
	s_wait_loadcnt 0x0
	v_dual_mov_b32 v5, v6 :: v_dual_mov_b32 v14, 0
	s_mov_b32 s13, 0
	s_delay_alu instid0(VALU_DEP_1) | instskip(SKIP_1) | instid1(SALU_CYCLE_1)
	v_cmp_eq_u64_e64 s0, s[6:7], v[4:5]
	s_or_b32 s12, s0, s12
	s_and_not1_b32 exec_lo, exec_lo, s12
	s_cbranch_execnz .LBB0_2120
; %bb.2126:                             ;   in Loop: Header=BB0_1755 Depth=1
	s_or_b32 exec_lo, exec_lo, s12
	s_add_co_i32 s6, s4, 53
	s_mov_b32 s1, s5
	s_bfe_u32 s0, s6, 0x100003
	v_dual_mov_b32 v0, s6 :: v_dual_mov_b32 v1, s6
	s_mulk_i32 s0, 0x20c5
	v_dual_mov_b32 v3, s6 :: v_dual_mov_b32 v14, 0
	s_lshr_b32 s0, s0, 20
	s_mov_b32 s7, s5
	s_mulk_i32 s0, 0x3e8
	s_mov_b32 s12, 0
	s_sub_co_i32 s0, s6, s0
	s_delay_alu instid0(SALU_CYCLE_1) | instskip(NEXT) | instid1(SALU_CYCLE_1)
	s_and_b32 s0, s0, 0xffff
	s_lshl_b32 s0, s0, 12
	s_delay_alu instid0(SALU_CYCLE_1)
	v_add_nc_u64_e32 v[4:5], s[0:1], v[10:11]
	v_add_nc_u64_e32 v[8:9], s[0:1], v[12:13]
	global_store_b128 v[4:5], v[0:3], off th:TH_STORE_NT
.LBB0_2127:                             ;   Parent Loop BB0_1755 Depth=1
                                        ; =>  This Inner Loop Header: Depth=2
	s_wait_loadcnt 0x0
	global_load_b128 v[4:7], v[8:9], off th:TH_LOAD_NT
	v_add_nc_u32_e32 v14, 1, v14
	s_mov_b32 s1, -1
	s_mov_b32 s14, -1
	s_mov_b32 s15, exec_lo
	s_wait_xcnt 0x0
	v_cmpx_eq_u32_e32 0xf4240, v14
	s_cbranch_execz .LBB0_2129
; %bb.2128:                             ;   in Loop: Header=BB0_2127 Depth=2
	s_wait_loadcnt 0x0
	s_wait_storecnt 0x0
	global_load_b32 v0, v2, s[10:11] scope:SCOPE_SYS
	s_wait_loadcnt 0x0
	global_inv scope:SCOPE_SYS
	v_mov_b32_e32 v14, 0
	v_cmp_eq_u32_e64 s0, 0, v0
	s_or_not1_b32 s14, s0, exec_lo
.LBB0_2129:                             ;   in Loop: Header=BB0_2127 Depth=2
	s_wait_xcnt 0x0
	s_or_b32 exec_lo, exec_lo, s15
	s_and_saveexec_b32 s15, s14
	s_cbranch_execz .LBB0_2131
; %bb.2130:                             ;   in Loop: Header=BB0_2127 Depth=2
	s_wait_loadcnt 0x0
	v_cmp_eq_u32_e64 s0, s6, v5
	v_cmp_eq_u32_e64 s1, s6, v7
	s_and_b32 s0, s0, s1
	s_delay_alu instid0(SALU_CYCLE_1)
	s_or_not1_b32 s1, s0, exec_lo
.LBB0_2131:                             ;   in Loop: Header=BB0_2127 Depth=2
	s_or_b32 exec_lo, exec_lo, s15
	s_delay_alu instid0(SALU_CYCLE_1) | instskip(NEXT) | instid1(SALU_CYCLE_1)
	s_and_b32 s0, exec_lo, s1
	s_or_b32 s13, s0, s13
	s_delay_alu instid0(SALU_CYCLE_1)
	s_and_not1_b32 exec_lo, exec_lo, s13
	s_cbranch_execnz .LBB0_2127
; %bb.2132:                             ;   in Loop: Header=BB0_2127 Depth=2
	s_or_b32 exec_lo, exec_lo, s13
	s_wait_loadcnt 0x0
	v_dual_mov_b32 v5, v6 :: v_dual_mov_b32 v14, 0
	s_mov_b32 s13, 0
	s_delay_alu instid0(VALU_DEP_1) | instskip(SKIP_1) | instid1(SALU_CYCLE_1)
	v_cmp_eq_u64_e64 s0, s[6:7], v[4:5]
	s_or_b32 s12, s0, s12
	s_and_not1_b32 exec_lo, exec_lo, s12
	s_cbranch_execnz .LBB0_2127
; %bb.2133:                             ;   in Loop: Header=BB0_1755 Depth=1
	s_or_b32 exec_lo, exec_lo, s12
	s_add_co_i32 s6, s4, 54
	s_mov_b32 s1, s5
	s_bfe_u32 s0, s6, 0x100003
	v_dual_mov_b32 v0, s6 :: v_dual_mov_b32 v1, s6
	s_mulk_i32 s0, 0x20c5
	v_dual_mov_b32 v3, s6 :: v_dual_mov_b32 v14, 0
	s_lshr_b32 s0, s0, 20
	s_mov_b32 s7, s5
	s_mulk_i32 s0, 0x3e8
	s_mov_b32 s12, 0
	s_sub_co_i32 s0, s6, s0
	s_delay_alu instid0(SALU_CYCLE_1) | instskip(NEXT) | instid1(SALU_CYCLE_1)
	s_and_b32 s0, s0, 0xffff
	s_lshl_b32 s0, s0, 12
	s_delay_alu instid0(SALU_CYCLE_1)
	v_add_nc_u64_e32 v[4:5], s[0:1], v[10:11]
	v_add_nc_u64_e32 v[8:9], s[0:1], v[12:13]
	global_store_b128 v[4:5], v[0:3], off th:TH_STORE_NT
.LBB0_2134:                             ;   Parent Loop BB0_1755 Depth=1
                                        ; =>  This Inner Loop Header: Depth=2
	s_wait_loadcnt 0x0
	global_load_b128 v[4:7], v[8:9], off th:TH_LOAD_NT
	v_add_nc_u32_e32 v14, 1, v14
	s_mov_b32 s1, -1
	s_mov_b32 s14, -1
	s_mov_b32 s15, exec_lo
	s_wait_xcnt 0x0
	v_cmpx_eq_u32_e32 0xf4240, v14
	s_cbranch_execz .LBB0_2136
; %bb.2135:                             ;   in Loop: Header=BB0_2134 Depth=2
	s_wait_loadcnt 0x0
	s_wait_storecnt 0x0
	global_load_b32 v0, v2, s[10:11] scope:SCOPE_SYS
	s_wait_loadcnt 0x0
	global_inv scope:SCOPE_SYS
	v_mov_b32_e32 v14, 0
	v_cmp_eq_u32_e64 s0, 0, v0
	s_or_not1_b32 s14, s0, exec_lo
.LBB0_2136:                             ;   in Loop: Header=BB0_2134 Depth=2
	s_wait_xcnt 0x0
	s_or_b32 exec_lo, exec_lo, s15
	s_and_saveexec_b32 s15, s14
	s_cbranch_execz .LBB0_2138
; %bb.2137:                             ;   in Loop: Header=BB0_2134 Depth=2
	s_wait_loadcnt 0x0
	v_cmp_eq_u32_e64 s0, s6, v5
	v_cmp_eq_u32_e64 s1, s6, v7
	s_and_b32 s0, s0, s1
	s_delay_alu instid0(SALU_CYCLE_1)
	s_or_not1_b32 s1, s0, exec_lo
.LBB0_2138:                             ;   in Loop: Header=BB0_2134 Depth=2
	s_or_b32 exec_lo, exec_lo, s15
	s_delay_alu instid0(SALU_CYCLE_1) | instskip(NEXT) | instid1(SALU_CYCLE_1)
	s_and_b32 s0, exec_lo, s1
	s_or_b32 s13, s0, s13
	s_delay_alu instid0(SALU_CYCLE_1)
	s_and_not1_b32 exec_lo, exec_lo, s13
	s_cbranch_execnz .LBB0_2134
; %bb.2139:                             ;   in Loop: Header=BB0_2134 Depth=2
	s_or_b32 exec_lo, exec_lo, s13
	s_wait_loadcnt 0x0
	v_dual_mov_b32 v5, v6 :: v_dual_mov_b32 v14, 0
	s_mov_b32 s13, 0
	s_delay_alu instid0(VALU_DEP_1) | instskip(SKIP_1) | instid1(SALU_CYCLE_1)
	v_cmp_eq_u64_e64 s0, s[6:7], v[4:5]
	s_or_b32 s12, s0, s12
	s_and_not1_b32 exec_lo, exec_lo, s12
	s_cbranch_execnz .LBB0_2134
; %bb.2140:                             ;   in Loop: Header=BB0_1755 Depth=1
	s_or_b32 exec_lo, exec_lo, s12
	s_add_co_i32 s6, s4, 55
	s_mov_b32 s1, s5
	s_bfe_u32 s0, s6, 0x100003
	v_dual_mov_b32 v0, s6 :: v_dual_mov_b32 v1, s6
	s_mulk_i32 s0, 0x20c5
	v_dual_mov_b32 v3, s6 :: v_dual_mov_b32 v14, 0
	s_lshr_b32 s0, s0, 20
	s_mov_b32 s7, s5
	s_mulk_i32 s0, 0x3e8
	s_mov_b32 s12, 0
	s_sub_co_i32 s0, s6, s0
	s_delay_alu instid0(SALU_CYCLE_1) | instskip(NEXT) | instid1(SALU_CYCLE_1)
	s_and_b32 s0, s0, 0xffff
	s_lshl_b32 s0, s0, 12
	s_delay_alu instid0(SALU_CYCLE_1)
	v_add_nc_u64_e32 v[4:5], s[0:1], v[10:11]
	v_add_nc_u64_e32 v[8:9], s[0:1], v[12:13]
	global_store_b128 v[4:5], v[0:3], off th:TH_STORE_NT
.LBB0_2141:                             ;   Parent Loop BB0_1755 Depth=1
                                        ; =>  This Inner Loop Header: Depth=2
	s_wait_loadcnt 0x0
	global_load_b128 v[4:7], v[8:9], off th:TH_LOAD_NT
	v_add_nc_u32_e32 v14, 1, v14
	s_mov_b32 s1, -1
	s_mov_b32 s14, -1
	s_mov_b32 s15, exec_lo
	s_wait_xcnt 0x0
	v_cmpx_eq_u32_e32 0xf4240, v14
	s_cbranch_execz .LBB0_2143
; %bb.2142:                             ;   in Loop: Header=BB0_2141 Depth=2
	s_wait_loadcnt 0x0
	s_wait_storecnt 0x0
	global_load_b32 v0, v2, s[10:11] scope:SCOPE_SYS
	s_wait_loadcnt 0x0
	global_inv scope:SCOPE_SYS
	v_mov_b32_e32 v14, 0
	v_cmp_eq_u32_e64 s0, 0, v0
	s_or_not1_b32 s14, s0, exec_lo
.LBB0_2143:                             ;   in Loop: Header=BB0_2141 Depth=2
	s_wait_xcnt 0x0
	s_or_b32 exec_lo, exec_lo, s15
	s_and_saveexec_b32 s15, s14
	s_cbranch_execz .LBB0_2145
; %bb.2144:                             ;   in Loop: Header=BB0_2141 Depth=2
	s_wait_loadcnt 0x0
	v_cmp_eq_u32_e64 s0, s6, v5
	v_cmp_eq_u32_e64 s1, s6, v7
	s_and_b32 s0, s0, s1
	s_delay_alu instid0(SALU_CYCLE_1)
	s_or_not1_b32 s1, s0, exec_lo
.LBB0_2145:                             ;   in Loop: Header=BB0_2141 Depth=2
	s_or_b32 exec_lo, exec_lo, s15
	s_delay_alu instid0(SALU_CYCLE_1) | instskip(NEXT) | instid1(SALU_CYCLE_1)
	s_and_b32 s0, exec_lo, s1
	s_or_b32 s13, s0, s13
	s_delay_alu instid0(SALU_CYCLE_1)
	s_and_not1_b32 exec_lo, exec_lo, s13
	s_cbranch_execnz .LBB0_2141
; %bb.2146:                             ;   in Loop: Header=BB0_2141 Depth=2
	s_or_b32 exec_lo, exec_lo, s13
	s_wait_loadcnt 0x0
	v_dual_mov_b32 v5, v6 :: v_dual_mov_b32 v14, 0
	s_mov_b32 s13, 0
	s_delay_alu instid0(VALU_DEP_1) | instskip(SKIP_1) | instid1(SALU_CYCLE_1)
	v_cmp_eq_u64_e64 s0, s[6:7], v[4:5]
	s_or_b32 s12, s0, s12
	s_and_not1_b32 exec_lo, exec_lo, s12
	s_cbranch_execnz .LBB0_2141
; %bb.2147:                             ;   in Loop: Header=BB0_1755 Depth=1
	s_or_b32 exec_lo, exec_lo, s12
	s_add_co_i32 s6, s4, 56
	s_mov_b32 s1, s5
	s_bfe_u32 s0, s6, 0x100003
	v_dual_mov_b32 v0, s6 :: v_dual_mov_b32 v1, s6
	s_mulk_i32 s0, 0x20c5
	v_dual_mov_b32 v3, s6 :: v_dual_mov_b32 v14, 0
	s_lshr_b32 s0, s0, 20
	s_mov_b32 s7, s5
	s_mulk_i32 s0, 0x3e8
	s_mov_b32 s12, 0
	s_sub_co_i32 s0, s6, s0
	s_delay_alu instid0(SALU_CYCLE_1) | instskip(NEXT) | instid1(SALU_CYCLE_1)
	s_and_b32 s0, s0, 0xffff
	s_lshl_b32 s0, s0, 12
	s_delay_alu instid0(SALU_CYCLE_1)
	v_add_nc_u64_e32 v[4:5], s[0:1], v[10:11]
	v_add_nc_u64_e32 v[8:9], s[0:1], v[12:13]
	global_store_b128 v[4:5], v[0:3], off th:TH_STORE_NT
.LBB0_2148:                             ;   Parent Loop BB0_1755 Depth=1
                                        ; =>  This Inner Loop Header: Depth=2
	s_wait_loadcnt 0x0
	global_load_b128 v[4:7], v[8:9], off th:TH_LOAD_NT
	v_add_nc_u32_e32 v14, 1, v14
	s_mov_b32 s1, -1
	s_mov_b32 s14, -1
	s_mov_b32 s15, exec_lo
	s_wait_xcnt 0x0
	v_cmpx_eq_u32_e32 0xf4240, v14
	s_cbranch_execz .LBB0_2150
; %bb.2149:                             ;   in Loop: Header=BB0_2148 Depth=2
	s_wait_loadcnt 0x0
	s_wait_storecnt 0x0
	global_load_b32 v0, v2, s[10:11] scope:SCOPE_SYS
	s_wait_loadcnt 0x0
	global_inv scope:SCOPE_SYS
	v_mov_b32_e32 v14, 0
	v_cmp_eq_u32_e64 s0, 0, v0
	s_or_not1_b32 s14, s0, exec_lo
.LBB0_2150:                             ;   in Loop: Header=BB0_2148 Depth=2
	s_wait_xcnt 0x0
	s_or_b32 exec_lo, exec_lo, s15
	s_and_saveexec_b32 s15, s14
	s_cbranch_execz .LBB0_2152
; %bb.2151:                             ;   in Loop: Header=BB0_2148 Depth=2
	s_wait_loadcnt 0x0
	v_cmp_eq_u32_e64 s0, s6, v5
	v_cmp_eq_u32_e64 s1, s6, v7
	s_and_b32 s0, s0, s1
	s_delay_alu instid0(SALU_CYCLE_1)
	s_or_not1_b32 s1, s0, exec_lo
.LBB0_2152:                             ;   in Loop: Header=BB0_2148 Depth=2
	s_or_b32 exec_lo, exec_lo, s15
	s_delay_alu instid0(SALU_CYCLE_1) | instskip(NEXT) | instid1(SALU_CYCLE_1)
	s_and_b32 s0, exec_lo, s1
	s_or_b32 s13, s0, s13
	s_delay_alu instid0(SALU_CYCLE_1)
	s_and_not1_b32 exec_lo, exec_lo, s13
	s_cbranch_execnz .LBB0_2148
; %bb.2153:                             ;   in Loop: Header=BB0_2148 Depth=2
	s_or_b32 exec_lo, exec_lo, s13
	s_wait_loadcnt 0x0
	v_dual_mov_b32 v5, v6 :: v_dual_mov_b32 v14, 0
	s_mov_b32 s13, 0
	s_delay_alu instid0(VALU_DEP_1) | instskip(SKIP_1) | instid1(SALU_CYCLE_1)
	v_cmp_eq_u64_e64 s0, s[6:7], v[4:5]
	s_or_b32 s12, s0, s12
	s_and_not1_b32 exec_lo, exec_lo, s12
	s_cbranch_execnz .LBB0_2148
; %bb.2154:                             ;   in Loop: Header=BB0_1755 Depth=1
	s_or_b32 exec_lo, exec_lo, s12
	s_add_co_i32 s6, s4, 57
	s_mov_b32 s1, s5
	s_bfe_u32 s0, s6, 0x100003
	v_dual_mov_b32 v0, s6 :: v_dual_mov_b32 v1, s6
	s_mulk_i32 s0, 0x20c5
	v_dual_mov_b32 v3, s6 :: v_dual_mov_b32 v14, 0
	s_lshr_b32 s0, s0, 20
	s_mov_b32 s7, s5
	s_mulk_i32 s0, 0x3e8
	s_mov_b32 s12, 0
	s_sub_co_i32 s0, s6, s0
	s_delay_alu instid0(SALU_CYCLE_1) | instskip(NEXT) | instid1(SALU_CYCLE_1)
	s_and_b32 s0, s0, 0xffff
	s_lshl_b32 s0, s0, 12
	s_delay_alu instid0(SALU_CYCLE_1)
	v_add_nc_u64_e32 v[4:5], s[0:1], v[10:11]
	v_add_nc_u64_e32 v[8:9], s[0:1], v[12:13]
	global_store_b128 v[4:5], v[0:3], off th:TH_STORE_NT
.LBB0_2155:                             ;   Parent Loop BB0_1755 Depth=1
                                        ; =>  This Inner Loop Header: Depth=2
	s_wait_loadcnt 0x0
	global_load_b128 v[4:7], v[8:9], off th:TH_LOAD_NT
	v_add_nc_u32_e32 v14, 1, v14
	s_mov_b32 s1, -1
	s_mov_b32 s14, -1
	s_mov_b32 s15, exec_lo
	s_wait_xcnt 0x0
	v_cmpx_eq_u32_e32 0xf4240, v14
	s_cbranch_execz .LBB0_2157
; %bb.2156:                             ;   in Loop: Header=BB0_2155 Depth=2
	s_wait_loadcnt 0x0
	s_wait_storecnt 0x0
	global_load_b32 v0, v2, s[10:11] scope:SCOPE_SYS
	s_wait_loadcnt 0x0
	global_inv scope:SCOPE_SYS
	v_mov_b32_e32 v14, 0
	v_cmp_eq_u32_e64 s0, 0, v0
	s_or_not1_b32 s14, s0, exec_lo
.LBB0_2157:                             ;   in Loop: Header=BB0_2155 Depth=2
	s_wait_xcnt 0x0
	s_or_b32 exec_lo, exec_lo, s15
	s_and_saveexec_b32 s15, s14
	s_cbranch_execz .LBB0_2159
; %bb.2158:                             ;   in Loop: Header=BB0_2155 Depth=2
	s_wait_loadcnt 0x0
	v_cmp_eq_u32_e64 s0, s6, v5
	v_cmp_eq_u32_e64 s1, s6, v7
	s_and_b32 s0, s0, s1
	s_delay_alu instid0(SALU_CYCLE_1)
	s_or_not1_b32 s1, s0, exec_lo
.LBB0_2159:                             ;   in Loop: Header=BB0_2155 Depth=2
	s_or_b32 exec_lo, exec_lo, s15
	s_delay_alu instid0(SALU_CYCLE_1) | instskip(NEXT) | instid1(SALU_CYCLE_1)
	s_and_b32 s0, exec_lo, s1
	s_or_b32 s13, s0, s13
	s_delay_alu instid0(SALU_CYCLE_1)
	s_and_not1_b32 exec_lo, exec_lo, s13
	s_cbranch_execnz .LBB0_2155
; %bb.2160:                             ;   in Loop: Header=BB0_2155 Depth=2
	s_or_b32 exec_lo, exec_lo, s13
	s_wait_loadcnt 0x0
	v_dual_mov_b32 v5, v6 :: v_dual_mov_b32 v14, 0
	s_mov_b32 s13, 0
	s_delay_alu instid0(VALU_DEP_1) | instskip(SKIP_1) | instid1(SALU_CYCLE_1)
	v_cmp_eq_u64_e64 s0, s[6:7], v[4:5]
	s_or_b32 s12, s0, s12
	s_and_not1_b32 exec_lo, exec_lo, s12
	s_cbranch_execnz .LBB0_2155
; %bb.2161:                             ;   in Loop: Header=BB0_1755 Depth=1
	s_or_b32 exec_lo, exec_lo, s12
	s_add_co_i32 s6, s4, 58
	s_mov_b32 s1, s5
	s_bfe_u32 s0, s6, 0x100003
	v_dual_mov_b32 v0, s6 :: v_dual_mov_b32 v1, s6
	s_mulk_i32 s0, 0x20c5
	v_dual_mov_b32 v3, s6 :: v_dual_mov_b32 v14, 0
	s_lshr_b32 s0, s0, 20
	s_mov_b32 s7, s5
	s_mulk_i32 s0, 0x3e8
	s_mov_b32 s12, 0
	s_sub_co_i32 s0, s6, s0
	s_delay_alu instid0(SALU_CYCLE_1) | instskip(NEXT) | instid1(SALU_CYCLE_1)
	s_and_b32 s0, s0, 0xffff
	s_lshl_b32 s0, s0, 12
	s_delay_alu instid0(SALU_CYCLE_1)
	v_add_nc_u64_e32 v[4:5], s[0:1], v[10:11]
	v_add_nc_u64_e32 v[8:9], s[0:1], v[12:13]
	global_store_b128 v[4:5], v[0:3], off th:TH_STORE_NT
.LBB0_2162:                             ;   Parent Loop BB0_1755 Depth=1
                                        ; =>  This Inner Loop Header: Depth=2
	s_wait_loadcnt 0x0
	global_load_b128 v[4:7], v[8:9], off th:TH_LOAD_NT
	v_add_nc_u32_e32 v14, 1, v14
	s_mov_b32 s1, -1
	s_mov_b32 s14, -1
	s_mov_b32 s15, exec_lo
	s_wait_xcnt 0x0
	v_cmpx_eq_u32_e32 0xf4240, v14
	s_cbranch_execz .LBB0_2164
; %bb.2163:                             ;   in Loop: Header=BB0_2162 Depth=2
	s_wait_loadcnt 0x0
	s_wait_storecnt 0x0
	global_load_b32 v0, v2, s[10:11] scope:SCOPE_SYS
	s_wait_loadcnt 0x0
	global_inv scope:SCOPE_SYS
	v_mov_b32_e32 v14, 0
	v_cmp_eq_u32_e64 s0, 0, v0
	s_or_not1_b32 s14, s0, exec_lo
.LBB0_2164:                             ;   in Loop: Header=BB0_2162 Depth=2
	s_wait_xcnt 0x0
	s_or_b32 exec_lo, exec_lo, s15
	s_and_saveexec_b32 s15, s14
	s_cbranch_execz .LBB0_2166
; %bb.2165:                             ;   in Loop: Header=BB0_2162 Depth=2
	s_wait_loadcnt 0x0
	v_cmp_eq_u32_e64 s0, s6, v5
	v_cmp_eq_u32_e64 s1, s6, v7
	s_and_b32 s0, s0, s1
	s_delay_alu instid0(SALU_CYCLE_1)
	s_or_not1_b32 s1, s0, exec_lo
.LBB0_2166:                             ;   in Loop: Header=BB0_2162 Depth=2
	s_or_b32 exec_lo, exec_lo, s15
	s_delay_alu instid0(SALU_CYCLE_1) | instskip(NEXT) | instid1(SALU_CYCLE_1)
	s_and_b32 s0, exec_lo, s1
	s_or_b32 s13, s0, s13
	s_delay_alu instid0(SALU_CYCLE_1)
	s_and_not1_b32 exec_lo, exec_lo, s13
	s_cbranch_execnz .LBB0_2162
; %bb.2167:                             ;   in Loop: Header=BB0_2162 Depth=2
	s_or_b32 exec_lo, exec_lo, s13
	s_wait_loadcnt 0x0
	v_dual_mov_b32 v5, v6 :: v_dual_mov_b32 v14, 0
	s_mov_b32 s13, 0
	s_delay_alu instid0(VALU_DEP_1) | instskip(SKIP_1) | instid1(SALU_CYCLE_1)
	v_cmp_eq_u64_e64 s0, s[6:7], v[4:5]
	s_or_b32 s12, s0, s12
	s_and_not1_b32 exec_lo, exec_lo, s12
	s_cbranch_execnz .LBB0_2162
; %bb.2168:                             ;   in Loop: Header=BB0_1755 Depth=1
	s_or_b32 exec_lo, exec_lo, s12
	s_add_co_i32 s6, s4, 59
	s_mov_b32 s1, s5
	s_bfe_u32 s0, s6, 0x100003
	v_dual_mov_b32 v0, s6 :: v_dual_mov_b32 v1, s6
	s_mulk_i32 s0, 0x20c5
	v_dual_mov_b32 v3, s6 :: v_dual_mov_b32 v14, 0
	s_lshr_b32 s0, s0, 20
	s_mov_b32 s7, s5
	s_mulk_i32 s0, 0x3e8
	s_mov_b32 s12, 0
	s_sub_co_i32 s0, s6, s0
	s_delay_alu instid0(SALU_CYCLE_1) | instskip(NEXT) | instid1(SALU_CYCLE_1)
	s_and_b32 s0, s0, 0xffff
	s_lshl_b32 s0, s0, 12
	s_delay_alu instid0(SALU_CYCLE_1)
	v_add_nc_u64_e32 v[4:5], s[0:1], v[10:11]
	v_add_nc_u64_e32 v[8:9], s[0:1], v[12:13]
	global_store_b128 v[4:5], v[0:3], off th:TH_STORE_NT
.LBB0_2169:                             ;   Parent Loop BB0_1755 Depth=1
                                        ; =>  This Inner Loop Header: Depth=2
	s_wait_loadcnt 0x0
	global_load_b128 v[4:7], v[8:9], off th:TH_LOAD_NT
	v_add_nc_u32_e32 v14, 1, v14
	s_mov_b32 s1, -1
	s_mov_b32 s14, -1
	s_mov_b32 s15, exec_lo
	s_wait_xcnt 0x0
	v_cmpx_eq_u32_e32 0xf4240, v14
	s_cbranch_execz .LBB0_2171
; %bb.2170:                             ;   in Loop: Header=BB0_2169 Depth=2
	s_wait_loadcnt 0x0
	s_wait_storecnt 0x0
	global_load_b32 v0, v2, s[10:11] scope:SCOPE_SYS
	s_wait_loadcnt 0x0
	global_inv scope:SCOPE_SYS
	v_mov_b32_e32 v14, 0
	v_cmp_eq_u32_e64 s0, 0, v0
	s_or_not1_b32 s14, s0, exec_lo
.LBB0_2171:                             ;   in Loop: Header=BB0_2169 Depth=2
	s_wait_xcnt 0x0
	s_or_b32 exec_lo, exec_lo, s15
	s_and_saveexec_b32 s15, s14
	s_cbranch_execz .LBB0_2173
; %bb.2172:                             ;   in Loop: Header=BB0_2169 Depth=2
	s_wait_loadcnt 0x0
	v_cmp_eq_u32_e64 s0, s6, v5
	v_cmp_eq_u32_e64 s1, s6, v7
	s_and_b32 s0, s0, s1
	s_delay_alu instid0(SALU_CYCLE_1)
	s_or_not1_b32 s1, s0, exec_lo
.LBB0_2173:                             ;   in Loop: Header=BB0_2169 Depth=2
	s_or_b32 exec_lo, exec_lo, s15
	s_delay_alu instid0(SALU_CYCLE_1) | instskip(NEXT) | instid1(SALU_CYCLE_1)
	s_and_b32 s0, exec_lo, s1
	s_or_b32 s13, s0, s13
	s_delay_alu instid0(SALU_CYCLE_1)
	s_and_not1_b32 exec_lo, exec_lo, s13
	s_cbranch_execnz .LBB0_2169
; %bb.2174:                             ;   in Loop: Header=BB0_2169 Depth=2
	s_or_b32 exec_lo, exec_lo, s13
	s_wait_loadcnt 0x0
	v_dual_mov_b32 v5, v6 :: v_dual_mov_b32 v14, 0
	s_mov_b32 s13, 0
	s_delay_alu instid0(VALU_DEP_1) | instskip(SKIP_1) | instid1(SALU_CYCLE_1)
	v_cmp_eq_u64_e64 s0, s[6:7], v[4:5]
	s_or_b32 s12, s0, s12
	s_and_not1_b32 exec_lo, exec_lo, s12
	s_cbranch_execnz .LBB0_2169
; %bb.2175:                             ;   in Loop: Header=BB0_1755 Depth=1
	s_or_b32 exec_lo, exec_lo, s12
	s_add_co_i32 s6, s4, 60
	s_mov_b32 s1, s5
	s_bfe_u32 s0, s6, 0x100003
	v_dual_mov_b32 v0, s6 :: v_dual_mov_b32 v1, s6
	s_mulk_i32 s0, 0x20c5
	v_dual_mov_b32 v3, s6 :: v_dual_mov_b32 v14, 0
	s_lshr_b32 s0, s0, 20
	s_mov_b32 s7, s5
	s_mulk_i32 s0, 0x3e8
	s_mov_b32 s12, 0
	s_sub_co_i32 s0, s6, s0
	s_delay_alu instid0(SALU_CYCLE_1) | instskip(NEXT) | instid1(SALU_CYCLE_1)
	s_and_b32 s0, s0, 0xffff
	s_lshl_b32 s0, s0, 12
	s_delay_alu instid0(SALU_CYCLE_1)
	v_add_nc_u64_e32 v[4:5], s[0:1], v[10:11]
	v_add_nc_u64_e32 v[8:9], s[0:1], v[12:13]
	global_store_b128 v[4:5], v[0:3], off th:TH_STORE_NT
.LBB0_2176:                             ;   Parent Loop BB0_1755 Depth=1
                                        ; =>  This Inner Loop Header: Depth=2
	s_wait_loadcnt 0x0
	global_load_b128 v[4:7], v[8:9], off th:TH_LOAD_NT
	v_add_nc_u32_e32 v14, 1, v14
	s_mov_b32 s1, -1
	s_mov_b32 s14, -1
	s_mov_b32 s15, exec_lo
	s_wait_xcnt 0x0
	v_cmpx_eq_u32_e32 0xf4240, v14
	s_cbranch_execz .LBB0_2178
; %bb.2177:                             ;   in Loop: Header=BB0_2176 Depth=2
	s_wait_loadcnt 0x0
	s_wait_storecnt 0x0
	global_load_b32 v0, v2, s[10:11] scope:SCOPE_SYS
	s_wait_loadcnt 0x0
	global_inv scope:SCOPE_SYS
	v_mov_b32_e32 v14, 0
	v_cmp_eq_u32_e64 s0, 0, v0
	s_or_not1_b32 s14, s0, exec_lo
.LBB0_2178:                             ;   in Loop: Header=BB0_2176 Depth=2
	s_wait_xcnt 0x0
	s_or_b32 exec_lo, exec_lo, s15
	s_and_saveexec_b32 s15, s14
	s_cbranch_execz .LBB0_2180
; %bb.2179:                             ;   in Loop: Header=BB0_2176 Depth=2
	s_wait_loadcnt 0x0
	v_cmp_eq_u32_e64 s0, s6, v5
	v_cmp_eq_u32_e64 s1, s6, v7
	s_and_b32 s0, s0, s1
	s_delay_alu instid0(SALU_CYCLE_1)
	s_or_not1_b32 s1, s0, exec_lo
.LBB0_2180:                             ;   in Loop: Header=BB0_2176 Depth=2
	s_or_b32 exec_lo, exec_lo, s15
	s_delay_alu instid0(SALU_CYCLE_1) | instskip(NEXT) | instid1(SALU_CYCLE_1)
	s_and_b32 s0, exec_lo, s1
	s_or_b32 s13, s0, s13
	s_delay_alu instid0(SALU_CYCLE_1)
	s_and_not1_b32 exec_lo, exec_lo, s13
	s_cbranch_execnz .LBB0_2176
; %bb.2181:                             ;   in Loop: Header=BB0_2176 Depth=2
	s_or_b32 exec_lo, exec_lo, s13
	s_wait_loadcnt 0x0
	v_dual_mov_b32 v5, v6 :: v_dual_mov_b32 v14, 0
	s_mov_b32 s13, 0
	s_delay_alu instid0(VALU_DEP_1) | instskip(SKIP_1) | instid1(SALU_CYCLE_1)
	v_cmp_eq_u64_e64 s0, s[6:7], v[4:5]
	s_or_b32 s12, s0, s12
	s_and_not1_b32 exec_lo, exec_lo, s12
	s_cbranch_execnz .LBB0_2176
; %bb.2182:                             ;   in Loop: Header=BB0_1755 Depth=1
	s_or_b32 exec_lo, exec_lo, s12
	s_add_co_i32 s6, s4, 61
	s_mov_b32 s1, s5
	s_bfe_u32 s0, s6, 0x100003
	v_dual_mov_b32 v0, s6 :: v_dual_mov_b32 v1, s6
	s_mulk_i32 s0, 0x20c5
	v_dual_mov_b32 v3, s6 :: v_dual_mov_b32 v14, 0
	s_lshr_b32 s0, s0, 20
	s_mov_b32 s7, s5
	s_mulk_i32 s0, 0x3e8
	s_mov_b32 s12, 0
	s_sub_co_i32 s0, s6, s0
	s_delay_alu instid0(SALU_CYCLE_1) | instskip(NEXT) | instid1(SALU_CYCLE_1)
	s_and_b32 s0, s0, 0xffff
	s_lshl_b32 s0, s0, 12
	s_delay_alu instid0(SALU_CYCLE_1)
	v_add_nc_u64_e32 v[4:5], s[0:1], v[10:11]
	v_add_nc_u64_e32 v[8:9], s[0:1], v[12:13]
	global_store_b128 v[4:5], v[0:3], off th:TH_STORE_NT
.LBB0_2183:                             ;   Parent Loop BB0_1755 Depth=1
                                        ; =>  This Inner Loop Header: Depth=2
	s_wait_loadcnt 0x0
	global_load_b128 v[4:7], v[8:9], off th:TH_LOAD_NT
	v_add_nc_u32_e32 v14, 1, v14
	s_mov_b32 s1, -1
	s_mov_b32 s14, -1
	s_mov_b32 s15, exec_lo
	s_wait_xcnt 0x0
	v_cmpx_eq_u32_e32 0xf4240, v14
	s_cbranch_execz .LBB0_2185
; %bb.2184:                             ;   in Loop: Header=BB0_2183 Depth=2
	s_wait_loadcnt 0x0
	s_wait_storecnt 0x0
	global_load_b32 v0, v2, s[10:11] scope:SCOPE_SYS
	s_wait_loadcnt 0x0
	global_inv scope:SCOPE_SYS
	v_mov_b32_e32 v14, 0
	v_cmp_eq_u32_e64 s0, 0, v0
	s_or_not1_b32 s14, s0, exec_lo
.LBB0_2185:                             ;   in Loop: Header=BB0_2183 Depth=2
	s_wait_xcnt 0x0
	s_or_b32 exec_lo, exec_lo, s15
	s_and_saveexec_b32 s15, s14
	s_cbranch_execz .LBB0_2187
; %bb.2186:                             ;   in Loop: Header=BB0_2183 Depth=2
	s_wait_loadcnt 0x0
	v_cmp_eq_u32_e64 s0, s6, v5
	v_cmp_eq_u32_e64 s1, s6, v7
	s_and_b32 s0, s0, s1
	s_delay_alu instid0(SALU_CYCLE_1)
	s_or_not1_b32 s1, s0, exec_lo
.LBB0_2187:                             ;   in Loop: Header=BB0_2183 Depth=2
	s_or_b32 exec_lo, exec_lo, s15
	s_delay_alu instid0(SALU_CYCLE_1) | instskip(NEXT) | instid1(SALU_CYCLE_1)
	s_and_b32 s0, exec_lo, s1
	s_or_b32 s13, s0, s13
	s_delay_alu instid0(SALU_CYCLE_1)
	s_and_not1_b32 exec_lo, exec_lo, s13
	s_cbranch_execnz .LBB0_2183
; %bb.2188:                             ;   in Loop: Header=BB0_2183 Depth=2
	s_or_b32 exec_lo, exec_lo, s13
	s_wait_loadcnt 0x0
	v_dual_mov_b32 v5, v6 :: v_dual_mov_b32 v14, 0
	s_mov_b32 s13, 0
	s_delay_alu instid0(VALU_DEP_1) | instskip(SKIP_1) | instid1(SALU_CYCLE_1)
	v_cmp_eq_u64_e64 s0, s[6:7], v[4:5]
	s_or_b32 s12, s0, s12
	s_and_not1_b32 exec_lo, exec_lo, s12
	s_cbranch_execnz .LBB0_2183
; %bb.2189:                             ;   in Loop: Header=BB0_1755 Depth=1
	s_or_b32 exec_lo, exec_lo, s12
	s_add_co_i32 s6, s4, 62
	s_mov_b32 s1, s5
	s_bfe_u32 s0, s6, 0x100003
	v_dual_mov_b32 v0, s6 :: v_dual_mov_b32 v1, s6
	s_mulk_i32 s0, 0x20c5
	v_dual_mov_b32 v3, s6 :: v_dual_mov_b32 v14, 0
	s_lshr_b32 s0, s0, 20
	s_mov_b32 s7, s5
	s_mulk_i32 s0, 0x3e8
	s_mov_b32 s12, 0
	s_sub_co_i32 s0, s6, s0
	s_delay_alu instid0(SALU_CYCLE_1) | instskip(NEXT) | instid1(SALU_CYCLE_1)
	s_and_b32 s0, s0, 0xffff
	s_lshl_b32 s0, s0, 12
	s_delay_alu instid0(SALU_CYCLE_1)
	v_add_nc_u64_e32 v[4:5], s[0:1], v[10:11]
	v_add_nc_u64_e32 v[8:9], s[0:1], v[12:13]
	global_store_b128 v[4:5], v[0:3], off th:TH_STORE_NT
.LBB0_2190:                             ;   Parent Loop BB0_1755 Depth=1
                                        ; =>  This Inner Loop Header: Depth=2
	s_wait_loadcnt 0x0
	global_load_b128 v[4:7], v[8:9], off th:TH_LOAD_NT
	v_add_nc_u32_e32 v14, 1, v14
	s_mov_b32 s1, -1
	s_mov_b32 s14, -1
	s_mov_b32 s15, exec_lo
	s_wait_xcnt 0x0
	v_cmpx_eq_u32_e32 0xf4240, v14
	s_cbranch_execz .LBB0_2192
; %bb.2191:                             ;   in Loop: Header=BB0_2190 Depth=2
	s_wait_loadcnt 0x0
	s_wait_storecnt 0x0
	global_load_b32 v0, v2, s[10:11] scope:SCOPE_SYS
	s_wait_loadcnt 0x0
	global_inv scope:SCOPE_SYS
	v_mov_b32_e32 v14, 0
	v_cmp_eq_u32_e64 s0, 0, v0
	s_or_not1_b32 s14, s0, exec_lo
.LBB0_2192:                             ;   in Loop: Header=BB0_2190 Depth=2
	s_wait_xcnt 0x0
	s_or_b32 exec_lo, exec_lo, s15
	s_and_saveexec_b32 s15, s14
	s_cbranch_execz .LBB0_2194
; %bb.2193:                             ;   in Loop: Header=BB0_2190 Depth=2
	s_wait_loadcnt 0x0
	v_cmp_eq_u32_e64 s0, s6, v5
	v_cmp_eq_u32_e64 s1, s6, v7
	s_and_b32 s0, s0, s1
	s_delay_alu instid0(SALU_CYCLE_1)
	s_or_not1_b32 s1, s0, exec_lo
.LBB0_2194:                             ;   in Loop: Header=BB0_2190 Depth=2
	s_or_b32 exec_lo, exec_lo, s15
	s_delay_alu instid0(SALU_CYCLE_1) | instskip(NEXT) | instid1(SALU_CYCLE_1)
	s_and_b32 s0, exec_lo, s1
	s_or_b32 s13, s0, s13
	s_delay_alu instid0(SALU_CYCLE_1)
	s_and_not1_b32 exec_lo, exec_lo, s13
	s_cbranch_execnz .LBB0_2190
; %bb.2195:                             ;   in Loop: Header=BB0_2190 Depth=2
	s_or_b32 exec_lo, exec_lo, s13
	s_wait_loadcnt 0x0
	v_dual_mov_b32 v5, v6 :: v_dual_mov_b32 v14, 0
	s_mov_b32 s13, 0
	s_delay_alu instid0(VALU_DEP_1) | instskip(SKIP_1) | instid1(SALU_CYCLE_1)
	v_cmp_eq_u64_e64 s0, s[6:7], v[4:5]
	s_or_b32 s12, s0, s12
	s_and_not1_b32 exec_lo, exec_lo, s12
	s_cbranch_execnz .LBB0_2190
; %bb.2196:                             ;   in Loop: Header=BB0_1755 Depth=1
	s_or_b32 exec_lo, exec_lo, s12
	s_add_co_i32 s6, s4, 63
	s_mov_b32 s1, s5
	s_bfe_u32 s0, s6, 0x100003
	v_dual_mov_b32 v0, s6 :: v_dual_mov_b32 v1, s6
	s_mulk_i32 s0, 0x20c5
	v_dual_mov_b32 v3, s6 :: v_dual_mov_b32 v14, 0
	s_lshr_b32 s0, s0, 20
	s_mov_b32 s7, s5
	s_mulk_i32 s0, 0x3e8
	s_mov_b32 s12, 0
	s_sub_co_i32 s0, s6, s0
	s_delay_alu instid0(SALU_CYCLE_1) | instskip(NEXT) | instid1(SALU_CYCLE_1)
	s_and_b32 s0, s0, 0xffff
	s_lshl_b32 s0, s0, 12
	s_delay_alu instid0(SALU_CYCLE_1)
	v_add_nc_u64_e32 v[4:5], s[0:1], v[10:11]
	v_add_nc_u64_e32 v[8:9], s[0:1], v[12:13]
	global_store_b128 v[4:5], v[0:3], off th:TH_STORE_NT
.LBB0_2197:                             ;   Parent Loop BB0_1755 Depth=1
                                        ; =>  This Inner Loop Header: Depth=2
	s_wait_loadcnt 0x0
	global_load_b128 v[4:7], v[8:9], off th:TH_LOAD_NT
	v_add_nc_u32_e32 v14, 1, v14
	s_mov_b32 s1, -1
	s_mov_b32 s14, -1
	s_mov_b32 s15, exec_lo
	s_wait_xcnt 0x0
	v_cmpx_eq_u32_e32 0xf4240, v14
	s_cbranch_execz .LBB0_2199
; %bb.2198:                             ;   in Loop: Header=BB0_2197 Depth=2
	s_wait_loadcnt 0x0
	s_wait_storecnt 0x0
	global_load_b32 v0, v2, s[10:11] scope:SCOPE_SYS
	s_wait_loadcnt 0x0
	global_inv scope:SCOPE_SYS
	v_mov_b32_e32 v14, 0
	v_cmp_eq_u32_e64 s0, 0, v0
	s_or_not1_b32 s14, s0, exec_lo
.LBB0_2199:                             ;   in Loop: Header=BB0_2197 Depth=2
	s_wait_xcnt 0x0
	s_or_b32 exec_lo, exec_lo, s15
	s_and_saveexec_b32 s15, s14
	s_cbranch_execz .LBB0_2201
; %bb.2200:                             ;   in Loop: Header=BB0_2197 Depth=2
	s_wait_loadcnt 0x0
	v_cmp_eq_u32_e64 s0, s6, v5
	v_cmp_eq_u32_e64 s1, s6, v7
	s_and_b32 s0, s0, s1
	s_delay_alu instid0(SALU_CYCLE_1)
	s_or_not1_b32 s1, s0, exec_lo
.LBB0_2201:                             ;   in Loop: Header=BB0_2197 Depth=2
	s_or_b32 exec_lo, exec_lo, s15
	s_delay_alu instid0(SALU_CYCLE_1) | instskip(NEXT) | instid1(SALU_CYCLE_1)
	s_and_b32 s0, exec_lo, s1
	s_or_b32 s13, s0, s13
	s_delay_alu instid0(SALU_CYCLE_1)
	s_and_not1_b32 exec_lo, exec_lo, s13
	s_cbranch_execnz .LBB0_2197
; %bb.2202:                             ;   in Loop: Header=BB0_2197 Depth=2
	s_or_b32 exec_lo, exec_lo, s13
	s_wait_loadcnt 0x0
	v_dual_mov_b32 v5, v6 :: v_dual_mov_b32 v14, 0
	s_mov_b32 s13, 0
	s_delay_alu instid0(VALU_DEP_1) | instskip(SKIP_1) | instid1(SALU_CYCLE_1)
	v_cmp_eq_u64_e64 s0, s[6:7], v[4:5]
	s_or_b32 s12, s0, s12
	s_and_not1_b32 exec_lo, exec_lo, s12
	s_cbranch_execnz .LBB0_2197
; %bb.2203:                             ;   in Loop: Header=BB0_1755 Depth=1
	s_or_b32 exec_lo, exec_lo, s12
	s_add_co_i32 s6, s4, 64
	s_mov_b32 s1, s5
	s_bfe_u32 s0, s6, 0x100003
	v_dual_mov_b32 v0, s6 :: v_dual_mov_b32 v1, s6
	s_mulk_i32 s0, 0x20c5
	v_dual_mov_b32 v3, s6 :: v_dual_mov_b32 v14, 0
	s_lshr_b32 s0, s0, 20
	s_mov_b32 s7, s5
	s_mulk_i32 s0, 0x3e8
	s_mov_b32 s12, 0
	s_sub_co_i32 s0, s6, s0
	s_delay_alu instid0(SALU_CYCLE_1) | instskip(NEXT) | instid1(SALU_CYCLE_1)
	s_and_b32 s0, s0, 0xffff
	s_lshl_b32 s0, s0, 12
	s_delay_alu instid0(SALU_CYCLE_1)
	v_add_nc_u64_e32 v[4:5], s[0:1], v[10:11]
	v_add_nc_u64_e32 v[8:9], s[0:1], v[12:13]
	global_store_b128 v[4:5], v[0:3], off th:TH_STORE_NT
.LBB0_2204:                             ;   Parent Loop BB0_1755 Depth=1
                                        ; =>  This Inner Loop Header: Depth=2
	s_wait_loadcnt 0x0
	global_load_b128 v[4:7], v[8:9], off th:TH_LOAD_NT
	v_add_nc_u32_e32 v14, 1, v14
	s_mov_b32 s1, -1
	s_mov_b32 s14, -1
	s_mov_b32 s15, exec_lo
	s_wait_xcnt 0x0
	v_cmpx_eq_u32_e32 0xf4240, v14
	s_cbranch_execz .LBB0_2206
; %bb.2205:                             ;   in Loop: Header=BB0_2204 Depth=2
	s_wait_loadcnt 0x0
	s_wait_storecnt 0x0
	global_load_b32 v0, v2, s[10:11] scope:SCOPE_SYS
	s_wait_loadcnt 0x0
	global_inv scope:SCOPE_SYS
	v_mov_b32_e32 v14, 0
	v_cmp_eq_u32_e64 s0, 0, v0
	s_or_not1_b32 s14, s0, exec_lo
.LBB0_2206:                             ;   in Loop: Header=BB0_2204 Depth=2
	s_wait_xcnt 0x0
	s_or_b32 exec_lo, exec_lo, s15
	s_and_saveexec_b32 s15, s14
	s_cbranch_execz .LBB0_2208
; %bb.2207:                             ;   in Loop: Header=BB0_2204 Depth=2
	s_wait_loadcnt 0x0
	v_cmp_eq_u32_e64 s0, s6, v5
	v_cmp_eq_u32_e64 s1, s6, v7
	s_and_b32 s0, s0, s1
	s_delay_alu instid0(SALU_CYCLE_1)
	s_or_not1_b32 s1, s0, exec_lo
.LBB0_2208:                             ;   in Loop: Header=BB0_2204 Depth=2
	s_or_b32 exec_lo, exec_lo, s15
	s_delay_alu instid0(SALU_CYCLE_1) | instskip(NEXT) | instid1(SALU_CYCLE_1)
	s_and_b32 s0, exec_lo, s1
	s_or_b32 s13, s0, s13
	s_delay_alu instid0(SALU_CYCLE_1)
	s_and_not1_b32 exec_lo, exec_lo, s13
	s_cbranch_execnz .LBB0_2204
; %bb.2209:                             ;   in Loop: Header=BB0_2204 Depth=2
	s_or_b32 exec_lo, exec_lo, s13
	s_wait_loadcnt 0x0
	v_dual_mov_b32 v5, v6 :: v_dual_mov_b32 v14, 0
	s_mov_b32 s13, 0
	s_delay_alu instid0(VALU_DEP_1) | instskip(SKIP_1) | instid1(SALU_CYCLE_1)
	v_cmp_eq_u64_e64 s0, s[6:7], v[4:5]
	s_or_b32 s12, s0, s12
	s_and_not1_b32 exec_lo, exec_lo, s12
	s_cbranch_execnz .LBB0_2204
; %bb.2210:                             ;   in Loop: Header=BB0_1755 Depth=1
	s_or_b32 exec_lo, exec_lo, s12
	s_add_co_i32 s6, s4, 0x41
	s_mov_b32 s1, s5
	s_bfe_u32 s0, s6, 0x100003
	v_dual_mov_b32 v0, s6 :: v_dual_mov_b32 v1, s6
	s_mulk_i32 s0, 0x20c5
	v_dual_mov_b32 v3, s6 :: v_dual_mov_b32 v14, 0
	s_lshr_b32 s0, s0, 20
	s_mov_b32 s7, s5
	s_mulk_i32 s0, 0x3e8
	s_mov_b32 s12, 0
	s_sub_co_i32 s0, s6, s0
	s_delay_alu instid0(SALU_CYCLE_1) | instskip(NEXT) | instid1(SALU_CYCLE_1)
	s_and_b32 s0, s0, 0xffff
	s_lshl_b32 s0, s0, 12
	s_delay_alu instid0(SALU_CYCLE_1)
	v_add_nc_u64_e32 v[4:5], s[0:1], v[10:11]
	v_add_nc_u64_e32 v[8:9], s[0:1], v[12:13]
	global_store_b128 v[4:5], v[0:3], off th:TH_STORE_NT
.LBB0_2211:                             ;   Parent Loop BB0_1755 Depth=1
                                        ; =>  This Inner Loop Header: Depth=2
	s_wait_loadcnt 0x0
	global_load_b128 v[4:7], v[8:9], off th:TH_LOAD_NT
	v_add_nc_u32_e32 v14, 1, v14
	s_mov_b32 s1, -1
	s_mov_b32 s14, -1
	s_mov_b32 s15, exec_lo
	s_wait_xcnt 0x0
	v_cmpx_eq_u32_e32 0xf4240, v14
	s_cbranch_execz .LBB0_2213
; %bb.2212:                             ;   in Loop: Header=BB0_2211 Depth=2
	s_wait_loadcnt 0x0
	s_wait_storecnt 0x0
	global_load_b32 v0, v2, s[10:11] scope:SCOPE_SYS
	s_wait_loadcnt 0x0
	global_inv scope:SCOPE_SYS
	v_mov_b32_e32 v14, 0
	v_cmp_eq_u32_e64 s0, 0, v0
	s_or_not1_b32 s14, s0, exec_lo
.LBB0_2213:                             ;   in Loop: Header=BB0_2211 Depth=2
	s_wait_xcnt 0x0
	s_or_b32 exec_lo, exec_lo, s15
	s_and_saveexec_b32 s15, s14
	s_cbranch_execz .LBB0_2215
; %bb.2214:                             ;   in Loop: Header=BB0_2211 Depth=2
	s_wait_loadcnt 0x0
	v_cmp_eq_u32_e64 s0, s6, v5
	v_cmp_eq_u32_e64 s1, s6, v7
	s_and_b32 s0, s0, s1
	s_delay_alu instid0(SALU_CYCLE_1)
	s_or_not1_b32 s1, s0, exec_lo
.LBB0_2215:                             ;   in Loop: Header=BB0_2211 Depth=2
	s_or_b32 exec_lo, exec_lo, s15
	s_delay_alu instid0(SALU_CYCLE_1) | instskip(NEXT) | instid1(SALU_CYCLE_1)
	s_and_b32 s0, exec_lo, s1
	s_or_b32 s13, s0, s13
	s_delay_alu instid0(SALU_CYCLE_1)
	s_and_not1_b32 exec_lo, exec_lo, s13
	s_cbranch_execnz .LBB0_2211
; %bb.2216:                             ;   in Loop: Header=BB0_2211 Depth=2
	s_or_b32 exec_lo, exec_lo, s13
	s_wait_loadcnt 0x0
	v_dual_mov_b32 v5, v6 :: v_dual_mov_b32 v14, 0
	s_mov_b32 s13, 0
	s_delay_alu instid0(VALU_DEP_1) | instskip(SKIP_1) | instid1(SALU_CYCLE_1)
	v_cmp_eq_u64_e64 s0, s[6:7], v[4:5]
	s_or_b32 s12, s0, s12
	s_and_not1_b32 exec_lo, exec_lo, s12
	s_cbranch_execnz .LBB0_2211
; %bb.2217:                             ;   in Loop: Header=BB0_1755 Depth=1
	s_or_b32 exec_lo, exec_lo, s12
	s_add_co_i32 s6, s4, 0x42
	s_mov_b32 s1, s5
	s_bfe_u32 s0, s6, 0x100003
	v_dual_mov_b32 v0, s6 :: v_dual_mov_b32 v1, s6
	s_mulk_i32 s0, 0x20c5
	v_dual_mov_b32 v3, s6 :: v_dual_mov_b32 v14, 0
	s_lshr_b32 s0, s0, 20
	s_mov_b32 s7, s5
	s_mulk_i32 s0, 0x3e8
	s_mov_b32 s12, 0
	s_sub_co_i32 s0, s6, s0
	s_delay_alu instid0(SALU_CYCLE_1) | instskip(NEXT) | instid1(SALU_CYCLE_1)
	s_and_b32 s0, s0, 0xffff
	s_lshl_b32 s0, s0, 12
	s_delay_alu instid0(SALU_CYCLE_1)
	v_add_nc_u64_e32 v[4:5], s[0:1], v[10:11]
	v_add_nc_u64_e32 v[8:9], s[0:1], v[12:13]
	global_store_b128 v[4:5], v[0:3], off th:TH_STORE_NT
.LBB0_2218:                             ;   Parent Loop BB0_1755 Depth=1
                                        ; =>  This Inner Loop Header: Depth=2
	s_wait_loadcnt 0x0
	global_load_b128 v[4:7], v[8:9], off th:TH_LOAD_NT
	v_add_nc_u32_e32 v14, 1, v14
	s_mov_b32 s1, -1
	s_mov_b32 s14, -1
	s_mov_b32 s15, exec_lo
	s_wait_xcnt 0x0
	v_cmpx_eq_u32_e32 0xf4240, v14
	s_cbranch_execz .LBB0_2220
; %bb.2219:                             ;   in Loop: Header=BB0_2218 Depth=2
	s_wait_loadcnt 0x0
	s_wait_storecnt 0x0
	global_load_b32 v0, v2, s[10:11] scope:SCOPE_SYS
	s_wait_loadcnt 0x0
	global_inv scope:SCOPE_SYS
	v_mov_b32_e32 v14, 0
	v_cmp_eq_u32_e64 s0, 0, v0
	s_or_not1_b32 s14, s0, exec_lo
.LBB0_2220:                             ;   in Loop: Header=BB0_2218 Depth=2
	s_wait_xcnt 0x0
	s_or_b32 exec_lo, exec_lo, s15
	s_and_saveexec_b32 s15, s14
	s_cbranch_execz .LBB0_2222
; %bb.2221:                             ;   in Loop: Header=BB0_2218 Depth=2
	s_wait_loadcnt 0x0
	v_cmp_eq_u32_e64 s0, s6, v5
	v_cmp_eq_u32_e64 s1, s6, v7
	s_and_b32 s0, s0, s1
	s_delay_alu instid0(SALU_CYCLE_1)
	s_or_not1_b32 s1, s0, exec_lo
.LBB0_2222:                             ;   in Loop: Header=BB0_2218 Depth=2
	s_or_b32 exec_lo, exec_lo, s15
	s_delay_alu instid0(SALU_CYCLE_1) | instskip(NEXT) | instid1(SALU_CYCLE_1)
	s_and_b32 s0, exec_lo, s1
	s_or_b32 s13, s0, s13
	s_delay_alu instid0(SALU_CYCLE_1)
	s_and_not1_b32 exec_lo, exec_lo, s13
	s_cbranch_execnz .LBB0_2218
; %bb.2223:                             ;   in Loop: Header=BB0_2218 Depth=2
	s_or_b32 exec_lo, exec_lo, s13
	s_wait_loadcnt 0x0
	v_dual_mov_b32 v5, v6 :: v_dual_mov_b32 v14, 0
	s_mov_b32 s13, 0
	s_delay_alu instid0(VALU_DEP_1) | instskip(SKIP_1) | instid1(SALU_CYCLE_1)
	v_cmp_eq_u64_e64 s0, s[6:7], v[4:5]
	s_or_b32 s12, s0, s12
	s_and_not1_b32 exec_lo, exec_lo, s12
	s_cbranch_execnz .LBB0_2218
; %bb.2224:                             ;   in Loop: Header=BB0_1755 Depth=1
	s_or_b32 exec_lo, exec_lo, s12
	s_add_co_i32 s6, s4, 0x43
	s_mov_b32 s1, s5
	s_bfe_u32 s0, s6, 0x100003
	v_dual_mov_b32 v0, s6 :: v_dual_mov_b32 v1, s6
	s_mulk_i32 s0, 0x20c5
	v_dual_mov_b32 v3, s6 :: v_dual_mov_b32 v14, 0
	s_lshr_b32 s0, s0, 20
	s_mov_b32 s7, s5
	s_mulk_i32 s0, 0x3e8
	s_mov_b32 s12, 0
	s_sub_co_i32 s0, s6, s0
	s_delay_alu instid0(SALU_CYCLE_1) | instskip(NEXT) | instid1(SALU_CYCLE_1)
	s_and_b32 s0, s0, 0xffff
	s_lshl_b32 s0, s0, 12
	s_delay_alu instid0(SALU_CYCLE_1)
	v_add_nc_u64_e32 v[4:5], s[0:1], v[10:11]
	v_add_nc_u64_e32 v[8:9], s[0:1], v[12:13]
	global_store_b128 v[4:5], v[0:3], off th:TH_STORE_NT
.LBB0_2225:                             ;   Parent Loop BB0_1755 Depth=1
                                        ; =>  This Inner Loop Header: Depth=2
	s_wait_loadcnt 0x0
	global_load_b128 v[4:7], v[8:9], off th:TH_LOAD_NT
	v_add_nc_u32_e32 v14, 1, v14
	s_mov_b32 s1, -1
	s_mov_b32 s14, -1
	s_mov_b32 s15, exec_lo
	s_wait_xcnt 0x0
	v_cmpx_eq_u32_e32 0xf4240, v14
	s_cbranch_execz .LBB0_2227
; %bb.2226:                             ;   in Loop: Header=BB0_2225 Depth=2
	s_wait_loadcnt 0x0
	s_wait_storecnt 0x0
	global_load_b32 v0, v2, s[10:11] scope:SCOPE_SYS
	s_wait_loadcnt 0x0
	global_inv scope:SCOPE_SYS
	v_mov_b32_e32 v14, 0
	v_cmp_eq_u32_e64 s0, 0, v0
	s_or_not1_b32 s14, s0, exec_lo
.LBB0_2227:                             ;   in Loop: Header=BB0_2225 Depth=2
	s_wait_xcnt 0x0
	s_or_b32 exec_lo, exec_lo, s15
	s_and_saveexec_b32 s15, s14
	s_cbranch_execz .LBB0_2229
; %bb.2228:                             ;   in Loop: Header=BB0_2225 Depth=2
	s_wait_loadcnt 0x0
	v_cmp_eq_u32_e64 s0, s6, v5
	v_cmp_eq_u32_e64 s1, s6, v7
	s_and_b32 s0, s0, s1
	s_delay_alu instid0(SALU_CYCLE_1)
	s_or_not1_b32 s1, s0, exec_lo
.LBB0_2229:                             ;   in Loop: Header=BB0_2225 Depth=2
	s_or_b32 exec_lo, exec_lo, s15
	s_delay_alu instid0(SALU_CYCLE_1) | instskip(NEXT) | instid1(SALU_CYCLE_1)
	s_and_b32 s0, exec_lo, s1
	s_or_b32 s13, s0, s13
	s_delay_alu instid0(SALU_CYCLE_1)
	s_and_not1_b32 exec_lo, exec_lo, s13
	s_cbranch_execnz .LBB0_2225
; %bb.2230:                             ;   in Loop: Header=BB0_2225 Depth=2
	s_or_b32 exec_lo, exec_lo, s13
	s_wait_loadcnt 0x0
	v_dual_mov_b32 v5, v6 :: v_dual_mov_b32 v14, 0
	s_mov_b32 s13, 0
	s_delay_alu instid0(VALU_DEP_1) | instskip(SKIP_1) | instid1(SALU_CYCLE_1)
	v_cmp_eq_u64_e64 s0, s[6:7], v[4:5]
	s_or_b32 s12, s0, s12
	s_and_not1_b32 exec_lo, exec_lo, s12
	s_cbranch_execnz .LBB0_2225
; %bb.2231:                             ;   in Loop: Header=BB0_1755 Depth=1
	s_or_b32 exec_lo, exec_lo, s12
	s_add_co_i32 s6, s4, 0x44
	s_mov_b32 s1, s5
	s_bfe_u32 s0, s6, 0x100003
	v_dual_mov_b32 v0, s6 :: v_dual_mov_b32 v1, s6
	s_mulk_i32 s0, 0x20c5
	v_dual_mov_b32 v3, s6 :: v_dual_mov_b32 v14, 0
	s_lshr_b32 s0, s0, 20
	s_mov_b32 s7, s5
	s_mulk_i32 s0, 0x3e8
	s_mov_b32 s12, 0
	s_sub_co_i32 s0, s6, s0
	s_delay_alu instid0(SALU_CYCLE_1) | instskip(NEXT) | instid1(SALU_CYCLE_1)
	s_and_b32 s0, s0, 0xffff
	s_lshl_b32 s0, s0, 12
	s_delay_alu instid0(SALU_CYCLE_1)
	v_add_nc_u64_e32 v[4:5], s[0:1], v[10:11]
	v_add_nc_u64_e32 v[8:9], s[0:1], v[12:13]
	global_store_b128 v[4:5], v[0:3], off th:TH_STORE_NT
.LBB0_2232:                             ;   Parent Loop BB0_1755 Depth=1
                                        ; =>  This Inner Loop Header: Depth=2
	s_wait_loadcnt 0x0
	global_load_b128 v[4:7], v[8:9], off th:TH_LOAD_NT
	v_add_nc_u32_e32 v14, 1, v14
	s_mov_b32 s1, -1
	s_mov_b32 s14, -1
	s_mov_b32 s15, exec_lo
	s_wait_xcnt 0x0
	v_cmpx_eq_u32_e32 0xf4240, v14
	s_cbranch_execz .LBB0_2234
; %bb.2233:                             ;   in Loop: Header=BB0_2232 Depth=2
	s_wait_loadcnt 0x0
	s_wait_storecnt 0x0
	global_load_b32 v0, v2, s[10:11] scope:SCOPE_SYS
	s_wait_loadcnt 0x0
	global_inv scope:SCOPE_SYS
	v_mov_b32_e32 v14, 0
	v_cmp_eq_u32_e64 s0, 0, v0
	s_or_not1_b32 s14, s0, exec_lo
.LBB0_2234:                             ;   in Loop: Header=BB0_2232 Depth=2
	s_wait_xcnt 0x0
	s_or_b32 exec_lo, exec_lo, s15
	s_and_saveexec_b32 s15, s14
	s_cbranch_execz .LBB0_2236
; %bb.2235:                             ;   in Loop: Header=BB0_2232 Depth=2
	s_wait_loadcnt 0x0
	v_cmp_eq_u32_e64 s0, s6, v5
	v_cmp_eq_u32_e64 s1, s6, v7
	s_and_b32 s0, s0, s1
	s_delay_alu instid0(SALU_CYCLE_1)
	s_or_not1_b32 s1, s0, exec_lo
.LBB0_2236:                             ;   in Loop: Header=BB0_2232 Depth=2
	s_or_b32 exec_lo, exec_lo, s15
	s_delay_alu instid0(SALU_CYCLE_1) | instskip(NEXT) | instid1(SALU_CYCLE_1)
	s_and_b32 s0, exec_lo, s1
	s_or_b32 s13, s0, s13
	s_delay_alu instid0(SALU_CYCLE_1)
	s_and_not1_b32 exec_lo, exec_lo, s13
	s_cbranch_execnz .LBB0_2232
; %bb.2237:                             ;   in Loop: Header=BB0_2232 Depth=2
	s_or_b32 exec_lo, exec_lo, s13
	s_wait_loadcnt 0x0
	v_dual_mov_b32 v5, v6 :: v_dual_mov_b32 v14, 0
	s_mov_b32 s13, 0
	s_delay_alu instid0(VALU_DEP_1) | instskip(SKIP_1) | instid1(SALU_CYCLE_1)
	v_cmp_eq_u64_e64 s0, s[6:7], v[4:5]
	s_or_b32 s12, s0, s12
	s_and_not1_b32 exec_lo, exec_lo, s12
	s_cbranch_execnz .LBB0_2232
; %bb.2238:                             ;   in Loop: Header=BB0_1755 Depth=1
	s_or_b32 exec_lo, exec_lo, s12
	s_add_co_i32 s6, s4, 0x45
	s_mov_b32 s1, s5
	s_bfe_u32 s0, s6, 0x100003
	v_dual_mov_b32 v0, s6 :: v_dual_mov_b32 v1, s6
	s_mulk_i32 s0, 0x20c5
	v_dual_mov_b32 v3, s6 :: v_dual_mov_b32 v14, 0
	s_lshr_b32 s0, s0, 20
	s_mov_b32 s7, s5
	s_mulk_i32 s0, 0x3e8
	s_mov_b32 s12, 0
	s_sub_co_i32 s0, s6, s0
	s_delay_alu instid0(SALU_CYCLE_1) | instskip(NEXT) | instid1(SALU_CYCLE_1)
	s_and_b32 s0, s0, 0xffff
	s_lshl_b32 s0, s0, 12
	s_delay_alu instid0(SALU_CYCLE_1)
	v_add_nc_u64_e32 v[4:5], s[0:1], v[10:11]
	v_add_nc_u64_e32 v[8:9], s[0:1], v[12:13]
	global_store_b128 v[4:5], v[0:3], off th:TH_STORE_NT
.LBB0_2239:                             ;   Parent Loop BB0_1755 Depth=1
                                        ; =>  This Inner Loop Header: Depth=2
	s_wait_loadcnt 0x0
	global_load_b128 v[4:7], v[8:9], off th:TH_LOAD_NT
	v_add_nc_u32_e32 v14, 1, v14
	s_mov_b32 s1, -1
	s_mov_b32 s14, -1
	s_mov_b32 s15, exec_lo
	s_wait_xcnt 0x0
	v_cmpx_eq_u32_e32 0xf4240, v14
	s_cbranch_execz .LBB0_2241
; %bb.2240:                             ;   in Loop: Header=BB0_2239 Depth=2
	s_wait_loadcnt 0x0
	s_wait_storecnt 0x0
	global_load_b32 v0, v2, s[10:11] scope:SCOPE_SYS
	s_wait_loadcnt 0x0
	global_inv scope:SCOPE_SYS
	v_mov_b32_e32 v14, 0
	v_cmp_eq_u32_e64 s0, 0, v0
	s_or_not1_b32 s14, s0, exec_lo
.LBB0_2241:                             ;   in Loop: Header=BB0_2239 Depth=2
	s_wait_xcnt 0x0
	s_or_b32 exec_lo, exec_lo, s15
	s_and_saveexec_b32 s15, s14
	s_cbranch_execz .LBB0_2243
; %bb.2242:                             ;   in Loop: Header=BB0_2239 Depth=2
	s_wait_loadcnt 0x0
	v_cmp_eq_u32_e64 s0, s6, v5
	v_cmp_eq_u32_e64 s1, s6, v7
	s_and_b32 s0, s0, s1
	s_delay_alu instid0(SALU_CYCLE_1)
	s_or_not1_b32 s1, s0, exec_lo
.LBB0_2243:                             ;   in Loop: Header=BB0_2239 Depth=2
	s_or_b32 exec_lo, exec_lo, s15
	s_delay_alu instid0(SALU_CYCLE_1) | instskip(NEXT) | instid1(SALU_CYCLE_1)
	s_and_b32 s0, exec_lo, s1
	s_or_b32 s13, s0, s13
	s_delay_alu instid0(SALU_CYCLE_1)
	s_and_not1_b32 exec_lo, exec_lo, s13
	s_cbranch_execnz .LBB0_2239
; %bb.2244:                             ;   in Loop: Header=BB0_2239 Depth=2
	s_or_b32 exec_lo, exec_lo, s13
	s_wait_loadcnt 0x0
	v_dual_mov_b32 v5, v6 :: v_dual_mov_b32 v14, 0
	s_mov_b32 s13, 0
	s_delay_alu instid0(VALU_DEP_1) | instskip(SKIP_1) | instid1(SALU_CYCLE_1)
	v_cmp_eq_u64_e64 s0, s[6:7], v[4:5]
	s_or_b32 s12, s0, s12
	s_and_not1_b32 exec_lo, exec_lo, s12
	s_cbranch_execnz .LBB0_2239
; %bb.2245:                             ;   in Loop: Header=BB0_1755 Depth=1
	s_or_b32 exec_lo, exec_lo, s12
	s_add_co_i32 s6, s4, 0x46
	s_mov_b32 s1, s5
	s_bfe_u32 s0, s6, 0x100003
	v_dual_mov_b32 v0, s6 :: v_dual_mov_b32 v1, s6
	s_mulk_i32 s0, 0x20c5
	v_dual_mov_b32 v3, s6 :: v_dual_mov_b32 v14, 0
	s_lshr_b32 s0, s0, 20
	s_mov_b32 s7, s5
	s_mulk_i32 s0, 0x3e8
	s_mov_b32 s12, 0
	s_sub_co_i32 s0, s6, s0
	s_delay_alu instid0(SALU_CYCLE_1) | instskip(NEXT) | instid1(SALU_CYCLE_1)
	s_and_b32 s0, s0, 0xffff
	s_lshl_b32 s0, s0, 12
	s_delay_alu instid0(SALU_CYCLE_1)
	v_add_nc_u64_e32 v[4:5], s[0:1], v[10:11]
	v_add_nc_u64_e32 v[8:9], s[0:1], v[12:13]
	global_store_b128 v[4:5], v[0:3], off th:TH_STORE_NT
.LBB0_2246:                             ;   Parent Loop BB0_1755 Depth=1
                                        ; =>  This Inner Loop Header: Depth=2
	s_wait_loadcnt 0x0
	global_load_b128 v[4:7], v[8:9], off th:TH_LOAD_NT
	v_add_nc_u32_e32 v14, 1, v14
	s_mov_b32 s1, -1
	s_mov_b32 s14, -1
	s_mov_b32 s15, exec_lo
	s_wait_xcnt 0x0
	v_cmpx_eq_u32_e32 0xf4240, v14
	s_cbranch_execz .LBB0_2248
; %bb.2247:                             ;   in Loop: Header=BB0_2246 Depth=2
	s_wait_loadcnt 0x0
	s_wait_storecnt 0x0
	global_load_b32 v0, v2, s[10:11] scope:SCOPE_SYS
	s_wait_loadcnt 0x0
	global_inv scope:SCOPE_SYS
	v_mov_b32_e32 v14, 0
	v_cmp_eq_u32_e64 s0, 0, v0
	s_or_not1_b32 s14, s0, exec_lo
.LBB0_2248:                             ;   in Loop: Header=BB0_2246 Depth=2
	s_wait_xcnt 0x0
	s_or_b32 exec_lo, exec_lo, s15
	s_and_saveexec_b32 s15, s14
	s_cbranch_execz .LBB0_2250
; %bb.2249:                             ;   in Loop: Header=BB0_2246 Depth=2
	s_wait_loadcnt 0x0
	v_cmp_eq_u32_e64 s0, s6, v5
	v_cmp_eq_u32_e64 s1, s6, v7
	s_and_b32 s0, s0, s1
	s_delay_alu instid0(SALU_CYCLE_1)
	s_or_not1_b32 s1, s0, exec_lo
.LBB0_2250:                             ;   in Loop: Header=BB0_2246 Depth=2
	s_or_b32 exec_lo, exec_lo, s15
	s_delay_alu instid0(SALU_CYCLE_1) | instskip(NEXT) | instid1(SALU_CYCLE_1)
	s_and_b32 s0, exec_lo, s1
	s_or_b32 s13, s0, s13
	s_delay_alu instid0(SALU_CYCLE_1)
	s_and_not1_b32 exec_lo, exec_lo, s13
	s_cbranch_execnz .LBB0_2246
; %bb.2251:                             ;   in Loop: Header=BB0_2246 Depth=2
	s_or_b32 exec_lo, exec_lo, s13
	s_wait_loadcnt 0x0
	v_dual_mov_b32 v5, v6 :: v_dual_mov_b32 v14, 0
	s_mov_b32 s13, 0
	s_delay_alu instid0(VALU_DEP_1) | instskip(SKIP_1) | instid1(SALU_CYCLE_1)
	v_cmp_eq_u64_e64 s0, s[6:7], v[4:5]
	s_or_b32 s12, s0, s12
	s_and_not1_b32 exec_lo, exec_lo, s12
	s_cbranch_execnz .LBB0_2246
; %bb.2252:                             ;   in Loop: Header=BB0_1755 Depth=1
	s_or_b32 exec_lo, exec_lo, s12
	s_add_co_i32 s6, s4, 0x47
	s_mov_b32 s1, s5
	s_bfe_u32 s0, s6, 0x100003
	v_dual_mov_b32 v0, s6 :: v_dual_mov_b32 v1, s6
	s_mulk_i32 s0, 0x20c5
	v_dual_mov_b32 v3, s6 :: v_dual_mov_b32 v14, 0
	s_lshr_b32 s0, s0, 20
	s_mov_b32 s7, s5
	s_mulk_i32 s0, 0x3e8
	s_mov_b32 s12, 0
	s_sub_co_i32 s0, s6, s0
	s_delay_alu instid0(SALU_CYCLE_1) | instskip(NEXT) | instid1(SALU_CYCLE_1)
	s_and_b32 s0, s0, 0xffff
	s_lshl_b32 s0, s0, 12
	s_delay_alu instid0(SALU_CYCLE_1)
	v_add_nc_u64_e32 v[4:5], s[0:1], v[10:11]
	v_add_nc_u64_e32 v[8:9], s[0:1], v[12:13]
	global_store_b128 v[4:5], v[0:3], off th:TH_STORE_NT
.LBB0_2253:                             ;   Parent Loop BB0_1755 Depth=1
                                        ; =>  This Inner Loop Header: Depth=2
	s_wait_loadcnt 0x0
	global_load_b128 v[4:7], v[8:9], off th:TH_LOAD_NT
	v_add_nc_u32_e32 v14, 1, v14
	s_mov_b32 s1, -1
	s_mov_b32 s14, -1
	s_mov_b32 s15, exec_lo
	s_wait_xcnt 0x0
	v_cmpx_eq_u32_e32 0xf4240, v14
	s_cbranch_execz .LBB0_2255
; %bb.2254:                             ;   in Loop: Header=BB0_2253 Depth=2
	s_wait_loadcnt 0x0
	s_wait_storecnt 0x0
	global_load_b32 v0, v2, s[10:11] scope:SCOPE_SYS
	s_wait_loadcnt 0x0
	global_inv scope:SCOPE_SYS
	v_mov_b32_e32 v14, 0
	v_cmp_eq_u32_e64 s0, 0, v0
	s_or_not1_b32 s14, s0, exec_lo
.LBB0_2255:                             ;   in Loop: Header=BB0_2253 Depth=2
	s_wait_xcnt 0x0
	s_or_b32 exec_lo, exec_lo, s15
	s_and_saveexec_b32 s15, s14
	s_cbranch_execz .LBB0_2257
; %bb.2256:                             ;   in Loop: Header=BB0_2253 Depth=2
	s_wait_loadcnt 0x0
	v_cmp_eq_u32_e64 s0, s6, v5
	v_cmp_eq_u32_e64 s1, s6, v7
	s_and_b32 s0, s0, s1
	s_delay_alu instid0(SALU_CYCLE_1)
	s_or_not1_b32 s1, s0, exec_lo
.LBB0_2257:                             ;   in Loop: Header=BB0_2253 Depth=2
	s_or_b32 exec_lo, exec_lo, s15
	s_delay_alu instid0(SALU_CYCLE_1) | instskip(NEXT) | instid1(SALU_CYCLE_1)
	s_and_b32 s0, exec_lo, s1
	s_or_b32 s13, s0, s13
	s_delay_alu instid0(SALU_CYCLE_1)
	s_and_not1_b32 exec_lo, exec_lo, s13
	s_cbranch_execnz .LBB0_2253
; %bb.2258:                             ;   in Loop: Header=BB0_2253 Depth=2
	s_or_b32 exec_lo, exec_lo, s13
	s_wait_loadcnt 0x0
	v_dual_mov_b32 v5, v6 :: v_dual_mov_b32 v14, 0
	s_mov_b32 s13, 0
	s_delay_alu instid0(VALU_DEP_1) | instskip(SKIP_1) | instid1(SALU_CYCLE_1)
	v_cmp_eq_u64_e64 s0, s[6:7], v[4:5]
	s_or_b32 s12, s0, s12
	s_and_not1_b32 exec_lo, exec_lo, s12
	s_cbranch_execnz .LBB0_2253
; %bb.2259:                             ;   in Loop: Header=BB0_1755 Depth=1
	s_or_b32 exec_lo, exec_lo, s12
	s_add_co_i32 s6, s4, 0x48
	s_mov_b32 s1, s5
	s_bfe_u32 s0, s6, 0x100003
	v_dual_mov_b32 v0, s6 :: v_dual_mov_b32 v1, s6
	s_mulk_i32 s0, 0x20c5
	v_dual_mov_b32 v3, s6 :: v_dual_mov_b32 v14, 0
	s_lshr_b32 s0, s0, 20
	s_mov_b32 s7, s5
	s_mulk_i32 s0, 0x3e8
	s_mov_b32 s12, 0
	s_sub_co_i32 s0, s6, s0
	s_delay_alu instid0(SALU_CYCLE_1) | instskip(NEXT) | instid1(SALU_CYCLE_1)
	s_and_b32 s0, s0, 0xffff
	s_lshl_b32 s0, s0, 12
	s_delay_alu instid0(SALU_CYCLE_1)
	v_add_nc_u64_e32 v[4:5], s[0:1], v[10:11]
	v_add_nc_u64_e32 v[8:9], s[0:1], v[12:13]
	global_store_b128 v[4:5], v[0:3], off th:TH_STORE_NT
.LBB0_2260:                             ;   Parent Loop BB0_1755 Depth=1
                                        ; =>  This Inner Loop Header: Depth=2
	s_wait_loadcnt 0x0
	global_load_b128 v[4:7], v[8:9], off th:TH_LOAD_NT
	v_add_nc_u32_e32 v14, 1, v14
	s_mov_b32 s1, -1
	s_mov_b32 s14, -1
	s_mov_b32 s15, exec_lo
	s_wait_xcnt 0x0
	v_cmpx_eq_u32_e32 0xf4240, v14
	s_cbranch_execz .LBB0_2262
; %bb.2261:                             ;   in Loop: Header=BB0_2260 Depth=2
	s_wait_loadcnt 0x0
	s_wait_storecnt 0x0
	global_load_b32 v0, v2, s[10:11] scope:SCOPE_SYS
	s_wait_loadcnt 0x0
	global_inv scope:SCOPE_SYS
	v_mov_b32_e32 v14, 0
	v_cmp_eq_u32_e64 s0, 0, v0
	s_or_not1_b32 s14, s0, exec_lo
.LBB0_2262:                             ;   in Loop: Header=BB0_2260 Depth=2
	s_wait_xcnt 0x0
	s_or_b32 exec_lo, exec_lo, s15
	s_and_saveexec_b32 s15, s14
	s_cbranch_execz .LBB0_2264
; %bb.2263:                             ;   in Loop: Header=BB0_2260 Depth=2
	s_wait_loadcnt 0x0
	v_cmp_eq_u32_e64 s0, s6, v5
	v_cmp_eq_u32_e64 s1, s6, v7
	s_and_b32 s0, s0, s1
	s_delay_alu instid0(SALU_CYCLE_1)
	s_or_not1_b32 s1, s0, exec_lo
.LBB0_2264:                             ;   in Loop: Header=BB0_2260 Depth=2
	s_or_b32 exec_lo, exec_lo, s15
	s_delay_alu instid0(SALU_CYCLE_1) | instskip(NEXT) | instid1(SALU_CYCLE_1)
	s_and_b32 s0, exec_lo, s1
	s_or_b32 s13, s0, s13
	s_delay_alu instid0(SALU_CYCLE_1)
	s_and_not1_b32 exec_lo, exec_lo, s13
	s_cbranch_execnz .LBB0_2260
; %bb.2265:                             ;   in Loop: Header=BB0_2260 Depth=2
	s_or_b32 exec_lo, exec_lo, s13
	s_wait_loadcnt 0x0
	v_dual_mov_b32 v5, v6 :: v_dual_mov_b32 v14, 0
	s_mov_b32 s13, 0
	s_delay_alu instid0(VALU_DEP_1) | instskip(SKIP_1) | instid1(SALU_CYCLE_1)
	v_cmp_eq_u64_e64 s0, s[6:7], v[4:5]
	s_or_b32 s12, s0, s12
	s_and_not1_b32 exec_lo, exec_lo, s12
	s_cbranch_execnz .LBB0_2260
; %bb.2266:                             ;   in Loop: Header=BB0_1755 Depth=1
	s_or_b32 exec_lo, exec_lo, s12
	s_add_co_i32 s6, s4, 0x49
	s_mov_b32 s1, s5
	s_bfe_u32 s0, s6, 0x100003
	v_dual_mov_b32 v0, s6 :: v_dual_mov_b32 v1, s6
	s_mulk_i32 s0, 0x20c5
	v_dual_mov_b32 v3, s6 :: v_dual_mov_b32 v14, 0
	s_lshr_b32 s0, s0, 20
	s_mov_b32 s7, s5
	s_mulk_i32 s0, 0x3e8
	s_mov_b32 s12, 0
	s_sub_co_i32 s0, s6, s0
	s_delay_alu instid0(SALU_CYCLE_1) | instskip(NEXT) | instid1(SALU_CYCLE_1)
	s_and_b32 s0, s0, 0xffff
	s_lshl_b32 s0, s0, 12
	s_delay_alu instid0(SALU_CYCLE_1)
	v_add_nc_u64_e32 v[4:5], s[0:1], v[10:11]
	v_add_nc_u64_e32 v[8:9], s[0:1], v[12:13]
	global_store_b128 v[4:5], v[0:3], off th:TH_STORE_NT
.LBB0_2267:                             ;   Parent Loop BB0_1755 Depth=1
                                        ; =>  This Inner Loop Header: Depth=2
	s_wait_loadcnt 0x0
	global_load_b128 v[4:7], v[8:9], off th:TH_LOAD_NT
	v_add_nc_u32_e32 v14, 1, v14
	s_mov_b32 s1, -1
	s_mov_b32 s14, -1
	s_mov_b32 s15, exec_lo
	s_wait_xcnt 0x0
	v_cmpx_eq_u32_e32 0xf4240, v14
	s_cbranch_execz .LBB0_2269
; %bb.2268:                             ;   in Loop: Header=BB0_2267 Depth=2
	s_wait_loadcnt 0x0
	s_wait_storecnt 0x0
	global_load_b32 v0, v2, s[10:11] scope:SCOPE_SYS
	s_wait_loadcnt 0x0
	global_inv scope:SCOPE_SYS
	v_mov_b32_e32 v14, 0
	v_cmp_eq_u32_e64 s0, 0, v0
	s_or_not1_b32 s14, s0, exec_lo
.LBB0_2269:                             ;   in Loop: Header=BB0_2267 Depth=2
	s_wait_xcnt 0x0
	s_or_b32 exec_lo, exec_lo, s15
	s_and_saveexec_b32 s15, s14
	s_cbranch_execz .LBB0_2271
; %bb.2270:                             ;   in Loop: Header=BB0_2267 Depth=2
	s_wait_loadcnt 0x0
	v_cmp_eq_u32_e64 s0, s6, v5
	v_cmp_eq_u32_e64 s1, s6, v7
	s_and_b32 s0, s0, s1
	s_delay_alu instid0(SALU_CYCLE_1)
	s_or_not1_b32 s1, s0, exec_lo
.LBB0_2271:                             ;   in Loop: Header=BB0_2267 Depth=2
	s_or_b32 exec_lo, exec_lo, s15
	s_delay_alu instid0(SALU_CYCLE_1) | instskip(NEXT) | instid1(SALU_CYCLE_1)
	s_and_b32 s0, exec_lo, s1
	s_or_b32 s13, s0, s13
	s_delay_alu instid0(SALU_CYCLE_1)
	s_and_not1_b32 exec_lo, exec_lo, s13
	s_cbranch_execnz .LBB0_2267
; %bb.2272:                             ;   in Loop: Header=BB0_2267 Depth=2
	s_or_b32 exec_lo, exec_lo, s13
	s_wait_loadcnt 0x0
	v_dual_mov_b32 v5, v6 :: v_dual_mov_b32 v14, 0
	s_mov_b32 s13, 0
	s_delay_alu instid0(VALU_DEP_1) | instskip(SKIP_1) | instid1(SALU_CYCLE_1)
	v_cmp_eq_u64_e64 s0, s[6:7], v[4:5]
	s_or_b32 s12, s0, s12
	s_and_not1_b32 exec_lo, exec_lo, s12
	s_cbranch_execnz .LBB0_2267
; %bb.2273:                             ;   in Loop: Header=BB0_1755 Depth=1
	s_or_b32 exec_lo, exec_lo, s12
	s_add_co_i32 s6, s4, 0x4a
	s_mov_b32 s1, s5
	s_bfe_u32 s0, s6, 0x100003
	v_dual_mov_b32 v0, s6 :: v_dual_mov_b32 v1, s6
	s_mulk_i32 s0, 0x20c5
	v_dual_mov_b32 v3, s6 :: v_dual_mov_b32 v14, 0
	s_lshr_b32 s0, s0, 20
	s_mov_b32 s7, s5
	s_mulk_i32 s0, 0x3e8
	s_mov_b32 s12, 0
	s_sub_co_i32 s0, s6, s0
	s_delay_alu instid0(SALU_CYCLE_1) | instskip(NEXT) | instid1(SALU_CYCLE_1)
	s_and_b32 s0, s0, 0xffff
	s_lshl_b32 s0, s0, 12
	s_delay_alu instid0(SALU_CYCLE_1)
	v_add_nc_u64_e32 v[4:5], s[0:1], v[10:11]
	v_add_nc_u64_e32 v[8:9], s[0:1], v[12:13]
	global_store_b128 v[4:5], v[0:3], off th:TH_STORE_NT
.LBB0_2274:                             ;   Parent Loop BB0_1755 Depth=1
                                        ; =>  This Inner Loop Header: Depth=2
	s_wait_loadcnt 0x0
	global_load_b128 v[4:7], v[8:9], off th:TH_LOAD_NT
	v_add_nc_u32_e32 v14, 1, v14
	s_mov_b32 s1, -1
	s_mov_b32 s14, -1
	s_mov_b32 s15, exec_lo
	s_wait_xcnt 0x0
	v_cmpx_eq_u32_e32 0xf4240, v14
	s_cbranch_execz .LBB0_2276
; %bb.2275:                             ;   in Loop: Header=BB0_2274 Depth=2
	s_wait_loadcnt 0x0
	s_wait_storecnt 0x0
	global_load_b32 v0, v2, s[10:11] scope:SCOPE_SYS
	s_wait_loadcnt 0x0
	global_inv scope:SCOPE_SYS
	v_mov_b32_e32 v14, 0
	v_cmp_eq_u32_e64 s0, 0, v0
	s_or_not1_b32 s14, s0, exec_lo
.LBB0_2276:                             ;   in Loop: Header=BB0_2274 Depth=2
	s_wait_xcnt 0x0
	s_or_b32 exec_lo, exec_lo, s15
	s_and_saveexec_b32 s15, s14
	s_cbranch_execz .LBB0_2278
; %bb.2277:                             ;   in Loop: Header=BB0_2274 Depth=2
	s_wait_loadcnt 0x0
	v_cmp_eq_u32_e64 s0, s6, v5
	v_cmp_eq_u32_e64 s1, s6, v7
	s_and_b32 s0, s0, s1
	s_delay_alu instid0(SALU_CYCLE_1)
	s_or_not1_b32 s1, s0, exec_lo
.LBB0_2278:                             ;   in Loop: Header=BB0_2274 Depth=2
	s_or_b32 exec_lo, exec_lo, s15
	s_delay_alu instid0(SALU_CYCLE_1) | instskip(NEXT) | instid1(SALU_CYCLE_1)
	s_and_b32 s0, exec_lo, s1
	s_or_b32 s13, s0, s13
	s_delay_alu instid0(SALU_CYCLE_1)
	s_and_not1_b32 exec_lo, exec_lo, s13
	s_cbranch_execnz .LBB0_2274
; %bb.2279:                             ;   in Loop: Header=BB0_2274 Depth=2
	s_or_b32 exec_lo, exec_lo, s13
	s_wait_loadcnt 0x0
	v_dual_mov_b32 v5, v6 :: v_dual_mov_b32 v14, 0
	s_mov_b32 s13, 0
	s_delay_alu instid0(VALU_DEP_1) | instskip(SKIP_1) | instid1(SALU_CYCLE_1)
	v_cmp_eq_u64_e64 s0, s[6:7], v[4:5]
	s_or_b32 s12, s0, s12
	s_and_not1_b32 exec_lo, exec_lo, s12
	s_cbranch_execnz .LBB0_2274
; %bb.2280:                             ;   in Loop: Header=BB0_1755 Depth=1
	s_or_b32 exec_lo, exec_lo, s12
	s_add_co_i32 s6, s4, 0x4b
	s_mov_b32 s1, s5
	s_bfe_u32 s0, s6, 0x100003
	v_dual_mov_b32 v0, s6 :: v_dual_mov_b32 v1, s6
	s_mulk_i32 s0, 0x20c5
	v_dual_mov_b32 v3, s6 :: v_dual_mov_b32 v14, 0
	s_lshr_b32 s0, s0, 20
	s_mov_b32 s7, s5
	s_mulk_i32 s0, 0x3e8
	s_mov_b32 s12, 0
	s_sub_co_i32 s0, s6, s0
	s_delay_alu instid0(SALU_CYCLE_1) | instskip(NEXT) | instid1(SALU_CYCLE_1)
	s_and_b32 s0, s0, 0xffff
	s_lshl_b32 s0, s0, 12
	s_delay_alu instid0(SALU_CYCLE_1)
	v_add_nc_u64_e32 v[4:5], s[0:1], v[10:11]
	v_add_nc_u64_e32 v[8:9], s[0:1], v[12:13]
	global_store_b128 v[4:5], v[0:3], off th:TH_STORE_NT
.LBB0_2281:                             ;   Parent Loop BB0_1755 Depth=1
                                        ; =>  This Inner Loop Header: Depth=2
	s_wait_loadcnt 0x0
	global_load_b128 v[4:7], v[8:9], off th:TH_LOAD_NT
	v_add_nc_u32_e32 v14, 1, v14
	s_mov_b32 s1, -1
	s_mov_b32 s14, -1
	s_mov_b32 s15, exec_lo
	s_wait_xcnt 0x0
	v_cmpx_eq_u32_e32 0xf4240, v14
	s_cbranch_execz .LBB0_2283
; %bb.2282:                             ;   in Loop: Header=BB0_2281 Depth=2
	s_wait_loadcnt 0x0
	s_wait_storecnt 0x0
	global_load_b32 v0, v2, s[10:11] scope:SCOPE_SYS
	s_wait_loadcnt 0x0
	global_inv scope:SCOPE_SYS
	v_mov_b32_e32 v14, 0
	v_cmp_eq_u32_e64 s0, 0, v0
	s_or_not1_b32 s14, s0, exec_lo
.LBB0_2283:                             ;   in Loop: Header=BB0_2281 Depth=2
	s_wait_xcnt 0x0
	s_or_b32 exec_lo, exec_lo, s15
	s_and_saveexec_b32 s15, s14
	s_cbranch_execz .LBB0_2285
; %bb.2284:                             ;   in Loop: Header=BB0_2281 Depth=2
	s_wait_loadcnt 0x0
	v_cmp_eq_u32_e64 s0, s6, v5
	v_cmp_eq_u32_e64 s1, s6, v7
	s_and_b32 s0, s0, s1
	s_delay_alu instid0(SALU_CYCLE_1)
	s_or_not1_b32 s1, s0, exec_lo
.LBB0_2285:                             ;   in Loop: Header=BB0_2281 Depth=2
	s_or_b32 exec_lo, exec_lo, s15
	s_delay_alu instid0(SALU_CYCLE_1) | instskip(NEXT) | instid1(SALU_CYCLE_1)
	s_and_b32 s0, exec_lo, s1
	s_or_b32 s13, s0, s13
	s_delay_alu instid0(SALU_CYCLE_1)
	s_and_not1_b32 exec_lo, exec_lo, s13
	s_cbranch_execnz .LBB0_2281
; %bb.2286:                             ;   in Loop: Header=BB0_2281 Depth=2
	s_or_b32 exec_lo, exec_lo, s13
	s_wait_loadcnt 0x0
	v_dual_mov_b32 v5, v6 :: v_dual_mov_b32 v14, 0
	s_mov_b32 s13, 0
	s_delay_alu instid0(VALU_DEP_1) | instskip(SKIP_1) | instid1(SALU_CYCLE_1)
	v_cmp_eq_u64_e64 s0, s[6:7], v[4:5]
	s_or_b32 s12, s0, s12
	s_and_not1_b32 exec_lo, exec_lo, s12
	s_cbranch_execnz .LBB0_2281
; %bb.2287:                             ;   in Loop: Header=BB0_1755 Depth=1
	s_or_b32 exec_lo, exec_lo, s12
	s_add_co_i32 s6, s4, 0x4c
	s_mov_b32 s1, s5
	s_bfe_u32 s0, s6, 0x100003
	v_dual_mov_b32 v0, s6 :: v_dual_mov_b32 v1, s6
	s_mulk_i32 s0, 0x20c5
	v_dual_mov_b32 v3, s6 :: v_dual_mov_b32 v14, 0
	s_lshr_b32 s0, s0, 20
	s_mov_b32 s7, s5
	s_mulk_i32 s0, 0x3e8
	s_mov_b32 s12, 0
	s_sub_co_i32 s0, s6, s0
	s_delay_alu instid0(SALU_CYCLE_1) | instskip(NEXT) | instid1(SALU_CYCLE_1)
	s_and_b32 s0, s0, 0xffff
	s_lshl_b32 s0, s0, 12
	s_delay_alu instid0(SALU_CYCLE_1)
	v_add_nc_u64_e32 v[4:5], s[0:1], v[10:11]
	v_add_nc_u64_e32 v[8:9], s[0:1], v[12:13]
	global_store_b128 v[4:5], v[0:3], off th:TH_STORE_NT
.LBB0_2288:                             ;   Parent Loop BB0_1755 Depth=1
                                        ; =>  This Inner Loop Header: Depth=2
	s_wait_loadcnt 0x0
	global_load_b128 v[4:7], v[8:9], off th:TH_LOAD_NT
	v_add_nc_u32_e32 v14, 1, v14
	s_mov_b32 s1, -1
	s_mov_b32 s14, -1
	s_mov_b32 s15, exec_lo
	s_wait_xcnt 0x0
	v_cmpx_eq_u32_e32 0xf4240, v14
	s_cbranch_execz .LBB0_2290
; %bb.2289:                             ;   in Loop: Header=BB0_2288 Depth=2
	s_wait_loadcnt 0x0
	s_wait_storecnt 0x0
	global_load_b32 v0, v2, s[10:11] scope:SCOPE_SYS
	s_wait_loadcnt 0x0
	global_inv scope:SCOPE_SYS
	v_mov_b32_e32 v14, 0
	v_cmp_eq_u32_e64 s0, 0, v0
	s_or_not1_b32 s14, s0, exec_lo
.LBB0_2290:                             ;   in Loop: Header=BB0_2288 Depth=2
	s_wait_xcnt 0x0
	s_or_b32 exec_lo, exec_lo, s15
	s_and_saveexec_b32 s15, s14
	s_cbranch_execz .LBB0_2292
; %bb.2291:                             ;   in Loop: Header=BB0_2288 Depth=2
	s_wait_loadcnt 0x0
	v_cmp_eq_u32_e64 s0, s6, v5
	v_cmp_eq_u32_e64 s1, s6, v7
	s_and_b32 s0, s0, s1
	s_delay_alu instid0(SALU_CYCLE_1)
	s_or_not1_b32 s1, s0, exec_lo
.LBB0_2292:                             ;   in Loop: Header=BB0_2288 Depth=2
	s_or_b32 exec_lo, exec_lo, s15
	s_delay_alu instid0(SALU_CYCLE_1) | instskip(NEXT) | instid1(SALU_CYCLE_1)
	s_and_b32 s0, exec_lo, s1
	s_or_b32 s13, s0, s13
	s_delay_alu instid0(SALU_CYCLE_1)
	s_and_not1_b32 exec_lo, exec_lo, s13
	s_cbranch_execnz .LBB0_2288
; %bb.2293:                             ;   in Loop: Header=BB0_2288 Depth=2
	s_or_b32 exec_lo, exec_lo, s13
	s_wait_loadcnt 0x0
	v_dual_mov_b32 v5, v6 :: v_dual_mov_b32 v14, 0
	s_mov_b32 s13, 0
	s_delay_alu instid0(VALU_DEP_1) | instskip(SKIP_1) | instid1(SALU_CYCLE_1)
	v_cmp_eq_u64_e64 s0, s[6:7], v[4:5]
	s_or_b32 s12, s0, s12
	s_and_not1_b32 exec_lo, exec_lo, s12
	s_cbranch_execnz .LBB0_2288
; %bb.2294:                             ;   in Loop: Header=BB0_1755 Depth=1
	s_or_b32 exec_lo, exec_lo, s12
	s_add_co_i32 s6, s4, 0x4d
	s_mov_b32 s1, s5
	s_bfe_u32 s0, s6, 0x100003
	v_dual_mov_b32 v0, s6 :: v_dual_mov_b32 v1, s6
	s_mulk_i32 s0, 0x20c5
	v_dual_mov_b32 v3, s6 :: v_dual_mov_b32 v14, 0
	s_lshr_b32 s0, s0, 20
	s_mov_b32 s7, s5
	s_mulk_i32 s0, 0x3e8
	s_mov_b32 s12, 0
	s_sub_co_i32 s0, s6, s0
	s_delay_alu instid0(SALU_CYCLE_1) | instskip(NEXT) | instid1(SALU_CYCLE_1)
	s_and_b32 s0, s0, 0xffff
	s_lshl_b32 s0, s0, 12
	s_delay_alu instid0(SALU_CYCLE_1)
	v_add_nc_u64_e32 v[4:5], s[0:1], v[10:11]
	v_add_nc_u64_e32 v[8:9], s[0:1], v[12:13]
	global_store_b128 v[4:5], v[0:3], off th:TH_STORE_NT
.LBB0_2295:                             ;   Parent Loop BB0_1755 Depth=1
                                        ; =>  This Inner Loop Header: Depth=2
	s_wait_loadcnt 0x0
	global_load_b128 v[4:7], v[8:9], off th:TH_LOAD_NT
	v_add_nc_u32_e32 v14, 1, v14
	s_mov_b32 s1, -1
	s_mov_b32 s14, -1
	s_mov_b32 s15, exec_lo
	s_wait_xcnt 0x0
	v_cmpx_eq_u32_e32 0xf4240, v14
	s_cbranch_execz .LBB0_2297
; %bb.2296:                             ;   in Loop: Header=BB0_2295 Depth=2
	s_wait_loadcnt 0x0
	s_wait_storecnt 0x0
	global_load_b32 v0, v2, s[10:11] scope:SCOPE_SYS
	s_wait_loadcnt 0x0
	global_inv scope:SCOPE_SYS
	v_mov_b32_e32 v14, 0
	v_cmp_eq_u32_e64 s0, 0, v0
	s_or_not1_b32 s14, s0, exec_lo
.LBB0_2297:                             ;   in Loop: Header=BB0_2295 Depth=2
	s_wait_xcnt 0x0
	s_or_b32 exec_lo, exec_lo, s15
	s_and_saveexec_b32 s15, s14
	s_cbranch_execz .LBB0_2299
; %bb.2298:                             ;   in Loop: Header=BB0_2295 Depth=2
	s_wait_loadcnt 0x0
	v_cmp_eq_u32_e64 s0, s6, v5
	v_cmp_eq_u32_e64 s1, s6, v7
	s_and_b32 s0, s0, s1
	s_delay_alu instid0(SALU_CYCLE_1)
	s_or_not1_b32 s1, s0, exec_lo
.LBB0_2299:                             ;   in Loop: Header=BB0_2295 Depth=2
	s_or_b32 exec_lo, exec_lo, s15
	s_delay_alu instid0(SALU_CYCLE_1) | instskip(NEXT) | instid1(SALU_CYCLE_1)
	s_and_b32 s0, exec_lo, s1
	s_or_b32 s13, s0, s13
	s_delay_alu instid0(SALU_CYCLE_1)
	s_and_not1_b32 exec_lo, exec_lo, s13
	s_cbranch_execnz .LBB0_2295
; %bb.2300:                             ;   in Loop: Header=BB0_2295 Depth=2
	s_or_b32 exec_lo, exec_lo, s13
	s_wait_loadcnt 0x0
	v_dual_mov_b32 v5, v6 :: v_dual_mov_b32 v14, 0
	s_mov_b32 s13, 0
	s_delay_alu instid0(VALU_DEP_1) | instskip(SKIP_1) | instid1(SALU_CYCLE_1)
	v_cmp_eq_u64_e64 s0, s[6:7], v[4:5]
	s_or_b32 s12, s0, s12
	s_and_not1_b32 exec_lo, exec_lo, s12
	s_cbranch_execnz .LBB0_2295
; %bb.2301:                             ;   in Loop: Header=BB0_1755 Depth=1
	s_or_b32 exec_lo, exec_lo, s12
	s_add_co_i32 s6, s4, 0x4e
	s_mov_b32 s1, s5
	s_bfe_u32 s0, s6, 0x100003
	v_dual_mov_b32 v0, s6 :: v_dual_mov_b32 v1, s6
	s_mulk_i32 s0, 0x20c5
	v_dual_mov_b32 v3, s6 :: v_dual_mov_b32 v14, 0
	s_lshr_b32 s0, s0, 20
	s_mov_b32 s7, s5
	s_mulk_i32 s0, 0x3e8
	s_mov_b32 s12, 0
	s_sub_co_i32 s0, s6, s0
	s_delay_alu instid0(SALU_CYCLE_1) | instskip(NEXT) | instid1(SALU_CYCLE_1)
	s_and_b32 s0, s0, 0xffff
	s_lshl_b32 s0, s0, 12
	s_delay_alu instid0(SALU_CYCLE_1)
	v_add_nc_u64_e32 v[4:5], s[0:1], v[10:11]
	v_add_nc_u64_e32 v[8:9], s[0:1], v[12:13]
	global_store_b128 v[4:5], v[0:3], off th:TH_STORE_NT
.LBB0_2302:                             ;   Parent Loop BB0_1755 Depth=1
                                        ; =>  This Inner Loop Header: Depth=2
	s_wait_loadcnt 0x0
	global_load_b128 v[4:7], v[8:9], off th:TH_LOAD_NT
	v_add_nc_u32_e32 v14, 1, v14
	s_mov_b32 s1, -1
	s_mov_b32 s14, -1
	s_mov_b32 s15, exec_lo
	s_wait_xcnt 0x0
	v_cmpx_eq_u32_e32 0xf4240, v14
	s_cbranch_execz .LBB0_2304
; %bb.2303:                             ;   in Loop: Header=BB0_2302 Depth=2
	s_wait_loadcnt 0x0
	s_wait_storecnt 0x0
	global_load_b32 v0, v2, s[10:11] scope:SCOPE_SYS
	s_wait_loadcnt 0x0
	global_inv scope:SCOPE_SYS
	v_mov_b32_e32 v14, 0
	v_cmp_eq_u32_e64 s0, 0, v0
	s_or_not1_b32 s14, s0, exec_lo
.LBB0_2304:                             ;   in Loop: Header=BB0_2302 Depth=2
	s_wait_xcnt 0x0
	s_or_b32 exec_lo, exec_lo, s15
	s_and_saveexec_b32 s15, s14
	s_cbranch_execz .LBB0_2306
; %bb.2305:                             ;   in Loop: Header=BB0_2302 Depth=2
	s_wait_loadcnt 0x0
	v_cmp_eq_u32_e64 s0, s6, v5
	v_cmp_eq_u32_e64 s1, s6, v7
	s_and_b32 s0, s0, s1
	s_delay_alu instid0(SALU_CYCLE_1)
	s_or_not1_b32 s1, s0, exec_lo
.LBB0_2306:                             ;   in Loop: Header=BB0_2302 Depth=2
	s_or_b32 exec_lo, exec_lo, s15
	s_delay_alu instid0(SALU_CYCLE_1) | instskip(NEXT) | instid1(SALU_CYCLE_1)
	s_and_b32 s0, exec_lo, s1
	s_or_b32 s13, s0, s13
	s_delay_alu instid0(SALU_CYCLE_1)
	s_and_not1_b32 exec_lo, exec_lo, s13
	s_cbranch_execnz .LBB0_2302
; %bb.2307:                             ;   in Loop: Header=BB0_2302 Depth=2
	s_or_b32 exec_lo, exec_lo, s13
	s_wait_loadcnt 0x0
	v_dual_mov_b32 v5, v6 :: v_dual_mov_b32 v14, 0
	s_mov_b32 s13, 0
	s_delay_alu instid0(VALU_DEP_1) | instskip(SKIP_1) | instid1(SALU_CYCLE_1)
	v_cmp_eq_u64_e64 s0, s[6:7], v[4:5]
	s_or_b32 s12, s0, s12
	s_and_not1_b32 exec_lo, exec_lo, s12
	s_cbranch_execnz .LBB0_2302
; %bb.2308:                             ;   in Loop: Header=BB0_1755 Depth=1
	s_or_b32 exec_lo, exec_lo, s12
	s_add_co_i32 s6, s4, 0x4f
	s_mov_b32 s1, s5
	s_bfe_u32 s0, s6, 0x100003
	v_dual_mov_b32 v0, s6 :: v_dual_mov_b32 v1, s6
	s_mulk_i32 s0, 0x20c5
	v_dual_mov_b32 v3, s6 :: v_dual_mov_b32 v14, 0
	s_lshr_b32 s0, s0, 20
	s_mov_b32 s7, s5
	s_mulk_i32 s0, 0x3e8
	s_mov_b32 s12, 0
	s_sub_co_i32 s0, s6, s0
	s_delay_alu instid0(SALU_CYCLE_1) | instskip(NEXT) | instid1(SALU_CYCLE_1)
	s_and_b32 s0, s0, 0xffff
	s_lshl_b32 s0, s0, 12
	s_delay_alu instid0(SALU_CYCLE_1)
	v_add_nc_u64_e32 v[4:5], s[0:1], v[10:11]
	v_add_nc_u64_e32 v[8:9], s[0:1], v[12:13]
	global_store_b128 v[4:5], v[0:3], off th:TH_STORE_NT
.LBB0_2309:                             ;   Parent Loop BB0_1755 Depth=1
                                        ; =>  This Inner Loop Header: Depth=2
	s_wait_loadcnt 0x0
	global_load_b128 v[4:7], v[8:9], off th:TH_LOAD_NT
	v_add_nc_u32_e32 v14, 1, v14
	s_mov_b32 s1, -1
	s_mov_b32 s14, -1
	s_mov_b32 s15, exec_lo
	s_wait_xcnt 0x0
	v_cmpx_eq_u32_e32 0xf4240, v14
	s_cbranch_execz .LBB0_2311
; %bb.2310:                             ;   in Loop: Header=BB0_2309 Depth=2
	s_wait_loadcnt 0x0
	s_wait_storecnt 0x0
	global_load_b32 v0, v2, s[10:11] scope:SCOPE_SYS
	s_wait_loadcnt 0x0
	global_inv scope:SCOPE_SYS
	v_mov_b32_e32 v14, 0
	v_cmp_eq_u32_e64 s0, 0, v0
	s_or_not1_b32 s14, s0, exec_lo
.LBB0_2311:                             ;   in Loop: Header=BB0_2309 Depth=2
	s_wait_xcnt 0x0
	s_or_b32 exec_lo, exec_lo, s15
	s_and_saveexec_b32 s15, s14
	s_cbranch_execz .LBB0_2313
; %bb.2312:                             ;   in Loop: Header=BB0_2309 Depth=2
	s_wait_loadcnt 0x0
	v_cmp_eq_u32_e64 s0, s6, v5
	v_cmp_eq_u32_e64 s1, s6, v7
	s_and_b32 s0, s0, s1
	s_delay_alu instid0(SALU_CYCLE_1)
	s_or_not1_b32 s1, s0, exec_lo
.LBB0_2313:                             ;   in Loop: Header=BB0_2309 Depth=2
	s_or_b32 exec_lo, exec_lo, s15
	s_delay_alu instid0(SALU_CYCLE_1) | instskip(NEXT) | instid1(SALU_CYCLE_1)
	s_and_b32 s0, exec_lo, s1
	s_or_b32 s13, s0, s13
	s_delay_alu instid0(SALU_CYCLE_1)
	s_and_not1_b32 exec_lo, exec_lo, s13
	s_cbranch_execnz .LBB0_2309
; %bb.2314:                             ;   in Loop: Header=BB0_2309 Depth=2
	s_or_b32 exec_lo, exec_lo, s13
	s_wait_loadcnt 0x0
	v_dual_mov_b32 v5, v6 :: v_dual_mov_b32 v14, 0
	s_mov_b32 s13, 0
	s_delay_alu instid0(VALU_DEP_1) | instskip(SKIP_1) | instid1(SALU_CYCLE_1)
	v_cmp_eq_u64_e64 s0, s[6:7], v[4:5]
	s_or_b32 s12, s0, s12
	s_and_not1_b32 exec_lo, exec_lo, s12
	s_cbranch_execnz .LBB0_2309
; %bb.2315:                             ;   in Loop: Header=BB0_1755 Depth=1
	s_or_b32 exec_lo, exec_lo, s12
	s_add_co_i32 s6, s4, 0x50
	s_mov_b32 s1, s5
	s_bfe_u32 s0, s6, 0x100003
	v_dual_mov_b32 v0, s6 :: v_dual_mov_b32 v1, s6
	s_mulk_i32 s0, 0x20c5
	v_dual_mov_b32 v3, s6 :: v_dual_mov_b32 v14, 0
	s_lshr_b32 s0, s0, 20
	s_mov_b32 s7, s5
	s_mulk_i32 s0, 0x3e8
	s_mov_b32 s12, 0
	s_sub_co_i32 s0, s6, s0
	s_delay_alu instid0(SALU_CYCLE_1) | instskip(NEXT) | instid1(SALU_CYCLE_1)
	s_and_b32 s0, s0, 0xffff
	s_lshl_b32 s0, s0, 12
	s_delay_alu instid0(SALU_CYCLE_1)
	v_add_nc_u64_e32 v[4:5], s[0:1], v[10:11]
	v_add_nc_u64_e32 v[8:9], s[0:1], v[12:13]
	global_store_b128 v[4:5], v[0:3], off th:TH_STORE_NT
.LBB0_2316:                             ;   Parent Loop BB0_1755 Depth=1
                                        ; =>  This Inner Loop Header: Depth=2
	s_wait_loadcnt 0x0
	global_load_b128 v[4:7], v[8:9], off th:TH_LOAD_NT
	v_add_nc_u32_e32 v14, 1, v14
	s_mov_b32 s1, -1
	s_mov_b32 s14, -1
	s_mov_b32 s15, exec_lo
	s_wait_xcnt 0x0
	v_cmpx_eq_u32_e32 0xf4240, v14
	s_cbranch_execz .LBB0_2318
; %bb.2317:                             ;   in Loop: Header=BB0_2316 Depth=2
	s_wait_loadcnt 0x0
	s_wait_storecnt 0x0
	global_load_b32 v0, v2, s[10:11] scope:SCOPE_SYS
	s_wait_loadcnt 0x0
	global_inv scope:SCOPE_SYS
	v_mov_b32_e32 v14, 0
	v_cmp_eq_u32_e64 s0, 0, v0
	s_or_not1_b32 s14, s0, exec_lo
.LBB0_2318:                             ;   in Loop: Header=BB0_2316 Depth=2
	s_wait_xcnt 0x0
	s_or_b32 exec_lo, exec_lo, s15
	s_and_saveexec_b32 s15, s14
	s_cbranch_execz .LBB0_2320
; %bb.2319:                             ;   in Loop: Header=BB0_2316 Depth=2
	s_wait_loadcnt 0x0
	v_cmp_eq_u32_e64 s0, s6, v5
	v_cmp_eq_u32_e64 s1, s6, v7
	s_and_b32 s0, s0, s1
	s_delay_alu instid0(SALU_CYCLE_1)
	s_or_not1_b32 s1, s0, exec_lo
.LBB0_2320:                             ;   in Loop: Header=BB0_2316 Depth=2
	s_or_b32 exec_lo, exec_lo, s15
	s_delay_alu instid0(SALU_CYCLE_1) | instskip(NEXT) | instid1(SALU_CYCLE_1)
	s_and_b32 s0, exec_lo, s1
	s_or_b32 s13, s0, s13
	s_delay_alu instid0(SALU_CYCLE_1)
	s_and_not1_b32 exec_lo, exec_lo, s13
	s_cbranch_execnz .LBB0_2316
; %bb.2321:                             ;   in Loop: Header=BB0_2316 Depth=2
	s_or_b32 exec_lo, exec_lo, s13
	s_wait_loadcnt 0x0
	v_dual_mov_b32 v5, v6 :: v_dual_mov_b32 v14, 0
	s_mov_b32 s13, 0
	s_delay_alu instid0(VALU_DEP_1) | instskip(SKIP_1) | instid1(SALU_CYCLE_1)
	v_cmp_eq_u64_e64 s0, s[6:7], v[4:5]
	s_or_b32 s12, s0, s12
	s_and_not1_b32 exec_lo, exec_lo, s12
	s_cbranch_execnz .LBB0_2316
; %bb.2322:                             ;   in Loop: Header=BB0_1755 Depth=1
	s_or_b32 exec_lo, exec_lo, s12
	s_add_co_i32 s6, s4, 0x51
	s_mov_b32 s1, s5
	s_bfe_u32 s0, s6, 0x100003
	v_dual_mov_b32 v0, s6 :: v_dual_mov_b32 v1, s6
	s_mulk_i32 s0, 0x20c5
	v_dual_mov_b32 v3, s6 :: v_dual_mov_b32 v14, 0
	s_lshr_b32 s0, s0, 20
	s_mov_b32 s7, s5
	s_mulk_i32 s0, 0x3e8
	s_mov_b32 s12, 0
	s_sub_co_i32 s0, s6, s0
	s_delay_alu instid0(SALU_CYCLE_1) | instskip(NEXT) | instid1(SALU_CYCLE_1)
	s_and_b32 s0, s0, 0xffff
	s_lshl_b32 s0, s0, 12
	s_delay_alu instid0(SALU_CYCLE_1)
	v_add_nc_u64_e32 v[4:5], s[0:1], v[10:11]
	v_add_nc_u64_e32 v[8:9], s[0:1], v[12:13]
	global_store_b128 v[4:5], v[0:3], off th:TH_STORE_NT
.LBB0_2323:                             ;   Parent Loop BB0_1755 Depth=1
                                        ; =>  This Inner Loop Header: Depth=2
	s_wait_loadcnt 0x0
	global_load_b128 v[4:7], v[8:9], off th:TH_LOAD_NT
	v_add_nc_u32_e32 v14, 1, v14
	s_mov_b32 s1, -1
	s_mov_b32 s14, -1
	s_mov_b32 s15, exec_lo
	s_wait_xcnt 0x0
	v_cmpx_eq_u32_e32 0xf4240, v14
	s_cbranch_execz .LBB0_2325
; %bb.2324:                             ;   in Loop: Header=BB0_2323 Depth=2
	s_wait_loadcnt 0x0
	s_wait_storecnt 0x0
	global_load_b32 v0, v2, s[10:11] scope:SCOPE_SYS
	s_wait_loadcnt 0x0
	global_inv scope:SCOPE_SYS
	v_mov_b32_e32 v14, 0
	v_cmp_eq_u32_e64 s0, 0, v0
	s_or_not1_b32 s14, s0, exec_lo
.LBB0_2325:                             ;   in Loop: Header=BB0_2323 Depth=2
	s_wait_xcnt 0x0
	s_or_b32 exec_lo, exec_lo, s15
	s_and_saveexec_b32 s15, s14
	s_cbranch_execz .LBB0_2327
; %bb.2326:                             ;   in Loop: Header=BB0_2323 Depth=2
	s_wait_loadcnt 0x0
	v_cmp_eq_u32_e64 s0, s6, v5
	v_cmp_eq_u32_e64 s1, s6, v7
	s_and_b32 s0, s0, s1
	s_delay_alu instid0(SALU_CYCLE_1)
	s_or_not1_b32 s1, s0, exec_lo
.LBB0_2327:                             ;   in Loop: Header=BB0_2323 Depth=2
	s_or_b32 exec_lo, exec_lo, s15
	s_delay_alu instid0(SALU_CYCLE_1) | instskip(NEXT) | instid1(SALU_CYCLE_1)
	s_and_b32 s0, exec_lo, s1
	s_or_b32 s13, s0, s13
	s_delay_alu instid0(SALU_CYCLE_1)
	s_and_not1_b32 exec_lo, exec_lo, s13
	s_cbranch_execnz .LBB0_2323
; %bb.2328:                             ;   in Loop: Header=BB0_2323 Depth=2
	s_or_b32 exec_lo, exec_lo, s13
	s_wait_loadcnt 0x0
	v_dual_mov_b32 v5, v6 :: v_dual_mov_b32 v14, 0
	s_mov_b32 s13, 0
	s_delay_alu instid0(VALU_DEP_1) | instskip(SKIP_1) | instid1(SALU_CYCLE_1)
	v_cmp_eq_u64_e64 s0, s[6:7], v[4:5]
	s_or_b32 s12, s0, s12
	s_and_not1_b32 exec_lo, exec_lo, s12
	s_cbranch_execnz .LBB0_2323
; %bb.2329:                             ;   in Loop: Header=BB0_1755 Depth=1
	s_or_b32 exec_lo, exec_lo, s12
	s_add_co_i32 s6, s4, 0x52
	s_mov_b32 s1, s5
	s_bfe_u32 s0, s6, 0x100003
	v_dual_mov_b32 v0, s6 :: v_dual_mov_b32 v1, s6
	s_mulk_i32 s0, 0x20c5
	v_dual_mov_b32 v3, s6 :: v_dual_mov_b32 v14, 0
	s_lshr_b32 s0, s0, 20
	s_mov_b32 s7, s5
	s_mulk_i32 s0, 0x3e8
	s_mov_b32 s12, 0
	s_sub_co_i32 s0, s6, s0
	s_delay_alu instid0(SALU_CYCLE_1) | instskip(NEXT) | instid1(SALU_CYCLE_1)
	s_and_b32 s0, s0, 0xffff
	s_lshl_b32 s0, s0, 12
	s_delay_alu instid0(SALU_CYCLE_1)
	v_add_nc_u64_e32 v[4:5], s[0:1], v[10:11]
	v_add_nc_u64_e32 v[8:9], s[0:1], v[12:13]
	global_store_b128 v[4:5], v[0:3], off th:TH_STORE_NT
.LBB0_2330:                             ;   Parent Loop BB0_1755 Depth=1
                                        ; =>  This Inner Loop Header: Depth=2
	s_wait_loadcnt 0x0
	global_load_b128 v[4:7], v[8:9], off th:TH_LOAD_NT
	v_add_nc_u32_e32 v14, 1, v14
	s_mov_b32 s1, -1
	s_mov_b32 s14, -1
	s_mov_b32 s15, exec_lo
	s_wait_xcnt 0x0
	v_cmpx_eq_u32_e32 0xf4240, v14
	s_cbranch_execz .LBB0_2332
; %bb.2331:                             ;   in Loop: Header=BB0_2330 Depth=2
	s_wait_loadcnt 0x0
	s_wait_storecnt 0x0
	global_load_b32 v0, v2, s[10:11] scope:SCOPE_SYS
	s_wait_loadcnt 0x0
	global_inv scope:SCOPE_SYS
	v_mov_b32_e32 v14, 0
	v_cmp_eq_u32_e64 s0, 0, v0
	s_or_not1_b32 s14, s0, exec_lo
.LBB0_2332:                             ;   in Loop: Header=BB0_2330 Depth=2
	s_wait_xcnt 0x0
	s_or_b32 exec_lo, exec_lo, s15
	s_and_saveexec_b32 s15, s14
	s_cbranch_execz .LBB0_2334
; %bb.2333:                             ;   in Loop: Header=BB0_2330 Depth=2
	s_wait_loadcnt 0x0
	v_cmp_eq_u32_e64 s0, s6, v5
	v_cmp_eq_u32_e64 s1, s6, v7
	s_and_b32 s0, s0, s1
	s_delay_alu instid0(SALU_CYCLE_1)
	s_or_not1_b32 s1, s0, exec_lo
.LBB0_2334:                             ;   in Loop: Header=BB0_2330 Depth=2
	s_or_b32 exec_lo, exec_lo, s15
	s_delay_alu instid0(SALU_CYCLE_1) | instskip(NEXT) | instid1(SALU_CYCLE_1)
	s_and_b32 s0, exec_lo, s1
	s_or_b32 s13, s0, s13
	s_delay_alu instid0(SALU_CYCLE_1)
	s_and_not1_b32 exec_lo, exec_lo, s13
	s_cbranch_execnz .LBB0_2330
; %bb.2335:                             ;   in Loop: Header=BB0_2330 Depth=2
	s_or_b32 exec_lo, exec_lo, s13
	s_wait_loadcnt 0x0
	v_dual_mov_b32 v5, v6 :: v_dual_mov_b32 v14, 0
	s_mov_b32 s13, 0
	s_delay_alu instid0(VALU_DEP_1) | instskip(SKIP_1) | instid1(SALU_CYCLE_1)
	v_cmp_eq_u64_e64 s0, s[6:7], v[4:5]
	s_or_b32 s12, s0, s12
	s_and_not1_b32 exec_lo, exec_lo, s12
	s_cbranch_execnz .LBB0_2330
; %bb.2336:                             ;   in Loop: Header=BB0_1755 Depth=1
	s_or_b32 exec_lo, exec_lo, s12
	s_add_co_i32 s6, s4, 0x53
	s_mov_b32 s1, s5
	s_bfe_u32 s0, s6, 0x100003
	v_dual_mov_b32 v0, s6 :: v_dual_mov_b32 v1, s6
	s_mulk_i32 s0, 0x20c5
	v_dual_mov_b32 v3, s6 :: v_dual_mov_b32 v14, 0
	s_lshr_b32 s0, s0, 20
	s_mov_b32 s7, s5
	s_mulk_i32 s0, 0x3e8
	s_mov_b32 s12, 0
	s_sub_co_i32 s0, s6, s0
	s_delay_alu instid0(SALU_CYCLE_1) | instskip(NEXT) | instid1(SALU_CYCLE_1)
	s_and_b32 s0, s0, 0xffff
	s_lshl_b32 s0, s0, 12
	s_delay_alu instid0(SALU_CYCLE_1)
	v_add_nc_u64_e32 v[4:5], s[0:1], v[10:11]
	v_add_nc_u64_e32 v[8:9], s[0:1], v[12:13]
	global_store_b128 v[4:5], v[0:3], off th:TH_STORE_NT
.LBB0_2337:                             ;   Parent Loop BB0_1755 Depth=1
                                        ; =>  This Inner Loop Header: Depth=2
	s_wait_loadcnt 0x0
	global_load_b128 v[4:7], v[8:9], off th:TH_LOAD_NT
	v_add_nc_u32_e32 v14, 1, v14
	s_mov_b32 s1, -1
	s_mov_b32 s14, -1
	s_mov_b32 s15, exec_lo
	s_wait_xcnt 0x0
	v_cmpx_eq_u32_e32 0xf4240, v14
	s_cbranch_execz .LBB0_2339
; %bb.2338:                             ;   in Loop: Header=BB0_2337 Depth=2
	s_wait_loadcnt 0x0
	s_wait_storecnt 0x0
	global_load_b32 v0, v2, s[10:11] scope:SCOPE_SYS
	s_wait_loadcnt 0x0
	global_inv scope:SCOPE_SYS
	v_mov_b32_e32 v14, 0
	v_cmp_eq_u32_e64 s0, 0, v0
	s_or_not1_b32 s14, s0, exec_lo
.LBB0_2339:                             ;   in Loop: Header=BB0_2337 Depth=2
	s_wait_xcnt 0x0
	s_or_b32 exec_lo, exec_lo, s15
	s_and_saveexec_b32 s15, s14
	s_cbranch_execz .LBB0_2341
; %bb.2340:                             ;   in Loop: Header=BB0_2337 Depth=2
	s_wait_loadcnt 0x0
	v_cmp_eq_u32_e64 s0, s6, v5
	v_cmp_eq_u32_e64 s1, s6, v7
	s_and_b32 s0, s0, s1
	s_delay_alu instid0(SALU_CYCLE_1)
	s_or_not1_b32 s1, s0, exec_lo
.LBB0_2341:                             ;   in Loop: Header=BB0_2337 Depth=2
	s_or_b32 exec_lo, exec_lo, s15
	s_delay_alu instid0(SALU_CYCLE_1) | instskip(NEXT) | instid1(SALU_CYCLE_1)
	s_and_b32 s0, exec_lo, s1
	s_or_b32 s13, s0, s13
	s_delay_alu instid0(SALU_CYCLE_1)
	s_and_not1_b32 exec_lo, exec_lo, s13
	s_cbranch_execnz .LBB0_2337
; %bb.2342:                             ;   in Loop: Header=BB0_2337 Depth=2
	s_or_b32 exec_lo, exec_lo, s13
	s_wait_loadcnt 0x0
	v_dual_mov_b32 v5, v6 :: v_dual_mov_b32 v14, 0
	s_mov_b32 s13, 0
	s_delay_alu instid0(VALU_DEP_1) | instskip(SKIP_1) | instid1(SALU_CYCLE_1)
	v_cmp_eq_u64_e64 s0, s[6:7], v[4:5]
	s_or_b32 s12, s0, s12
	s_and_not1_b32 exec_lo, exec_lo, s12
	s_cbranch_execnz .LBB0_2337
; %bb.2343:                             ;   in Loop: Header=BB0_1755 Depth=1
	s_or_b32 exec_lo, exec_lo, s12
	s_add_co_i32 s6, s4, 0x54
	s_mov_b32 s1, s5
	s_bfe_u32 s0, s6, 0x100003
	v_dual_mov_b32 v0, s6 :: v_dual_mov_b32 v1, s6
	s_mulk_i32 s0, 0x20c5
	v_dual_mov_b32 v3, s6 :: v_dual_mov_b32 v14, 0
	s_lshr_b32 s0, s0, 20
	s_mov_b32 s7, s5
	s_mulk_i32 s0, 0x3e8
	s_mov_b32 s12, 0
	s_sub_co_i32 s0, s6, s0
	s_delay_alu instid0(SALU_CYCLE_1) | instskip(NEXT) | instid1(SALU_CYCLE_1)
	s_and_b32 s0, s0, 0xffff
	s_lshl_b32 s0, s0, 12
	s_delay_alu instid0(SALU_CYCLE_1)
	v_add_nc_u64_e32 v[4:5], s[0:1], v[10:11]
	v_add_nc_u64_e32 v[8:9], s[0:1], v[12:13]
	global_store_b128 v[4:5], v[0:3], off th:TH_STORE_NT
.LBB0_2344:                             ;   Parent Loop BB0_1755 Depth=1
                                        ; =>  This Inner Loop Header: Depth=2
	s_wait_loadcnt 0x0
	global_load_b128 v[4:7], v[8:9], off th:TH_LOAD_NT
	v_add_nc_u32_e32 v14, 1, v14
	s_mov_b32 s1, -1
	s_mov_b32 s14, -1
	s_mov_b32 s15, exec_lo
	s_wait_xcnt 0x0
	v_cmpx_eq_u32_e32 0xf4240, v14
	s_cbranch_execz .LBB0_2346
; %bb.2345:                             ;   in Loop: Header=BB0_2344 Depth=2
	s_wait_loadcnt 0x0
	s_wait_storecnt 0x0
	global_load_b32 v0, v2, s[10:11] scope:SCOPE_SYS
	s_wait_loadcnt 0x0
	global_inv scope:SCOPE_SYS
	v_mov_b32_e32 v14, 0
	v_cmp_eq_u32_e64 s0, 0, v0
	s_or_not1_b32 s14, s0, exec_lo
.LBB0_2346:                             ;   in Loop: Header=BB0_2344 Depth=2
	s_wait_xcnt 0x0
	s_or_b32 exec_lo, exec_lo, s15
	s_and_saveexec_b32 s15, s14
	s_cbranch_execz .LBB0_2348
; %bb.2347:                             ;   in Loop: Header=BB0_2344 Depth=2
	s_wait_loadcnt 0x0
	v_cmp_eq_u32_e64 s0, s6, v5
	v_cmp_eq_u32_e64 s1, s6, v7
	s_and_b32 s0, s0, s1
	s_delay_alu instid0(SALU_CYCLE_1)
	s_or_not1_b32 s1, s0, exec_lo
.LBB0_2348:                             ;   in Loop: Header=BB0_2344 Depth=2
	s_or_b32 exec_lo, exec_lo, s15
	s_delay_alu instid0(SALU_CYCLE_1) | instskip(NEXT) | instid1(SALU_CYCLE_1)
	s_and_b32 s0, exec_lo, s1
	s_or_b32 s13, s0, s13
	s_delay_alu instid0(SALU_CYCLE_1)
	s_and_not1_b32 exec_lo, exec_lo, s13
	s_cbranch_execnz .LBB0_2344
; %bb.2349:                             ;   in Loop: Header=BB0_2344 Depth=2
	s_or_b32 exec_lo, exec_lo, s13
	s_wait_loadcnt 0x0
	v_dual_mov_b32 v5, v6 :: v_dual_mov_b32 v14, 0
	s_mov_b32 s13, 0
	s_delay_alu instid0(VALU_DEP_1) | instskip(SKIP_1) | instid1(SALU_CYCLE_1)
	v_cmp_eq_u64_e64 s0, s[6:7], v[4:5]
	s_or_b32 s12, s0, s12
	s_and_not1_b32 exec_lo, exec_lo, s12
	s_cbranch_execnz .LBB0_2344
; %bb.2350:                             ;   in Loop: Header=BB0_1755 Depth=1
	s_or_b32 exec_lo, exec_lo, s12
	s_add_co_i32 s6, s4, 0x55
	s_mov_b32 s1, s5
	s_bfe_u32 s0, s6, 0x100003
	v_dual_mov_b32 v0, s6 :: v_dual_mov_b32 v1, s6
	s_mulk_i32 s0, 0x20c5
	v_dual_mov_b32 v3, s6 :: v_dual_mov_b32 v14, 0
	s_lshr_b32 s0, s0, 20
	s_mov_b32 s7, s5
	s_mulk_i32 s0, 0x3e8
	s_mov_b32 s12, 0
	s_sub_co_i32 s0, s6, s0
	s_delay_alu instid0(SALU_CYCLE_1) | instskip(NEXT) | instid1(SALU_CYCLE_1)
	s_and_b32 s0, s0, 0xffff
	s_lshl_b32 s0, s0, 12
	s_delay_alu instid0(SALU_CYCLE_1)
	v_add_nc_u64_e32 v[4:5], s[0:1], v[10:11]
	v_add_nc_u64_e32 v[8:9], s[0:1], v[12:13]
	global_store_b128 v[4:5], v[0:3], off th:TH_STORE_NT
.LBB0_2351:                             ;   Parent Loop BB0_1755 Depth=1
                                        ; =>  This Inner Loop Header: Depth=2
	s_wait_loadcnt 0x0
	global_load_b128 v[4:7], v[8:9], off th:TH_LOAD_NT
	v_add_nc_u32_e32 v14, 1, v14
	s_mov_b32 s1, -1
	s_mov_b32 s14, -1
	s_mov_b32 s15, exec_lo
	s_wait_xcnt 0x0
	v_cmpx_eq_u32_e32 0xf4240, v14
	s_cbranch_execz .LBB0_2353
; %bb.2352:                             ;   in Loop: Header=BB0_2351 Depth=2
	s_wait_loadcnt 0x0
	s_wait_storecnt 0x0
	global_load_b32 v0, v2, s[10:11] scope:SCOPE_SYS
	s_wait_loadcnt 0x0
	global_inv scope:SCOPE_SYS
	v_mov_b32_e32 v14, 0
	v_cmp_eq_u32_e64 s0, 0, v0
	s_or_not1_b32 s14, s0, exec_lo
.LBB0_2353:                             ;   in Loop: Header=BB0_2351 Depth=2
	s_wait_xcnt 0x0
	s_or_b32 exec_lo, exec_lo, s15
	s_and_saveexec_b32 s15, s14
	s_cbranch_execz .LBB0_2355
; %bb.2354:                             ;   in Loop: Header=BB0_2351 Depth=2
	s_wait_loadcnt 0x0
	v_cmp_eq_u32_e64 s0, s6, v5
	v_cmp_eq_u32_e64 s1, s6, v7
	s_and_b32 s0, s0, s1
	s_delay_alu instid0(SALU_CYCLE_1)
	s_or_not1_b32 s1, s0, exec_lo
.LBB0_2355:                             ;   in Loop: Header=BB0_2351 Depth=2
	s_or_b32 exec_lo, exec_lo, s15
	s_delay_alu instid0(SALU_CYCLE_1) | instskip(NEXT) | instid1(SALU_CYCLE_1)
	s_and_b32 s0, exec_lo, s1
	s_or_b32 s13, s0, s13
	s_delay_alu instid0(SALU_CYCLE_1)
	s_and_not1_b32 exec_lo, exec_lo, s13
	s_cbranch_execnz .LBB0_2351
; %bb.2356:                             ;   in Loop: Header=BB0_2351 Depth=2
	s_or_b32 exec_lo, exec_lo, s13
	s_wait_loadcnt 0x0
	v_dual_mov_b32 v5, v6 :: v_dual_mov_b32 v14, 0
	s_mov_b32 s13, 0
	s_delay_alu instid0(VALU_DEP_1) | instskip(SKIP_1) | instid1(SALU_CYCLE_1)
	v_cmp_eq_u64_e64 s0, s[6:7], v[4:5]
	s_or_b32 s12, s0, s12
	s_and_not1_b32 exec_lo, exec_lo, s12
	s_cbranch_execnz .LBB0_2351
; %bb.2357:                             ;   in Loop: Header=BB0_1755 Depth=1
	s_or_b32 exec_lo, exec_lo, s12
	s_add_co_i32 s6, s4, 0x56
	s_mov_b32 s1, s5
	s_bfe_u32 s0, s6, 0x100003
	v_dual_mov_b32 v0, s6 :: v_dual_mov_b32 v1, s6
	s_mulk_i32 s0, 0x20c5
	v_dual_mov_b32 v3, s6 :: v_dual_mov_b32 v14, 0
	s_lshr_b32 s0, s0, 20
	s_mov_b32 s7, s5
	s_mulk_i32 s0, 0x3e8
	s_mov_b32 s12, 0
	s_sub_co_i32 s0, s6, s0
	s_delay_alu instid0(SALU_CYCLE_1) | instskip(NEXT) | instid1(SALU_CYCLE_1)
	s_and_b32 s0, s0, 0xffff
	s_lshl_b32 s0, s0, 12
	s_delay_alu instid0(SALU_CYCLE_1)
	v_add_nc_u64_e32 v[4:5], s[0:1], v[10:11]
	v_add_nc_u64_e32 v[8:9], s[0:1], v[12:13]
	global_store_b128 v[4:5], v[0:3], off th:TH_STORE_NT
.LBB0_2358:                             ;   Parent Loop BB0_1755 Depth=1
                                        ; =>  This Inner Loop Header: Depth=2
	s_wait_loadcnt 0x0
	global_load_b128 v[4:7], v[8:9], off th:TH_LOAD_NT
	v_add_nc_u32_e32 v14, 1, v14
	s_mov_b32 s1, -1
	s_mov_b32 s14, -1
	s_mov_b32 s15, exec_lo
	s_wait_xcnt 0x0
	v_cmpx_eq_u32_e32 0xf4240, v14
	s_cbranch_execz .LBB0_2360
; %bb.2359:                             ;   in Loop: Header=BB0_2358 Depth=2
	s_wait_loadcnt 0x0
	s_wait_storecnt 0x0
	global_load_b32 v0, v2, s[10:11] scope:SCOPE_SYS
	s_wait_loadcnt 0x0
	global_inv scope:SCOPE_SYS
	v_mov_b32_e32 v14, 0
	v_cmp_eq_u32_e64 s0, 0, v0
	s_or_not1_b32 s14, s0, exec_lo
.LBB0_2360:                             ;   in Loop: Header=BB0_2358 Depth=2
	s_wait_xcnt 0x0
	s_or_b32 exec_lo, exec_lo, s15
	s_and_saveexec_b32 s15, s14
	s_cbranch_execz .LBB0_2362
; %bb.2361:                             ;   in Loop: Header=BB0_2358 Depth=2
	s_wait_loadcnt 0x0
	v_cmp_eq_u32_e64 s0, s6, v5
	v_cmp_eq_u32_e64 s1, s6, v7
	s_and_b32 s0, s0, s1
	s_delay_alu instid0(SALU_CYCLE_1)
	s_or_not1_b32 s1, s0, exec_lo
.LBB0_2362:                             ;   in Loop: Header=BB0_2358 Depth=2
	s_or_b32 exec_lo, exec_lo, s15
	s_delay_alu instid0(SALU_CYCLE_1) | instskip(NEXT) | instid1(SALU_CYCLE_1)
	s_and_b32 s0, exec_lo, s1
	s_or_b32 s13, s0, s13
	s_delay_alu instid0(SALU_CYCLE_1)
	s_and_not1_b32 exec_lo, exec_lo, s13
	s_cbranch_execnz .LBB0_2358
; %bb.2363:                             ;   in Loop: Header=BB0_2358 Depth=2
	s_or_b32 exec_lo, exec_lo, s13
	s_wait_loadcnt 0x0
	v_dual_mov_b32 v5, v6 :: v_dual_mov_b32 v14, 0
	s_mov_b32 s13, 0
	s_delay_alu instid0(VALU_DEP_1) | instskip(SKIP_1) | instid1(SALU_CYCLE_1)
	v_cmp_eq_u64_e64 s0, s[6:7], v[4:5]
	s_or_b32 s12, s0, s12
	s_and_not1_b32 exec_lo, exec_lo, s12
	s_cbranch_execnz .LBB0_2358
; %bb.2364:                             ;   in Loop: Header=BB0_1755 Depth=1
	s_or_b32 exec_lo, exec_lo, s12
	s_add_co_i32 s6, s4, 0x57
	s_mov_b32 s1, s5
	s_bfe_u32 s0, s6, 0x100003
	v_dual_mov_b32 v0, s6 :: v_dual_mov_b32 v1, s6
	s_mulk_i32 s0, 0x20c5
	v_dual_mov_b32 v3, s6 :: v_dual_mov_b32 v14, 0
	s_lshr_b32 s0, s0, 20
	s_mov_b32 s7, s5
	s_mulk_i32 s0, 0x3e8
	s_mov_b32 s12, 0
	s_sub_co_i32 s0, s6, s0
	s_delay_alu instid0(SALU_CYCLE_1) | instskip(NEXT) | instid1(SALU_CYCLE_1)
	s_and_b32 s0, s0, 0xffff
	s_lshl_b32 s0, s0, 12
	s_delay_alu instid0(SALU_CYCLE_1)
	v_add_nc_u64_e32 v[4:5], s[0:1], v[10:11]
	v_add_nc_u64_e32 v[8:9], s[0:1], v[12:13]
	global_store_b128 v[4:5], v[0:3], off th:TH_STORE_NT
.LBB0_2365:                             ;   Parent Loop BB0_1755 Depth=1
                                        ; =>  This Inner Loop Header: Depth=2
	s_wait_loadcnt 0x0
	global_load_b128 v[4:7], v[8:9], off th:TH_LOAD_NT
	v_add_nc_u32_e32 v14, 1, v14
	s_mov_b32 s1, -1
	s_mov_b32 s14, -1
	s_mov_b32 s15, exec_lo
	s_wait_xcnt 0x0
	v_cmpx_eq_u32_e32 0xf4240, v14
	s_cbranch_execz .LBB0_2367
; %bb.2366:                             ;   in Loop: Header=BB0_2365 Depth=2
	s_wait_loadcnt 0x0
	s_wait_storecnt 0x0
	global_load_b32 v0, v2, s[10:11] scope:SCOPE_SYS
	s_wait_loadcnt 0x0
	global_inv scope:SCOPE_SYS
	v_mov_b32_e32 v14, 0
	v_cmp_eq_u32_e64 s0, 0, v0
	s_or_not1_b32 s14, s0, exec_lo
.LBB0_2367:                             ;   in Loop: Header=BB0_2365 Depth=2
	s_wait_xcnt 0x0
	s_or_b32 exec_lo, exec_lo, s15
	s_and_saveexec_b32 s15, s14
	s_cbranch_execz .LBB0_2369
; %bb.2368:                             ;   in Loop: Header=BB0_2365 Depth=2
	s_wait_loadcnt 0x0
	v_cmp_eq_u32_e64 s0, s6, v5
	v_cmp_eq_u32_e64 s1, s6, v7
	s_and_b32 s0, s0, s1
	s_delay_alu instid0(SALU_CYCLE_1)
	s_or_not1_b32 s1, s0, exec_lo
.LBB0_2369:                             ;   in Loop: Header=BB0_2365 Depth=2
	s_or_b32 exec_lo, exec_lo, s15
	s_delay_alu instid0(SALU_CYCLE_1) | instskip(NEXT) | instid1(SALU_CYCLE_1)
	s_and_b32 s0, exec_lo, s1
	s_or_b32 s13, s0, s13
	s_delay_alu instid0(SALU_CYCLE_1)
	s_and_not1_b32 exec_lo, exec_lo, s13
	s_cbranch_execnz .LBB0_2365
; %bb.2370:                             ;   in Loop: Header=BB0_2365 Depth=2
	s_or_b32 exec_lo, exec_lo, s13
	s_wait_loadcnt 0x0
	v_dual_mov_b32 v5, v6 :: v_dual_mov_b32 v14, 0
	s_mov_b32 s13, 0
	s_delay_alu instid0(VALU_DEP_1) | instskip(SKIP_1) | instid1(SALU_CYCLE_1)
	v_cmp_eq_u64_e64 s0, s[6:7], v[4:5]
	s_or_b32 s12, s0, s12
	s_and_not1_b32 exec_lo, exec_lo, s12
	s_cbranch_execnz .LBB0_2365
; %bb.2371:                             ;   in Loop: Header=BB0_1755 Depth=1
	s_or_b32 exec_lo, exec_lo, s12
	s_add_co_i32 s6, s4, 0x58
	s_mov_b32 s1, s5
	s_bfe_u32 s0, s6, 0x100003
	v_dual_mov_b32 v0, s6 :: v_dual_mov_b32 v1, s6
	s_mulk_i32 s0, 0x20c5
	v_dual_mov_b32 v3, s6 :: v_dual_mov_b32 v14, 0
	s_lshr_b32 s0, s0, 20
	s_mov_b32 s7, s5
	s_mulk_i32 s0, 0x3e8
	s_mov_b32 s12, 0
	s_sub_co_i32 s0, s6, s0
	s_delay_alu instid0(SALU_CYCLE_1) | instskip(NEXT) | instid1(SALU_CYCLE_1)
	s_and_b32 s0, s0, 0xffff
	s_lshl_b32 s0, s0, 12
	s_delay_alu instid0(SALU_CYCLE_1)
	v_add_nc_u64_e32 v[4:5], s[0:1], v[10:11]
	v_add_nc_u64_e32 v[8:9], s[0:1], v[12:13]
	global_store_b128 v[4:5], v[0:3], off th:TH_STORE_NT
.LBB0_2372:                             ;   Parent Loop BB0_1755 Depth=1
                                        ; =>  This Inner Loop Header: Depth=2
	s_wait_loadcnt 0x0
	global_load_b128 v[4:7], v[8:9], off th:TH_LOAD_NT
	v_add_nc_u32_e32 v14, 1, v14
	s_mov_b32 s1, -1
	s_mov_b32 s14, -1
	s_mov_b32 s15, exec_lo
	s_wait_xcnt 0x0
	v_cmpx_eq_u32_e32 0xf4240, v14
	s_cbranch_execz .LBB0_2374
; %bb.2373:                             ;   in Loop: Header=BB0_2372 Depth=2
	s_wait_loadcnt 0x0
	s_wait_storecnt 0x0
	global_load_b32 v0, v2, s[10:11] scope:SCOPE_SYS
	s_wait_loadcnt 0x0
	global_inv scope:SCOPE_SYS
	v_mov_b32_e32 v14, 0
	v_cmp_eq_u32_e64 s0, 0, v0
	s_or_not1_b32 s14, s0, exec_lo
.LBB0_2374:                             ;   in Loop: Header=BB0_2372 Depth=2
	s_wait_xcnt 0x0
	s_or_b32 exec_lo, exec_lo, s15
	s_and_saveexec_b32 s15, s14
	s_cbranch_execz .LBB0_2376
; %bb.2375:                             ;   in Loop: Header=BB0_2372 Depth=2
	s_wait_loadcnt 0x0
	v_cmp_eq_u32_e64 s0, s6, v5
	v_cmp_eq_u32_e64 s1, s6, v7
	s_and_b32 s0, s0, s1
	s_delay_alu instid0(SALU_CYCLE_1)
	s_or_not1_b32 s1, s0, exec_lo
.LBB0_2376:                             ;   in Loop: Header=BB0_2372 Depth=2
	s_or_b32 exec_lo, exec_lo, s15
	s_delay_alu instid0(SALU_CYCLE_1) | instskip(NEXT) | instid1(SALU_CYCLE_1)
	s_and_b32 s0, exec_lo, s1
	s_or_b32 s13, s0, s13
	s_delay_alu instid0(SALU_CYCLE_1)
	s_and_not1_b32 exec_lo, exec_lo, s13
	s_cbranch_execnz .LBB0_2372
; %bb.2377:                             ;   in Loop: Header=BB0_2372 Depth=2
	s_or_b32 exec_lo, exec_lo, s13
	s_wait_loadcnt 0x0
	v_dual_mov_b32 v5, v6 :: v_dual_mov_b32 v14, 0
	s_mov_b32 s13, 0
	s_delay_alu instid0(VALU_DEP_1) | instskip(SKIP_1) | instid1(SALU_CYCLE_1)
	v_cmp_eq_u64_e64 s0, s[6:7], v[4:5]
	s_or_b32 s12, s0, s12
	s_and_not1_b32 exec_lo, exec_lo, s12
	s_cbranch_execnz .LBB0_2372
; %bb.2378:                             ;   in Loop: Header=BB0_1755 Depth=1
	s_or_b32 exec_lo, exec_lo, s12
	s_add_co_i32 s6, s4, 0x59
	s_mov_b32 s1, s5
	s_bfe_u32 s0, s6, 0x100003
	v_dual_mov_b32 v0, s6 :: v_dual_mov_b32 v1, s6
	s_mulk_i32 s0, 0x20c5
	v_dual_mov_b32 v3, s6 :: v_dual_mov_b32 v14, 0
	s_lshr_b32 s0, s0, 20
	s_mov_b32 s7, s5
	s_mulk_i32 s0, 0x3e8
	s_mov_b32 s12, 0
	s_sub_co_i32 s0, s6, s0
	s_delay_alu instid0(SALU_CYCLE_1) | instskip(NEXT) | instid1(SALU_CYCLE_1)
	s_and_b32 s0, s0, 0xffff
	s_lshl_b32 s0, s0, 12
	s_delay_alu instid0(SALU_CYCLE_1)
	v_add_nc_u64_e32 v[4:5], s[0:1], v[10:11]
	v_add_nc_u64_e32 v[8:9], s[0:1], v[12:13]
	global_store_b128 v[4:5], v[0:3], off th:TH_STORE_NT
.LBB0_2379:                             ;   Parent Loop BB0_1755 Depth=1
                                        ; =>  This Inner Loop Header: Depth=2
	s_wait_loadcnt 0x0
	global_load_b128 v[4:7], v[8:9], off th:TH_LOAD_NT
	v_add_nc_u32_e32 v14, 1, v14
	s_mov_b32 s1, -1
	s_mov_b32 s14, -1
	s_mov_b32 s15, exec_lo
	s_wait_xcnt 0x0
	v_cmpx_eq_u32_e32 0xf4240, v14
	s_cbranch_execz .LBB0_2381
; %bb.2380:                             ;   in Loop: Header=BB0_2379 Depth=2
	s_wait_loadcnt 0x0
	s_wait_storecnt 0x0
	global_load_b32 v0, v2, s[10:11] scope:SCOPE_SYS
	s_wait_loadcnt 0x0
	global_inv scope:SCOPE_SYS
	v_mov_b32_e32 v14, 0
	v_cmp_eq_u32_e64 s0, 0, v0
	s_or_not1_b32 s14, s0, exec_lo
.LBB0_2381:                             ;   in Loop: Header=BB0_2379 Depth=2
	s_wait_xcnt 0x0
	s_or_b32 exec_lo, exec_lo, s15
	s_and_saveexec_b32 s15, s14
	s_cbranch_execz .LBB0_2383
; %bb.2382:                             ;   in Loop: Header=BB0_2379 Depth=2
	s_wait_loadcnt 0x0
	v_cmp_eq_u32_e64 s0, s6, v5
	v_cmp_eq_u32_e64 s1, s6, v7
	s_and_b32 s0, s0, s1
	s_delay_alu instid0(SALU_CYCLE_1)
	s_or_not1_b32 s1, s0, exec_lo
.LBB0_2383:                             ;   in Loop: Header=BB0_2379 Depth=2
	s_or_b32 exec_lo, exec_lo, s15
	s_delay_alu instid0(SALU_CYCLE_1) | instskip(NEXT) | instid1(SALU_CYCLE_1)
	s_and_b32 s0, exec_lo, s1
	s_or_b32 s13, s0, s13
	s_delay_alu instid0(SALU_CYCLE_1)
	s_and_not1_b32 exec_lo, exec_lo, s13
	s_cbranch_execnz .LBB0_2379
; %bb.2384:                             ;   in Loop: Header=BB0_2379 Depth=2
	s_or_b32 exec_lo, exec_lo, s13
	s_wait_loadcnt 0x0
	v_dual_mov_b32 v5, v6 :: v_dual_mov_b32 v14, 0
	s_mov_b32 s13, 0
	s_delay_alu instid0(VALU_DEP_1) | instskip(SKIP_1) | instid1(SALU_CYCLE_1)
	v_cmp_eq_u64_e64 s0, s[6:7], v[4:5]
	s_or_b32 s12, s0, s12
	s_and_not1_b32 exec_lo, exec_lo, s12
	s_cbranch_execnz .LBB0_2379
; %bb.2385:                             ;   in Loop: Header=BB0_1755 Depth=1
	s_or_b32 exec_lo, exec_lo, s12
	s_add_co_i32 s6, s4, 0x5a
	s_mov_b32 s1, s5
	s_bfe_u32 s0, s6, 0x100003
	v_dual_mov_b32 v0, s6 :: v_dual_mov_b32 v1, s6
	s_mulk_i32 s0, 0x20c5
	v_dual_mov_b32 v3, s6 :: v_dual_mov_b32 v14, 0
	s_lshr_b32 s0, s0, 20
	s_mov_b32 s7, s5
	s_mulk_i32 s0, 0x3e8
	s_mov_b32 s12, 0
	s_sub_co_i32 s0, s6, s0
	s_delay_alu instid0(SALU_CYCLE_1) | instskip(NEXT) | instid1(SALU_CYCLE_1)
	s_and_b32 s0, s0, 0xffff
	s_lshl_b32 s0, s0, 12
	s_delay_alu instid0(SALU_CYCLE_1)
	v_add_nc_u64_e32 v[4:5], s[0:1], v[10:11]
	v_add_nc_u64_e32 v[8:9], s[0:1], v[12:13]
	global_store_b128 v[4:5], v[0:3], off th:TH_STORE_NT
.LBB0_2386:                             ;   Parent Loop BB0_1755 Depth=1
                                        ; =>  This Inner Loop Header: Depth=2
	s_wait_loadcnt 0x0
	global_load_b128 v[4:7], v[8:9], off th:TH_LOAD_NT
	v_add_nc_u32_e32 v14, 1, v14
	s_mov_b32 s1, -1
	s_mov_b32 s14, -1
	s_mov_b32 s15, exec_lo
	s_wait_xcnt 0x0
	v_cmpx_eq_u32_e32 0xf4240, v14
	s_cbranch_execz .LBB0_2388
; %bb.2387:                             ;   in Loop: Header=BB0_2386 Depth=2
	s_wait_loadcnt 0x0
	s_wait_storecnt 0x0
	global_load_b32 v0, v2, s[10:11] scope:SCOPE_SYS
	s_wait_loadcnt 0x0
	global_inv scope:SCOPE_SYS
	v_mov_b32_e32 v14, 0
	v_cmp_eq_u32_e64 s0, 0, v0
	s_or_not1_b32 s14, s0, exec_lo
.LBB0_2388:                             ;   in Loop: Header=BB0_2386 Depth=2
	s_wait_xcnt 0x0
	s_or_b32 exec_lo, exec_lo, s15
	s_and_saveexec_b32 s15, s14
	s_cbranch_execz .LBB0_2390
; %bb.2389:                             ;   in Loop: Header=BB0_2386 Depth=2
	s_wait_loadcnt 0x0
	v_cmp_eq_u32_e64 s0, s6, v5
	v_cmp_eq_u32_e64 s1, s6, v7
	s_and_b32 s0, s0, s1
	s_delay_alu instid0(SALU_CYCLE_1)
	s_or_not1_b32 s1, s0, exec_lo
.LBB0_2390:                             ;   in Loop: Header=BB0_2386 Depth=2
	s_or_b32 exec_lo, exec_lo, s15
	s_delay_alu instid0(SALU_CYCLE_1) | instskip(NEXT) | instid1(SALU_CYCLE_1)
	s_and_b32 s0, exec_lo, s1
	s_or_b32 s13, s0, s13
	s_delay_alu instid0(SALU_CYCLE_1)
	s_and_not1_b32 exec_lo, exec_lo, s13
	s_cbranch_execnz .LBB0_2386
; %bb.2391:                             ;   in Loop: Header=BB0_2386 Depth=2
	s_or_b32 exec_lo, exec_lo, s13
	s_wait_loadcnt 0x0
	v_dual_mov_b32 v5, v6 :: v_dual_mov_b32 v14, 0
	s_mov_b32 s13, 0
	s_delay_alu instid0(VALU_DEP_1) | instskip(SKIP_1) | instid1(SALU_CYCLE_1)
	v_cmp_eq_u64_e64 s0, s[6:7], v[4:5]
	s_or_b32 s12, s0, s12
	s_and_not1_b32 exec_lo, exec_lo, s12
	s_cbranch_execnz .LBB0_2386
; %bb.2392:                             ;   in Loop: Header=BB0_1755 Depth=1
	s_or_b32 exec_lo, exec_lo, s12
	s_add_co_i32 s6, s4, 0x5b
	s_mov_b32 s1, s5
	s_bfe_u32 s0, s6, 0x100003
	v_dual_mov_b32 v0, s6 :: v_dual_mov_b32 v1, s6
	s_mulk_i32 s0, 0x20c5
	v_dual_mov_b32 v3, s6 :: v_dual_mov_b32 v14, 0
	s_lshr_b32 s0, s0, 20
	s_mov_b32 s7, s5
	s_mulk_i32 s0, 0x3e8
	s_mov_b32 s12, 0
	s_sub_co_i32 s0, s6, s0
	s_delay_alu instid0(SALU_CYCLE_1) | instskip(NEXT) | instid1(SALU_CYCLE_1)
	s_and_b32 s0, s0, 0xffff
	s_lshl_b32 s0, s0, 12
	s_delay_alu instid0(SALU_CYCLE_1)
	v_add_nc_u64_e32 v[4:5], s[0:1], v[10:11]
	v_add_nc_u64_e32 v[8:9], s[0:1], v[12:13]
	global_store_b128 v[4:5], v[0:3], off th:TH_STORE_NT
.LBB0_2393:                             ;   Parent Loop BB0_1755 Depth=1
                                        ; =>  This Inner Loop Header: Depth=2
	s_wait_loadcnt 0x0
	global_load_b128 v[4:7], v[8:9], off th:TH_LOAD_NT
	v_add_nc_u32_e32 v14, 1, v14
	s_mov_b32 s1, -1
	s_mov_b32 s14, -1
	s_mov_b32 s15, exec_lo
	s_wait_xcnt 0x0
	v_cmpx_eq_u32_e32 0xf4240, v14
	s_cbranch_execz .LBB0_2395
; %bb.2394:                             ;   in Loop: Header=BB0_2393 Depth=2
	s_wait_loadcnt 0x0
	s_wait_storecnt 0x0
	global_load_b32 v0, v2, s[10:11] scope:SCOPE_SYS
	s_wait_loadcnt 0x0
	global_inv scope:SCOPE_SYS
	v_mov_b32_e32 v14, 0
	v_cmp_eq_u32_e64 s0, 0, v0
	s_or_not1_b32 s14, s0, exec_lo
.LBB0_2395:                             ;   in Loop: Header=BB0_2393 Depth=2
	s_wait_xcnt 0x0
	s_or_b32 exec_lo, exec_lo, s15
	s_and_saveexec_b32 s15, s14
	s_cbranch_execz .LBB0_2397
; %bb.2396:                             ;   in Loop: Header=BB0_2393 Depth=2
	s_wait_loadcnt 0x0
	v_cmp_eq_u32_e64 s0, s6, v5
	v_cmp_eq_u32_e64 s1, s6, v7
	s_and_b32 s0, s0, s1
	s_delay_alu instid0(SALU_CYCLE_1)
	s_or_not1_b32 s1, s0, exec_lo
.LBB0_2397:                             ;   in Loop: Header=BB0_2393 Depth=2
	s_or_b32 exec_lo, exec_lo, s15
	s_delay_alu instid0(SALU_CYCLE_1) | instskip(NEXT) | instid1(SALU_CYCLE_1)
	s_and_b32 s0, exec_lo, s1
	s_or_b32 s13, s0, s13
	s_delay_alu instid0(SALU_CYCLE_1)
	s_and_not1_b32 exec_lo, exec_lo, s13
	s_cbranch_execnz .LBB0_2393
; %bb.2398:                             ;   in Loop: Header=BB0_2393 Depth=2
	s_or_b32 exec_lo, exec_lo, s13
	s_wait_loadcnt 0x0
	v_dual_mov_b32 v5, v6 :: v_dual_mov_b32 v14, 0
	s_mov_b32 s13, 0
	s_delay_alu instid0(VALU_DEP_1) | instskip(SKIP_1) | instid1(SALU_CYCLE_1)
	v_cmp_eq_u64_e64 s0, s[6:7], v[4:5]
	s_or_b32 s12, s0, s12
	s_and_not1_b32 exec_lo, exec_lo, s12
	s_cbranch_execnz .LBB0_2393
; %bb.2399:                             ;   in Loop: Header=BB0_1755 Depth=1
	s_or_b32 exec_lo, exec_lo, s12
	s_add_co_i32 s6, s4, 0x5c
	s_mov_b32 s1, s5
	s_bfe_u32 s0, s6, 0x100003
	v_dual_mov_b32 v0, s6 :: v_dual_mov_b32 v1, s6
	s_mulk_i32 s0, 0x20c5
	v_dual_mov_b32 v3, s6 :: v_dual_mov_b32 v14, 0
	s_lshr_b32 s0, s0, 20
	s_mov_b32 s7, s5
	s_mulk_i32 s0, 0x3e8
	s_mov_b32 s12, 0
	s_sub_co_i32 s0, s6, s0
	s_delay_alu instid0(SALU_CYCLE_1) | instskip(NEXT) | instid1(SALU_CYCLE_1)
	s_and_b32 s0, s0, 0xffff
	s_lshl_b32 s0, s0, 12
	s_delay_alu instid0(SALU_CYCLE_1)
	v_add_nc_u64_e32 v[4:5], s[0:1], v[10:11]
	v_add_nc_u64_e32 v[8:9], s[0:1], v[12:13]
	global_store_b128 v[4:5], v[0:3], off th:TH_STORE_NT
.LBB0_2400:                             ;   Parent Loop BB0_1755 Depth=1
                                        ; =>  This Inner Loop Header: Depth=2
	s_wait_loadcnt 0x0
	global_load_b128 v[4:7], v[8:9], off th:TH_LOAD_NT
	v_add_nc_u32_e32 v14, 1, v14
	s_mov_b32 s1, -1
	s_mov_b32 s14, -1
	s_mov_b32 s15, exec_lo
	s_wait_xcnt 0x0
	v_cmpx_eq_u32_e32 0xf4240, v14
	s_cbranch_execz .LBB0_2402
; %bb.2401:                             ;   in Loop: Header=BB0_2400 Depth=2
	s_wait_loadcnt 0x0
	s_wait_storecnt 0x0
	global_load_b32 v0, v2, s[10:11] scope:SCOPE_SYS
	s_wait_loadcnt 0x0
	global_inv scope:SCOPE_SYS
	v_mov_b32_e32 v14, 0
	v_cmp_eq_u32_e64 s0, 0, v0
	s_or_not1_b32 s14, s0, exec_lo
.LBB0_2402:                             ;   in Loop: Header=BB0_2400 Depth=2
	s_wait_xcnt 0x0
	s_or_b32 exec_lo, exec_lo, s15
	s_and_saveexec_b32 s15, s14
	s_cbranch_execz .LBB0_2404
; %bb.2403:                             ;   in Loop: Header=BB0_2400 Depth=2
	s_wait_loadcnt 0x0
	v_cmp_eq_u32_e64 s0, s6, v5
	v_cmp_eq_u32_e64 s1, s6, v7
	s_and_b32 s0, s0, s1
	s_delay_alu instid0(SALU_CYCLE_1)
	s_or_not1_b32 s1, s0, exec_lo
.LBB0_2404:                             ;   in Loop: Header=BB0_2400 Depth=2
	s_or_b32 exec_lo, exec_lo, s15
	s_delay_alu instid0(SALU_CYCLE_1) | instskip(NEXT) | instid1(SALU_CYCLE_1)
	s_and_b32 s0, exec_lo, s1
	s_or_b32 s13, s0, s13
	s_delay_alu instid0(SALU_CYCLE_1)
	s_and_not1_b32 exec_lo, exec_lo, s13
	s_cbranch_execnz .LBB0_2400
; %bb.2405:                             ;   in Loop: Header=BB0_2400 Depth=2
	s_or_b32 exec_lo, exec_lo, s13
	s_wait_loadcnt 0x0
	v_dual_mov_b32 v5, v6 :: v_dual_mov_b32 v14, 0
	s_mov_b32 s13, 0
	s_delay_alu instid0(VALU_DEP_1) | instskip(SKIP_1) | instid1(SALU_CYCLE_1)
	v_cmp_eq_u64_e64 s0, s[6:7], v[4:5]
	s_or_b32 s12, s0, s12
	s_and_not1_b32 exec_lo, exec_lo, s12
	s_cbranch_execnz .LBB0_2400
; %bb.2406:                             ;   in Loop: Header=BB0_1755 Depth=1
	s_or_b32 exec_lo, exec_lo, s12
	s_add_co_i32 s6, s4, 0x5d
	s_mov_b32 s1, s5
	s_bfe_u32 s0, s6, 0x100003
	v_dual_mov_b32 v0, s6 :: v_dual_mov_b32 v1, s6
	s_mulk_i32 s0, 0x20c5
	v_dual_mov_b32 v3, s6 :: v_dual_mov_b32 v14, 0
	s_lshr_b32 s0, s0, 20
	s_mov_b32 s7, s5
	s_mulk_i32 s0, 0x3e8
	s_mov_b32 s12, 0
	s_sub_co_i32 s0, s6, s0
	s_delay_alu instid0(SALU_CYCLE_1) | instskip(NEXT) | instid1(SALU_CYCLE_1)
	s_and_b32 s0, s0, 0xffff
	s_lshl_b32 s0, s0, 12
	s_delay_alu instid0(SALU_CYCLE_1)
	v_add_nc_u64_e32 v[4:5], s[0:1], v[10:11]
	v_add_nc_u64_e32 v[8:9], s[0:1], v[12:13]
	global_store_b128 v[4:5], v[0:3], off th:TH_STORE_NT
.LBB0_2407:                             ;   Parent Loop BB0_1755 Depth=1
                                        ; =>  This Inner Loop Header: Depth=2
	s_wait_loadcnt 0x0
	global_load_b128 v[4:7], v[8:9], off th:TH_LOAD_NT
	v_add_nc_u32_e32 v14, 1, v14
	s_mov_b32 s1, -1
	s_mov_b32 s14, -1
	s_mov_b32 s15, exec_lo
	s_wait_xcnt 0x0
	v_cmpx_eq_u32_e32 0xf4240, v14
	s_cbranch_execz .LBB0_2409
; %bb.2408:                             ;   in Loop: Header=BB0_2407 Depth=2
	s_wait_loadcnt 0x0
	s_wait_storecnt 0x0
	global_load_b32 v0, v2, s[10:11] scope:SCOPE_SYS
	s_wait_loadcnt 0x0
	global_inv scope:SCOPE_SYS
	v_mov_b32_e32 v14, 0
	v_cmp_eq_u32_e64 s0, 0, v0
	s_or_not1_b32 s14, s0, exec_lo
.LBB0_2409:                             ;   in Loop: Header=BB0_2407 Depth=2
	s_wait_xcnt 0x0
	s_or_b32 exec_lo, exec_lo, s15
	s_and_saveexec_b32 s15, s14
	s_cbranch_execz .LBB0_2411
; %bb.2410:                             ;   in Loop: Header=BB0_2407 Depth=2
	s_wait_loadcnt 0x0
	v_cmp_eq_u32_e64 s0, s6, v5
	v_cmp_eq_u32_e64 s1, s6, v7
	s_and_b32 s0, s0, s1
	s_delay_alu instid0(SALU_CYCLE_1)
	s_or_not1_b32 s1, s0, exec_lo
.LBB0_2411:                             ;   in Loop: Header=BB0_2407 Depth=2
	s_or_b32 exec_lo, exec_lo, s15
	s_delay_alu instid0(SALU_CYCLE_1) | instskip(NEXT) | instid1(SALU_CYCLE_1)
	s_and_b32 s0, exec_lo, s1
	s_or_b32 s13, s0, s13
	s_delay_alu instid0(SALU_CYCLE_1)
	s_and_not1_b32 exec_lo, exec_lo, s13
	s_cbranch_execnz .LBB0_2407
; %bb.2412:                             ;   in Loop: Header=BB0_2407 Depth=2
	s_or_b32 exec_lo, exec_lo, s13
	s_wait_loadcnt 0x0
	v_dual_mov_b32 v5, v6 :: v_dual_mov_b32 v14, 0
	s_mov_b32 s13, 0
	s_delay_alu instid0(VALU_DEP_1) | instskip(SKIP_1) | instid1(SALU_CYCLE_1)
	v_cmp_eq_u64_e64 s0, s[6:7], v[4:5]
	s_or_b32 s12, s0, s12
	s_and_not1_b32 exec_lo, exec_lo, s12
	s_cbranch_execnz .LBB0_2407
; %bb.2413:                             ;   in Loop: Header=BB0_1755 Depth=1
	s_or_b32 exec_lo, exec_lo, s12
	s_add_co_i32 s6, s4, 0x5e
	s_mov_b32 s1, s5
	s_bfe_u32 s0, s6, 0x100003
	v_dual_mov_b32 v0, s6 :: v_dual_mov_b32 v1, s6
	s_mulk_i32 s0, 0x20c5
	v_dual_mov_b32 v3, s6 :: v_dual_mov_b32 v14, 0
	s_lshr_b32 s0, s0, 20
	s_mov_b32 s7, s5
	s_mulk_i32 s0, 0x3e8
	s_mov_b32 s12, 0
	s_sub_co_i32 s0, s6, s0
	s_delay_alu instid0(SALU_CYCLE_1) | instskip(NEXT) | instid1(SALU_CYCLE_1)
	s_and_b32 s0, s0, 0xffff
	s_lshl_b32 s0, s0, 12
	s_delay_alu instid0(SALU_CYCLE_1)
	v_add_nc_u64_e32 v[4:5], s[0:1], v[10:11]
	v_add_nc_u64_e32 v[8:9], s[0:1], v[12:13]
	global_store_b128 v[4:5], v[0:3], off th:TH_STORE_NT
.LBB0_2414:                             ;   Parent Loop BB0_1755 Depth=1
                                        ; =>  This Inner Loop Header: Depth=2
	s_wait_loadcnt 0x0
	global_load_b128 v[4:7], v[8:9], off th:TH_LOAD_NT
	v_add_nc_u32_e32 v14, 1, v14
	s_mov_b32 s1, -1
	s_mov_b32 s14, -1
	s_mov_b32 s15, exec_lo
	s_wait_xcnt 0x0
	v_cmpx_eq_u32_e32 0xf4240, v14
	s_cbranch_execz .LBB0_2416
; %bb.2415:                             ;   in Loop: Header=BB0_2414 Depth=2
	s_wait_loadcnt 0x0
	s_wait_storecnt 0x0
	global_load_b32 v0, v2, s[10:11] scope:SCOPE_SYS
	s_wait_loadcnt 0x0
	global_inv scope:SCOPE_SYS
	v_mov_b32_e32 v14, 0
	v_cmp_eq_u32_e64 s0, 0, v0
	s_or_not1_b32 s14, s0, exec_lo
.LBB0_2416:                             ;   in Loop: Header=BB0_2414 Depth=2
	s_wait_xcnt 0x0
	s_or_b32 exec_lo, exec_lo, s15
	s_and_saveexec_b32 s15, s14
	s_cbranch_execz .LBB0_2418
; %bb.2417:                             ;   in Loop: Header=BB0_2414 Depth=2
	s_wait_loadcnt 0x0
	v_cmp_eq_u32_e64 s0, s6, v5
	v_cmp_eq_u32_e64 s1, s6, v7
	s_and_b32 s0, s0, s1
	s_delay_alu instid0(SALU_CYCLE_1)
	s_or_not1_b32 s1, s0, exec_lo
.LBB0_2418:                             ;   in Loop: Header=BB0_2414 Depth=2
	s_or_b32 exec_lo, exec_lo, s15
	s_delay_alu instid0(SALU_CYCLE_1) | instskip(NEXT) | instid1(SALU_CYCLE_1)
	s_and_b32 s0, exec_lo, s1
	s_or_b32 s13, s0, s13
	s_delay_alu instid0(SALU_CYCLE_1)
	s_and_not1_b32 exec_lo, exec_lo, s13
	s_cbranch_execnz .LBB0_2414
; %bb.2419:                             ;   in Loop: Header=BB0_2414 Depth=2
	s_or_b32 exec_lo, exec_lo, s13
	s_wait_loadcnt 0x0
	v_dual_mov_b32 v5, v6 :: v_dual_mov_b32 v14, 0
	s_mov_b32 s13, 0
	s_delay_alu instid0(VALU_DEP_1) | instskip(SKIP_1) | instid1(SALU_CYCLE_1)
	v_cmp_eq_u64_e64 s0, s[6:7], v[4:5]
	s_or_b32 s12, s0, s12
	s_and_not1_b32 exec_lo, exec_lo, s12
	s_cbranch_execnz .LBB0_2414
; %bb.2420:                             ;   in Loop: Header=BB0_1755 Depth=1
	s_or_b32 exec_lo, exec_lo, s12
	s_add_co_i32 s6, s4, 0x5f
	s_mov_b32 s1, s5
	s_bfe_u32 s0, s6, 0x100003
	v_dual_mov_b32 v0, s6 :: v_dual_mov_b32 v1, s6
	s_mulk_i32 s0, 0x20c5
	v_dual_mov_b32 v3, s6 :: v_dual_mov_b32 v14, 0
	s_lshr_b32 s0, s0, 20
	s_mov_b32 s7, s5
	s_mulk_i32 s0, 0x3e8
	s_mov_b32 s12, 0
	s_sub_co_i32 s0, s6, s0
	s_delay_alu instid0(SALU_CYCLE_1) | instskip(NEXT) | instid1(SALU_CYCLE_1)
	s_and_b32 s0, s0, 0xffff
	s_lshl_b32 s0, s0, 12
	s_delay_alu instid0(SALU_CYCLE_1)
	v_add_nc_u64_e32 v[4:5], s[0:1], v[10:11]
	v_add_nc_u64_e32 v[8:9], s[0:1], v[12:13]
	global_store_b128 v[4:5], v[0:3], off th:TH_STORE_NT
.LBB0_2421:                             ;   Parent Loop BB0_1755 Depth=1
                                        ; =>  This Inner Loop Header: Depth=2
	s_wait_loadcnt 0x0
	global_load_b128 v[4:7], v[8:9], off th:TH_LOAD_NT
	v_add_nc_u32_e32 v14, 1, v14
	s_mov_b32 s1, -1
	s_mov_b32 s14, -1
	s_mov_b32 s15, exec_lo
	s_wait_xcnt 0x0
	v_cmpx_eq_u32_e32 0xf4240, v14
	s_cbranch_execz .LBB0_2423
; %bb.2422:                             ;   in Loop: Header=BB0_2421 Depth=2
	s_wait_loadcnt 0x0
	s_wait_storecnt 0x0
	global_load_b32 v0, v2, s[10:11] scope:SCOPE_SYS
	s_wait_loadcnt 0x0
	global_inv scope:SCOPE_SYS
	v_mov_b32_e32 v14, 0
	v_cmp_eq_u32_e64 s0, 0, v0
	s_or_not1_b32 s14, s0, exec_lo
.LBB0_2423:                             ;   in Loop: Header=BB0_2421 Depth=2
	s_wait_xcnt 0x0
	s_or_b32 exec_lo, exec_lo, s15
	s_and_saveexec_b32 s15, s14
	s_cbranch_execz .LBB0_2425
; %bb.2424:                             ;   in Loop: Header=BB0_2421 Depth=2
	s_wait_loadcnt 0x0
	v_cmp_eq_u32_e64 s0, s6, v5
	v_cmp_eq_u32_e64 s1, s6, v7
	s_and_b32 s0, s0, s1
	s_delay_alu instid0(SALU_CYCLE_1)
	s_or_not1_b32 s1, s0, exec_lo
.LBB0_2425:                             ;   in Loop: Header=BB0_2421 Depth=2
	s_or_b32 exec_lo, exec_lo, s15
	s_delay_alu instid0(SALU_CYCLE_1) | instskip(NEXT) | instid1(SALU_CYCLE_1)
	s_and_b32 s0, exec_lo, s1
	s_or_b32 s13, s0, s13
	s_delay_alu instid0(SALU_CYCLE_1)
	s_and_not1_b32 exec_lo, exec_lo, s13
	s_cbranch_execnz .LBB0_2421
; %bb.2426:                             ;   in Loop: Header=BB0_2421 Depth=2
	s_or_b32 exec_lo, exec_lo, s13
	s_wait_loadcnt 0x0
	v_dual_mov_b32 v5, v6 :: v_dual_mov_b32 v14, 0
	s_mov_b32 s13, 0
	s_delay_alu instid0(VALU_DEP_1) | instskip(SKIP_1) | instid1(SALU_CYCLE_1)
	v_cmp_eq_u64_e64 s0, s[6:7], v[4:5]
	s_or_b32 s12, s0, s12
	s_and_not1_b32 exec_lo, exec_lo, s12
	s_cbranch_execnz .LBB0_2421
; %bb.2427:                             ;   in Loop: Header=BB0_1755 Depth=1
	s_or_b32 exec_lo, exec_lo, s12
	s_add_co_i32 s6, s4, 0x60
	s_mov_b32 s1, s5
	s_bfe_u32 s0, s6, 0x100003
	v_dual_mov_b32 v0, s6 :: v_dual_mov_b32 v1, s6
	s_mulk_i32 s0, 0x20c5
	v_dual_mov_b32 v3, s6 :: v_dual_mov_b32 v14, 0
	s_lshr_b32 s0, s0, 20
	s_mov_b32 s7, s5
	s_mulk_i32 s0, 0x3e8
	s_mov_b32 s12, 0
	s_sub_co_i32 s0, s6, s0
	s_delay_alu instid0(SALU_CYCLE_1) | instskip(NEXT) | instid1(SALU_CYCLE_1)
	s_and_b32 s0, s0, 0xffff
	s_lshl_b32 s0, s0, 12
	s_delay_alu instid0(SALU_CYCLE_1)
	v_add_nc_u64_e32 v[4:5], s[0:1], v[10:11]
	v_add_nc_u64_e32 v[8:9], s[0:1], v[12:13]
	global_store_b128 v[4:5], v[0:3], off th:TH_STORE_NT
.LBB0_2428:                             ;   Parent Loop BB0_1755 Depth=1
                                        ; =>  This Inner Loop Header: Depth=2
	s_wait_loadcnt 0x0
	global_load_b128 v[4:7], v[8:9], off th:TH_LOAD_NT
	v_add_nc_u32_e32 v14, 1, v14
	s_mov_b32 s1, -1
	s_mov_b32 s14, -1
	s_mov_b32 s15, exec_lo
	s_wait_xcnt 0x0
	v_cmpx_eq_u32_e32 0xf4240, v14
	s_cbranch_execz .LBB0_2430
; %bb.2429:                             ;   in Loop: Header=BB0_2428 Depth=2
	s_wait_loadcnt 0x0
	s_wait_storecnt 0x0
	global_load_b32 v0, v2, s[10:11] scope:SCOPE_SYS
	s_wait_loadcnt 0x0
	global_inv scope:SCOPE_SYS
	v_mov_b32_e32 v14, 0
	v_cmp_eq_u32_e64 s0, 0, v0
	s_or_not1_b32 s14, s0, exec_lo
.LBB0_2430:                             ;   in Loop: Header=BB0_2428 Depth=2
	s_wait_xcnt 0x0
	s_or_b32 exec_lo, exec_lo, s15
	s_and_saveexec_b32 s15, s14
	s_cbranch_execz .LBB0_2432
; %bb.2431:                             ;   in Loop: Header=BB0_2428 Depth=2
	s_wait_loadcnt 0x0
	v_cmp_eq_u32_e64 s0, s6, v5
	v_cmp_eq_u32_e64 s1, s6, v7
	s_and_b32 s0, s0, s1
	s_delay_alu instid0(SALU_CYCLE_1)
	s_or_not1_b32 s1, s0, exec_lo
.LBB0_2432:                             ;   in Loop: Header=BB0_2428 Depth=2
	s_or_b32 exec_lo, exec_lo, s15
	s_delay_alu instid0(SALU_CYCLE_1) | instskip(NEXT) | instid1(SALU_CYCLE_1)
	s_and_b32 s0, exec_lo, s1
	s_or_b32 s13, s0, s13
	s_delay_alu instid0(SALU_CYCLE_1)
	s_and_not1_b32 exec_lo, exec_lo, s13
	s_cbranch_execnz .LBB0_2428
; %bb.2433:                             ;   in Loop: Header=BB0_2428 Depth=2
	s_or_b32 exec_lo, exec_lo, s13
	s_wait_loadcnt 0x0
	v_dual_mov_b32 v5, v6 :: v_dual_mov_b32 v14, 0
	s_mov_b32 s13, 0
	s_delay_alu instid0(VALU_DEP_1) | instskip(SKIP_1) | instid1(SALU_CYCLE_1)
	v_cmp_eq_u64_e64 s0, s[6:7], v[4:5]
	s_or_b32 s12, s0, s12
	s_and_not1_b32 exec_lo, exec_lo, s12
	s_cbranch_execnz .LBB0_2428
; %bb.2434:                             ;   in Loop: Header=BB0_1755 Depth=1
	s_or_b32 exec_lo, exec_lo, s12
	s_add_co_i32 s6, s4, 0x61
	s_mov_b32 s1, s5
	s_bfe_u32 s0, s6, 0x100003
	v_dual_mov_b32 v0, s6 :: v_dual_mov_b32 v1, s6
	s_mulk_i32 s0, 0x20c5
	v_dual_mov_b32 v3, s6 :: v_dual_mov_b32 v14, 0
	s_lshr_b32 s0, s0, 20
	s_mov_b32 s7, s5
	s_mulk_i32 s0, 0x3e8
	s_mov_b32 s12, 0
	s_sub_co_i32 s0, s6, s0
	s_delay_alu instid0(SALU_CYCLE_1) | instskip(NEXT) | instid1(SALU_CYCLE_1)
	s_and_b32 s0, s0, 0xffff
	s_lshl_b32 s0, s0, 12
	s_delay_alu instid0(SALU_CYCLE_1)
	v_add_nc_u64_e32 v[4:5], s[0:1], v[10:11]
	v_add_nc_u64_e32 v[8:9], s[0:1], v[12:13]
	global_store_b128 v[4:5], v[0:3], off th:TH_STORE_NT
.LBB0_2435:                             ;   Parent Loop BB0_1755 Depth=1
                                        ; =>  This Inner Loop Header: Depth=2
	s_wait_loadcnt 0x0
	global_load_b128 v[4:7], v[8:9], off th:TH_LOAD_NT
	v_add_nc_u32_e32 v14, 1, v14
	s_mov_b32 s1, -1
	s_mov_b32 s14, -1
	s_mov_b32 s15, exec_lo
	s_wait_xcnt 0x0
	v_cmpx_eq_u32_e32 0xf4240, v14
	s_cbranch_execz .LBB0_2437
; %bb.2436:                             ;   in Loop: Header=BB0_2435 Depth=2
	s_wait_loadcnt 0x0
	s_wait_storecnt 0x0
	global_load_b32 v0, v2, s[10:11] scope:SCOPE_SYS
	s_wait_loadcnt 0x0
	global_inv scope:SCOPE_SYS
	v_mov_b32_e32 v14, 0
	v_cmp_eq_u32_e64 s0, 0, v0
	s_or_not1_b32 s14, s0, exec_lo
.LBB0_2437:                             ;   in Loop: Header=BB0_2435 Depth=2
	s_wait_xcnt 0x0
	s_or_b32 exec_lo, exec_lo, s15
	s_and_saveexec_b32 s15, s14
	s_cbranch_execz .LBB0_2439
; %bb.2438:                             ;   in Loop: Header=BB0_2435 Depth=2
	s_wait_loadcnt 0x0
	v_cmp_eq_u32_e64 s0, s6, v5
	v_cmp_eq_u32_e64 s1, s6, v7
	s_and_b32 s0, s0, s1
	s_delay_alu instid0(SALU_CYCLE_1)
	s_or_not1_b32 s1, s0, exec_lo
.LBB0_2439:                             ;   in Loop: Header=BB0_2435 Depth=2
	s_or_b32 exec_lo, exec_lo, s15
	s_delay_alu instid0(SALU_CYCLE_1) | instskip(NEXT) | instid1(SALU_CYCLE_1)
	s_and_b32 s0, exec_lo, s1
	s_or_b32 s13, s0, s13
	s_delay_alu instid0(SALU_CYCLE_1)
	s_and_not1_b32 exec_lo, exec_lo, s13
	s_cbranch_execnz .LBB0_2435
; %bb.2440:                             ;   in Loop: Header=BB0_2435 Depth=2
	s_or_b32 exec_lo, exec_lo, s13
	s_wait_loadcnt 0x0
	v_dual_mov_b32 v5, v6 :: v_dual_mov_b32 v14, 0
	s_mov_b32 s13, 0
	s_delay_alu instid0(VALU_DEP_1) | instskip(SKIP_1) | instid1(SALU_CYCLE_1)
	v_cmp_eq_u64_e64 s0, s[6:7], v[4:5]
	s_or_b32 s12, s0, s12
	s_and_not1_b32 exec_lo, exec_lo, s12
	s_cbranch_execnz .LBB0_2435
; %bb.2441:                             ;   in Loop: Header=BB0_1755 Depth=1
	s_or_b32 exec_lo, exec_lo, s12
	s_add_co_i32 s6, s4, 0x62
	s_mov_b32 s1, s5
	s_bfe_u32 s0, s6, 0x100003
	v_dual_mov_b32 v0, s6 :: v_dual_mov_b32 v1, s6
	s_mulk_i32 s0, 0x20c5
	v_dual_mov_b32 v3, s6 :: v_dual_mov_b32 v14, 0
	s_lshr_b32 s0, s0, 20
	s_mov_b32 s7, s5
	s_mulk_i32 s0, 0x3e8
	s_mov_b32 s12, 0
	s_sub_co_i32 s0, s6, s0
	s_delay_alu instid0(SALU_CYCLE_1) | instskip(NEXT) | instid1(SALU_CYCLE_1)
	s_and_b32 s0, s0, 0xffff
	s_lshl_b32 s0, s0, 12
	s_delay_alu instid0(SALU_CYCLE_1)
	v_add_nc_u64_e32 v[4:5], s[0:1], v[10:11]
	v_add_nc_u64_e32 v[8:9], s[0:1], v[12:13]
	global_store_b128 v[4:5], v[0:3], off th:TH_STORE_NT
.LBB0_2442:                             ;   Parent Loop BB0_1755 Depth=1
                                        ; =>  This Inner Loop Header: Depth=2
	s_wait_loadcnt 0x0
	global_load_b128 v[4:7], v[8:9], off th:TH_LOAD_NT
	v_add_nc_u32_e32 v14, 1, v14
	s_mov_b32 s1, -1
	s_mov_b32 s14, -1
	s_mov_b32 s15, exec_lo
	s_wait_xcnt 0x0
	v_cmpx_eq_u32_e32 0xf4240, v14
	s_cbranch_execz .LBB0_2444
; %bb.2443:                             ;   in Loop: Header=BB0_2442 Depth=2
	s_wait_loadcnt 0x0
	s_wait_storecnt 0x0
	global_load_b32 v0, v2, s[10:11] scope:SCOPE_SYS
	s_wait_loadcnt 0x0
	global_inv scope:SCOPE_SYS
	v_mov_b32_e32 v14, 0
	v_cmp_eq_u32_e64 s0, 0, v0
	s_or_not1_b32 s14, s0, exec_lo
.LBB0_2444:                             ;   in Loop: Header=BB0_2442 Depth=2
	s_wait_xcnt 0x0
	s_or_b32 exec_lo, exec_lo, s15
	s_and_saveexec_b32 s15, s14
	s_cbranch_execz .LBB0_2446
; %bb.2445:                             ;   in Loop: Header=BB0_2442 Depth=2
	s_wait_loadcnt 0x0
	v_cmp_eq_u32_e64 s0, s6, v5
	v_cmp_eq_u32_e64 s1, s6, v7
	s_and_b32 s0, s0, s1
	s_delay_alu instid0(SALU_CYCLE_1)
	s_or_not1_b32 s1, s0, exec_lo
.LBB0_2446:                             ;   in Loop: Header=BB0_2442 Depth=2
	s_or_b32 exec_lo, exec_lo, s15
	s_delay_alu instid0(SALU_CYCLE_1) | instskip(NEXT) | instid1(SALU_CYCLE_1)
	s_and_b32 s0, exec_lo, s1
	s_or_b32 s13, s0, s13
	s_delay_alu instid0(SALU_CYCLE_1)
	s_and_not1_b32 exec_lo, exec_lo, s13
	s_cbranch_execnz .LBB0_2442
; %bb.2447:                             ;   in Loop: Header=BB0_2442 Depth=2
	s_or_b32 exec_lo, exec_lo, s13
	s_wait_loadcnt 0x0
	v_dual_mov_b32 v5, v6 :: v_dual_mov_b32 v14, 0
	s_mov_b32 s13, 0
	s_delay_alu instid0(VALU_DEP_1) | instskip(SKIP_1) | instid1(SALU_CYCLE_1)
	v_cmp_eq_u64_e64 s0, s[6:7], v[4:5]
	s_or_b32 s12, s0, s12
	s_and_not1_b32 exec_lo, exec_lo, s12
	s_cbranch_execnz .LBB0_2442
; %bb.2448:                             ;   in Loop: Header=BB0_1755 Depth=1
	s_or_b32 exec_lo, exec_lo, s12
	s_add_co_i32 s6, s4, 0x63
	s_mov_b32 s1, s5
	s_bfe_u32 s0, s6, 0x100003
	v_dual_mov_b32 v0, s6 :: v_dual_mov_b32 v1, s6
	s_mulk_i32 s0, 0x20c5
	v_dual_mov_b32 v3, s6 :: v_dual_mov_b32 v14, 0
	s_lshr_b32 s0, s0, 20
	s_mov_b32 s7, s5
	s_mulk_i32 s0, 0x3e8
	s_mov_b32 s12, 0
	s_sub_co_i32 s0, s6, s0
	s_delay_alu instid0(SALU_CYCLE_1) | instskip(NEXT) | instid1(SALU_CYCLE_1)
	s_and_b32 s0, s0, 0xffff
	s_lshl_b32 s0, s0, 12
	s_delay_alu instid0(SALU_CYCLE_1)
	v_add_nc_u64_e32 v[4:5], s[0:1], v[10:11]
	v_add_nc_u64_e32 v[8:9], s[0:1], v[12:13]
	global_store_b128 v[4:5], v[0:3], off th:TH_STORE_NT
.LBB0_2449:                             ;   Parent Loop BB0_1755 Depth=1
                                        ; =>  This Inner Loop Header: Depth=2
	s_wait_loadcnt 0x0
	global_load_b128 v[4:7], v[8:9], off th:TH_LOAD_NT
	v_add_nc_u32_e32 v14, 1, v14
	s_mov_b32 s1, -1
	s_mov_b32 s14, -1
	s_mov_b32 s15, exec_lo
	s_wait_xcnt 0x0
	v_cmpx_eq_u32_e32 0xf4240, v14
	s_cbranch_execz .LBB0_2451
; %bb.2450:                             ;   in Loop: Header=BB0_2449 Depth=2
	s_wait_loadcnt 0x0
	s_wait_storecnt 0x0
	global_load_b32 v0, v2, s[10:11] scope:SCOPE_SYS
	s_wait_loadcnt 0x0
	global_inv scope:SCOPE_SYS
	v_mov_b32_e32 v14, 0
	v_cmp_eq_u32_e64 s0, 0, v0
	s_or_not1_b32 s14, s0, exec_lo
.LBB0_2451:                             ;   in Loop: Header=BB0_2449 Depth=2
	s_wait_xcnt 0x0
	s_or_b32 exec_lo, exec_lo, s15
	s_and_saveexec_b32 s15, s14
	s_cbranch_execz .LBB0_2453
; %bb.2452:                             ;   in Loop: Header=BB0_2449 Depth=2
	s_wait_loadcnt 0x0
	v_cmp_eq_u32_e64 s0, s6, v5
	v_cmp_eq_u32_e64 s1, s6, v7
	s_and_b32 s0, s0, s1
	s_delay_alu instid0(SALU_CYCLE_1)
	s_or_not1_b32 s1, s0, exec_lo
.LBB0_2453:                             ;   in Loop: Header=BB0_2449 Depth=2
	s_or_b32 exec_lo, exec_lo, s15
	s_delay_alu instid0(SALU_CYCLE_1) | instskip(NEXT) | instid1(SALU_CYCLE_1)
	s_and_b32 s0, exec_lo, s1
	s_or_b32 s13, s0, s13
	s_delay_alu instid0(SALU_CYCLE_1)
	s_and_not1_b32 exec_lo, exec_lo, s13
	s_cbranch_execnz .LBB0_2449
; %bb.2454:                             ;   in Loop: Header=BB0_2449 Depth=2
	s_or_b32 exec_lo, exec_lo, s13
	s_wait_loadcnt 0x0
	v_dual_mov_b32 v5, v6 :: v_dual_mov_b32 v14, 0
	s_mov_b32 s13, 0
	s_delay_alu instid0(VALU_DEP_1) | instskip(SKIP_1) | instid1(SALU_CYCLE_1)
	v_cmp_eq_u64_e64 s0, s[6:7], v[4:5]
	s_or_b32 s12, s0, s12
	s_and_not1_b32 exec_lo, exec_lo, s12
	s_cbranch_execnz .LBB0_2449
; %bb.2455:                             ;   in Loop: Header=BB0_1755 Depth=1
	s_or_b32 exec_lo, exec_lo, s12
	s_add_co_i32 s6, s4, 0x64
	s_mov_b32 s1, s5
	s_bfe_u32 s0, s6, 0x100003
	v_dual_mov_b32 v0, s6 :: v_dual_mov_b32 v1, s6
	s_mulk_i32 s0, 0x20c5
	v_dual_mov_b32 v3, s6 :: v_dual_mov_b32 v14, 0
	s_lshr_b32 s0, s0, 20
	s_mov_b32 s7, s5
	s_mulk_i32 s0, 0x3e8
	s_mov_b32 s12, 0
	s_sub_co_i32 s0, s6, s0
	s_delay_alu instid0(SALU_CYCLE_1) | instskip(NEXT) | instid1(SALU_CYCLE_1)
	s_and_b32 s0, s0, 0xffff
	s_lshl_b32 s0, s0, 12
	s_delay_alu instid0(SALU_CYCLE_1)
	v_add_nc_u64_e32 v[4:5], s[0:1], v[10:11]
	v_add_nc_u64_e32 v[8:9], s[0:1], v[12:13]
	global_store_b128 v[4:5], v[0:3], off th:TH_STORE_NT
.LBB0_2456:                             ;   Parent Loop BB0_1755 Depth=1
                                        ; =>  This Inner Loop Header: Depth=2
	s_wait_loadcnt 0x0
	global_load_b128 v[4:7], v[8:9], off th:TH_LOAD_NT
	v_add_nc_u32_e32 v14, 1, v14
	s_mov_b32 s1, -1
	s_mov_b32 s14, -1
	s_mov_b32 s15, exec_lo
	s_wait_xcnt 0x0
	v_cmpx_eq_u32_e32 0xf4240, v14
	s_cbranch_execz .LBB0_2458
; %bb.2457:                             ;   in Loop: Header=BB0_2456 Depth=2
	s_wait_loadcnt 0x0
	s_wait_storecnt 0x0
	global_load_b32 v0, v2, s[10:11] scope:SCOPE_SYS
	s_wait_loadcnt 0x0
	global_inv scope:SCOPE_SYS
	v_mov_b32_e32 v14, 0
	v_cmp_eq_u32_e64 s0, 0, v0
	s_or_not1_b32 s14, s0, exec_lo
.LBB0_2458:                             ;   in Loop: Header=BB0_2456 Depth=2
	s_wait_xcnt 0x0
	s_or_b32 exec_lo, exec_lo, s15
	s_and_saveexec_b32 s15, s14
	s_cbranch_execz .LBB0_2460
; %bb.2459:                             ;   in Loop: Header=BB0_2456 Depth=2
	s_wait_loadcnt 0x0
	v_cmp_eq_u32_e64 s0, s6, v5
	v_cmp_eq_u32_e64 s1, s6, v7
	s_and_b32 s0, s0, s1
	s_delay_alu instid0(SALU_CYCLE_1)
	s_or_not1_b32 s1, s0, exec_lo
.LBB0_2460:                             ;   in Loop: Header=BB0_2456 Depth=2
	s_or_b32 exec_lo, exec_lo, s15
	s_delay_alu instid0(SALU_CYCLE_1) | instskip(NEXT) | instid1(SALU_CYCLE_1)
	s_and_b32 s0, exec_lo, s1
	s_or_b32 s13, s0, s13
	s_delay_alu instid0(SALU_CYCLE_1)
	s_and_not1_b32 exec_lo, exec_lo, s13
	s_cbranch_execnz .LBB0_2456
; %bb.2461:                             ;   in Loop: Header=BB0_2456 Depth=2
	s_or_b32 exec_lo, exec_lo, s13
	s_wait_loadcnt 0x0
	v_dual_mov_b32 v5, v6 :: v_dual_mov_b32 v14, 0
	s_mov_b32 s13, 0
	s_delay_alu instid0(VALU_DEP_1) | instskip(SKIP_1) | instid1(SALU_CYCLE_1)
	v_cmp_eq_u64_e64 s0, s[6:7], v[4:5]
	s_or_b32 s12, s0, s12
	s_and_not1_b32 exec_lo, exec_lo, s12
	s_cbranch_execnz .LBB0_2456
; %bb.2462:                             ;   in Loop: Header=BB0_1755 Depth=1
	s_or_b32 exec_lo, exec_lo, s12
	s_add_co_i32 s6, s4, 0x65
	s_mov_b32 s1, s5
	s_bfe_u32 s0, s6, 0x100003
	v_dual_mov_b32 v0, s6 :: v_dual_mov_b32 v1, s6
	s_mulk_i32 s0, 0x20c5
	v_dual_mov_b32 v3, s6 :: v_dual_mov_b32 v14, 0
	s_lshr_b32 s0, s0, 20
	s_mov_b32 s7, s5
	s_mulk_i32 s0, 0x3e8
	s_mov_b32 s12, 0
	s_sub_co_i32 s0, s6, s0
	s_delay_alu instid0(SALU_CYCLE_1) | instskip(NEXT) | instid1(SALU_CYCLE_1)
	s_and_b32 s0, s0, 0xffff
	s_lshl_b32 s0, s0, 12
	s_delay_alu instid0(SALU_CYCLE_1)
	v_add_nc_u64_e32 v[4:5], s[0:1], v[10:11]
	v_add_nc_u64_e32 v[8:9], s[0:1], v[12:13]
	global_store_b128 v[4:5], v[0:3], off th:TH_STORE_NT
.LBB0_2463:                             ;   Parent Loop BB0_1755 Depth=1
                                        ; =>  This Inner Loop Header: Depth=2
	s_wait_loadcnt 0x0
	global_load_b128 v[4:7], v[8:9], off th:TH_LOAD_NT
	v_add_nc_u32_e32 v14, 1, v14
	s_mov_b32 s1, -1
	s_mov_b32 s14, -1
	s_mov_b32 s15, exec_lo
	s_wait_xcnt 0x0
	v_cmpx_eq_u32_e32 0xf4240, v14
	s_cbranch_execz .LBB0_2465
; %bb.2464:                             ;   in Loop: Header=BB0_2463 Depth=2
	s_wait_loadcnt 0x0
	s_wait_storecnt 0x0
	global_load_b32 v0, v2, s[10:11] scope:SCOPE_SYS
	s_wait_loadcnt 0x0
	global_inv scope:SCOPE_SYS
	v_mov_b32_e32 v14, 0
	v_cmp_eq_u32_e64 s0, 0, v0
	s_or_not1_b32 s14, s0, exec_lo
.LBB0_2465:                             ;   in Loop: Header=BB0_2463 Depth=2
	s_wait_xcnt 0x0
	s_or_b32 exec_lo, exec_lo, s15
	s_and_saveexec_b32 s15, s14
	s_cbranch_execz .LBB0_2467
; %bb.2466:                             ;   in Loop: Header=BB0_2463 Depth=2
	s_wait_loadcnt 0x0
	v_cmp_eq_u32_e64 s0, s6, v5
	v_cmp_eq_u32_e64 s1, s6, v7
	s_and_b32 s0, s0, s1
	s_delay_alu instid0(SALU_CYCLE_1)
	s_or_not1_b32 s1, s0, exec_lo
.LBB0_2467:                             ;   in Loop: Header=BB0_2463 Depth=2
	s_or_b32 exec_lo, exec_lo, s15
	s_delay_alu instid0(SALU_CYCLE_1) | instskip(NEXT) | instid1(SALU_CYCLE_1)
	s_and_b32 s0, exec_lo, s1
	s_or_b32 s13, s0, s13
	s_delay_alu instid0(SALU_CYCLE_1)
	s_and_not1_b32 exec_lo, exec_lo, s13
	s_cbranch_execnz .LBB0_2463
; %bb.2468:                             ;   in Loop: Header=BB0_2463 Depth=2
	s_or_b32 exec_lo, exec_lo, s13
	s_wait_loadcnt 0x0
	v_dual_mov_b32 v5, v6 :: v_dual_mov_b32 v14, 0
	s_mov_b32 s13, 0
	s_delay_alu instid0(VALU_DEP_1) | instskip(SKIP_1) | instid1(SALU_CYCLE_1)
	v_cmp_eq_u64_e64 s0, s[6:7], v[4:5]
	s_or_b32 s12, s0, s12
	s_and_not1_b32 exec_lo, exec_lo, s12
	s_cbranch_execnz .LBB0_2463
; %bb.2469:                             ;   in Loop: Header=BB0_1755 Depth=1
	s_or_b32 exec_lo, exec_lo, s12
	s_add_co_i32 s6, s4, 0x66
	s_mov_b32 s1, s5
	s_bfe_u32 s0, s6, 0x100003
	v_dual_mov_b32 v0, s6 :: v_dual_mov_b32 v1, s6
	s_mulk_i32 s0, 0x20c5
	v_dual_mov_b32 v3, s6 :: v_dual_mov_b32 v14, 0
	s_lshr_b32 s0, s0, 20
	s_mov_b32 s7, s5
	s_mulk_i32 s0, 0x3e8
	s_mov_b32 s12, 0
	s_sub_co_i32 s0, s6, s0
	s_delay_alu instid0(SALU_CYCLE_1) | instskip(NEXT) | instid1(SALU_CYCLE_1)
	s_and_b32 s0, s0, 0xffff
	s_lshl_b32 s0, s0, 12
	s_delay_alu instid0(SALU_CYCLE_1)
	v_add_nc_u64_e32 v[4:5], s[0:1], v[10:11]
	v_add_nc_u64_e32 v[8:9], s[0:1], v[12:13]
	global_store_b128 v[4:5], v[0:3], off th:TH_STORE_NT
.LBB0_2470:                             ;   Parent Loop BB0_1755 Depth=1
                                        ; =>  This Inner Loop Header: Depth=2
	s_wait_loadcnt 0x0
	global_load_b128 v[4:7], v[8:9], off th:TH_LOAD_NT
	v_add_nc_u32_e32 v14, 1, v14
	s_mov_b32 s1, -1
	s_mov_b32 s14, -1
	s_mov_b32 s15, exec_lo
	s_wait_xcnt 0x0
	v_cmpx_eq_u32_e32 0xf4240, v14
	s_cbranch_execz .LBB0_2472
; %bb.2471:                             ;   in Loop: Header=BB0_2470 Depth=2
	s_wait_loadcnt 0x0
	s_wait_storecnt 0x0
	global_load_b32 v0, v2, s[10:11] scope:SCOPE_SYS
	s_wait_loadcnt 0x0
	global_inv scope:SCOPE_SYS
	v_mov_b32_e32 v14, 0
	v_cmp_eq_u32_e64 s0, 0, v0
	s_or_not1_b32 s14, s0, exec_lo
.LBB0_2472:                             ;   in Loop: Header=BB0_2470 Depth=2
	s_wait_xcnt 0x0
	s_or_b32 exec_lo, exec_lo, s15
	s_and_saveexec_b32 s15, s14
	s_cbranch_execz .LBB0_2474
; %bb.2473:                             ;   in Loop: Header=BB0_2470 Depth=2
	s_wait_loadcnt 0x0
	v_cmp_eq_u32_e64 s0, s6, v5
	v_cmp_eq_u32_e64 s1, s6, v7
	s_and_b32 s0, s0, s1
	s_delay_alu instid0(SALU_CYCLE_1)
	s_or_not1_b32 s1, s0, exec_lo
.LBB0_2474:                             ;   in Loop: Header=BB0_2470 Depth=2
	s_or_b32 exec_lo, exec_lo, s15
	s_delay_alu instid0(SALU_CYCLE_1) | instskip(NEXT) | instid1(SALU_CYCLE_1)
	s_and_b32 s0, exec_lo, s1
	s_or_b32 s13, s0, s13
	s_delay_alu instid0(SALU_CYCLE_1)
	s_and_not1_b32 exec_lo, exec_lo, s13
	s_cbranch_execnz .LBB0_2470
; %bb.2475:                             ;   in Loop: Header=BB0_2470 Depth=2
	s_or_b32 exec_lo, exec_lo, s13
	s_wait_loadcnt 0x0
	v_dual_mov_b32 v5, v6 :: v_dual_mov_b32 v14, 0
	s_mov_b32 s13, 0
	s_delay_alu instid0(VALU_DEP_1) | instskip(SKIP_1) | instid1(SALU_CYCLE_1)
	v_cmp_eq_u64_e64 s0, s[6:7], v[4:5]
	s_or_b32 s12, s0, s12
	s_and_not1_b32 exec_lo, exec_lo, s12
	s_cbranch_execnz .LBB0_2470
; %bb.2476:                             ;   in Loop: Header=BB0_1755 Depth=1
	s_or_b32 exec_lo, exec_lo, s12
	s_add_co_i32 s6, s4, 0x67
	s_mov_b32 s1, s5
	s_bfe_u32 s0, s6, 0x100003
	v_dual_mov_b32 v0, s6 :: v_dual_mov_b32 v1, s6
	s_mulk_i32 s0, 0x20c5
	v_dual_mov_b32 v3, s6 :: v_dual_mov_b32 v14, 0
	s_lshr_b32 s0, s0, 20
	s_mov_b32 s7, s5
	s_mulk_i32 s0, 0x3e8
	s_mov_b32 s12, 0
	s_sub_co_i32 s0, s6, s0
	s_delay_alu instid0(SALU_CYCLE_1) | instskip(NEXT) | instid1(SALU_CYCLE_1)
	s_and_b32 s0, s0, 0xffff
	s_lshl_b32 s0, s0, 12
	s_delay_alu instid0(SALU_CYCLE_1)
	v_add_nc_u64_e32 v[4:5], s[0:1], v[10:11]
	v_add_nc_u64_e32 v[8:9], s[0:1], v[12:13]
	global_store_b128 v[4:5], v[0:3], off th:TH_STORE_NT
.LBB0_2477:                             ;   Parent Loop BB0_1755 Depth=1
                                        ; =>  This Inner Loop Header: Depth=2
	s_wait_loadcnt 0x0
	global_load_b128 v[4:7], v[8:9], off th:TH_LOAD_NT
	v_add_nc_u32_e32 v14, 1, v14
	s_mov_b32 s1, -1
	s_mov_b32 s14, -1
	s_mov_b32 s15, exec_lo
	s_wait_xcnt 0x0
	v_cmpx_eq_u32_e32 0xf4240, v14
	s_cbranch_execz .LBB0_2479
; %bb.2478:                             ;   in Loop: Header=BB0_2477 Depth=2
	s_wait_loadcnt 0x0
	s_wait_storecnt 0x0
	global_load_b32 v0, v2, s[10:11] scope:SCOPE_SYS
	s_wait_loadcnt 0x0
	global_inv scope:SCOPE_SYS
	v_mov_b32_e32 v14, 0
	v_cmp_eq_u32_e64 s0, 0, v0
	s_or_not1_b32 s14, s0, exec_lo
.LBB0_2479:                             ;   in Loop: Header=BB0_2477 Depth=2
	s_wait_xcnt 0x0
	s_or_b32 exec_lo, exec_lo, s15
	s_and_saveexec_b32 s15, s14
	s_cbranch_execz .LBB0_2481
; %bb.2480:                             ;   in Loop: Header=BB0_2477 Depth=2
	s_wait_loadcnt 0x0
	v_cmp_eq_u32_e64 s0, s6, v5
	v_cmp_eq_u32_e64 s1, s6, v7
	s_and_b32 s0, s0, s1
	s_delay_alu instid0(SALU_CYCLE_1)
	s_or_not1_b32 s1, s0, exec_lo
.LBB0_2481:                             ;   in Loop: Header=BB0_2477 Depth=2
	s_or_b32 exec_lo, exec_lo, s15
	s_delay_alu instid0(SALU_CYCLE_1) | instskip(NEXT) | instid1(SALU_CYCLE_1)
	s_and_b32 s0, exec_lo, s1
	s_or_b32 s13, s0, s13
	s_delay_alu instid0(SALU_CYCLE_1)
	s_and_not1_b32 exec_lo, exec_lo, s13
	s_cbranch_execnz .LBB0_2477
; %bb.2482:                             ;   in Loop: Header=BB0_2477 Depth=2
	s_or_b32 exec_lo, exec_lo, s13
	s_wait_loadcnt 0x0
	v_dual_mov_b32 v5, v6 :: v_dual_mov_b32 v14, 0
	s_mov_b32 s13, 0
	s_delay_alu instid0(VALU_DEP_1) | instskip(SKIP_1) | instid1(SALU_CYCLE_1)
	v_cmp_eq_u64_e64 s0, s[6:7], v[4:5]
	s_or_b32 s12, s0, s12
	s_and_not1_b32 exec_lo, exec_lo, s12
	s_cbranch_execnz .LBB0_2477
; %bb.2483:                             ;   in Loop: Header=BB0_1755 Depth=1
	s_or_b32 exec_lo, exec_lo, s12
	s_add_co_i32 s6, s4, 0x68
	s_mov_b32 s1, s5
	s_bfe_u32 s0, s6, 0x100003
	v_dual_mov_b32 v0, s6 :: v_dual_mov_b32 v1, s6
	s_mulk_i32 s0, 0x20c5
	v_dual_mov_b32 v3, s6 :: v_dual_mov_b32 v14, 0
	s_lshr_b32 s0, s0, 20
	s_mov_b32 s7, s5
	s_mulk_i32 s0, 0x3e8
	s_mov_b32 s12, 0
	s_sub_co_i32 s0, s6, s0
	s_delay_alu instid0(SALU_CYCLE_1) | instskip(NEXT) | instid1(SALU_CYCLE_1)
	s_and_b32 s0, s0, 0xffff
	s_lshl_b32 s0, s0, 12
	s_delay_alu instid0(SALU_CYCLE_1)
	v_add_nc_u64_e32 v[4:5], s[0:1], v[10:11]
	v_add_nc_u64_e32 v[8:9], s[0:1], v[12:13]
	global_store_b128 v[4:5], v[0:3], off th:TH_STORE_NT
.LBB0_2484:                             ;   Parent Loop BB0_1755 Depth=1
                                        ; =>  This Inner Loop Header: Depth=2
	s_wait_loadcnt 0x0
	global_load_b128 v[4:7], v[8:9], off th:TH_LOAD_NT
	v_add_nc_u32_e32 v14, 1, v14
	s_mov_b32 s1, -1
	s_mov_b32 s14, -1
	s_mov_b32 s15, exec_lo
	s_wait_xcnt 0x0
	v_cmpx_eq_u32_e32 0xf4240, v14
	s_cbranch_execz .LBB0_2486
; %bb.2485:                             ;   in Loop: Header=BB0_2484 Depth=2
	s_wait_loadcnt 0x0
	s_wait_storecnt 0x0
	global_load_b32 v0, v2, s[10:11] scope:SCOPE_SYS
	s_wait_loadcnt 0x0
	global_inv scope:SCOPE_SYS
	v_mov_b32_e32 v14, 0
	v_cmp_eq_u32_e64 s0, 0, v0
	s_or_not1_b32 s14, s0, exec_lo
.LBB0_2486:                             ;   in Loop: Header=BB0_2484 Depth=2
	s_wait_xcnt 0x0
	s_or_b32 exec_lo, exec_lo, s15
	s_and_saveexec_b32 s15, s14
	s_cbranch_execz .LBB0_2488
; %bb.2487:                             ;   in Loop: Header=BB0_2484 Depth=2
	s_wait_loadcnt 0x0
	v_cmp_eq_u32_e64 s0, s6, v5
	v_cmp_eq_u32_e64 s1, s6, v7
	s_and_b32 s0, s0, s1
	s_delay_alu instid0(SALU_CYCLE_1)
	s_or_not1_b32 s1, s0, exec_lo
.LBB0_2488:                             ;   in Loop: Header=BB0_2484 Depth=2
	s_or_b32 exec_lo, exec_lo, s15
	s_delay_alu instid0(SALU_CYCLE_1) | instskip(NEXT) | instid1(SALU_CYCLE_1)
	s_and_b32 s0, exec_lo, s1
	s_or_b32 s13, s0, s13
	s_delay_alu instid0(SALU_CYCLE_1)
	s_and_not1_b32 exec_lo, exec_lo, s13
	s_cbranch_execnz .LBB0_2484
; %bb.2489:                             ;   in Loop: Header=BB0_2484 Depth=2
	s_or_b32 exec_lo, exec_lo, s13
	s_wait_loadcnt 0x0
	v_dual_mov_b32 v5, v6 :: v_dual_mov_b32 v14, 0
	s_mov_b32 s13, 0
	s_delay_alu instid0(VALU_DEP_1) | instskip(SKIP_1) | instid1(SALU_CYCLE_1)
	v_cmp_eq_u64_e64 s0, s[6:7], v[4:5]
	s_or_b32 s12, s0, s12
	s_and_not1_b32 exec_lo, exec_lo, s12
	s_cbranch_execnz .LBB0_2484
; %bb.2490:                             ;   in Loop: Header=BB0_1755 Depth=1
	s_or_b32 exec_lo, exec_lo, s12
	s_add_co_i32 s6, s4, 0x69
	s_mov_b32 s1, s5
	s_bfe_u32 s0, s6, 0x100003
	v_dual_mov_b32 v0, s6 :: v_dual_mov_b32 v1, s6
	s_mulk_i32 s0, 0x20c5
	v_dual_mov_b32 v3, s6 :: v_dual_mov_b32 v14, 0
	s_lshr_b32 s0, s0, 20
	s_mov_b32 s7, s5
	s_mulk_i32 s0, 0x3e8
	s_mov_b32 s12, 0
	s_sub_co_i32 s0, s6, s0
	s_delay_alu instid0(SALU_CYCLE_1) | instskip(NEXT) | instid1(SALU_CYCLE_1)
	s_and_b32 s0, s0, 0xffff
	s_lshl_b32 s0, s0, 12
	s_delay_alu instid0(SALU_CYCLE_1)
	v_add_nc_u64_e32 v[4:5], s[0:1], v[10:11]
	v_add_nc_u64_e32 v[8:9], s[0:1], v[12:13]
	global_store_b128 v[4:5], v[0:3], off th:TH_STORE_NT
.LBB0_2491:                             ;   Parent Loop BB0_1755 Depth=1
                                        ; =>  This Inner Loop Header: Depth=2
	s_wait_loadcnt 0x0
	global_load_b128 v[4:7], v[8:9], off th:TH_LOAD_NT
	v_add_nc_u32_e32 v14, 1, v14
	s_mov_b32 s1, -1
	s_mov_b32 s14, -1
	s_mov_b32 s15, exec_lo
	s_wait_xcnt 0x0
	v_cmpx_eq_u32_e32 0xf4240, v14
	s_cbranch_execz .LBB0_2493
; %bb.2492:                             ;   in Loop: Header=BB0_2491 Depth=2
	s_wait_loadcnt 0x0
	s_wait_storecnt 0x0
	global_load_b32 v0, v2, s[10:11] scope:SCOPE_SYS
	s_wait_loadcnt 0x0
	global_inv scope:SCOPE_SYS
	v_mov_b32_e32 v14, 0
	v_cmp_eq_u32_e64 s0, 0, v0
	s_or_not1_b32 s14, s0, exec_lo
.LBB0_2493:                             ;   in Loop: Header=BB0_2491 Depth=2
	s_wait_xcnt 0x0
	s_or_b32 exec_lo, exec_lo, s15
	s_and_saveexec_b32 s15, s14
	s_cbranch_execz .LBB0_2495
; %bb.2494:                             ;   in Loop: Header=BB0_2491 Depth=2
	s_wait_loadcnt 0x0
	v_cmp_eq_u32_e64 s0, s6, v5
	v_cmp_eq_u32_e64 s1, s6, v7
	s_and_b32 s0, s0, s1
	s_delay_alu instid0(SALU_CYCLE_1)
	s_or_not1_b32 s1, s0, exec_lo
.LBB0_2495:                             ;   in Loop: Header=BB0_2491 Depth=2
	s_or_b32 exec_lo, exec_lo, s15
	s_delay_alu instid0(SALU_CYCLE_1) | instskip(NEXT) | instid1(SALU_CYCLE_1)
	s_and_b32 s0, exec_lo, s1
	s_or_b32 s13, s0, s13
	s_delay_alu instid0(SALU_CYCLE_1)
	s_and_not1_b32 exec_lo, exec_lo, s13
	s_cbranch_execnz .LBB0_2491
; %bb.2496:                             ;   in Loop: Header=BB0_2491 Depth=2
	s_or_b32 exec_lo, exec_lo, s13
	s_wait_loadcnt 0x0
	v_dual_mov_b32 v5, v6 :: v_dual_mov_b32 v14, 0
	s_mov_b32 s13, 0
	s_delay_alu instid0(VALU_DEP_1) | instskip(SKIP_1) | instid1(SALU_CYCLE_1)
	v_cmp_eq_u64_e64 s0, s[6:7], v[4:5]
	s_or_b32 s12, s0, s12
	s_and_not1_b32 exec_lo, exec_lo, s12
	s_cbranch_execnz .LBB0_2491
; %bb.2497:                             ;   in Loop: Header=BB0_1755 Depth=1
	s_or_b32 exec_lo, exec_lo, s12
	s_add_co_i32 s6, s4, 0x6a
	s_mov_b32 s1, s5
	s_bfe_u32 s0, s6, 0x100003
	v_dual_mov_b32 v0, s6 :: v_dual_mov_b32 v1, s6
	s_mulk_i32 s0, 0x20c5
	v_dual_mov_b32 v3, s6 :: v_dual_mov_b32 v14, 0
	s_lshr_b32 s0, s0, 20
	s_mov_b32 s7, s5
	s_mulk_i32 s0, 0x3e8
	s_mov_b32 s12, 0
	s_sub_co_i32 s0, s6, s0
	s_delay_alu instid0(SALU_CYCLE_1) | instskip(NEXT) | instid1(SALU_CYCLE_1)
	s_and_b32 s0, s0, 0xffff
	s_lshl_b32 s0, s0, 12
	s_delay_alu instid0(SALU_CYCLE_1)
	v_add_nc_u64_e32 v[4:5], s[0:1], v[10:11]
	v_add_nc_u64_e32 v[8:9], s[0:1], v[12:13]
	global_store_b128 v[4:5], v[0:3], off th:TH_STORE_NT
.LBB0_2498:                             ;   Parent Loop BB0_1755 Depth=1
                                        ; =>  This Inner Loop Header: Depth=2
	s_wait_loadcnt 0x0
	global_load_b128 v[4:7], v[8:9], off th:TH_LOAD_NT
	v_add_nc_u32_e32 v14, 1, v14
	s_mov_b32 s1, -1
	s_mov_b32 s14, -1
	s_mov_b32 s15, exec_lo
	s_wait_xcnt 0x0
	v_cmpx_eq_u32_e32 0xf4240, v14
	s_cbranch_execz .LBB0_2500
; %bb.2499:                             ;   in Loop: Header=BB0_2498 Depth=2
	s_wait_loadcnt 0x0
	s_wait_storecnt 0x0
	global_load_b32 v0, v2, s[10:11] scope:SCOPE_SYS
	s_wait_loadcnt 0x0
	global_inv scope:SCOPE_SYS
	v_mov_b32_e32 v14, 0
	v_cmp_eq_u32_e64 s0, 0, v0
	s_or_not1_b32 s14, s0, exec_lo
.LBB0_2500:                             ;   in Loop: Header=BB0_2498 Depth=2
	s_wait_xcnt 0x0
	s_or_b32 exec_lo, exec_lo, s15
	s_and_saveexec_b32 s15, s14
	s_cbranch_execz .LBB0_2502
; %bb.2501:                             ;   in Loop: Header=BB0_2498 Depth=2
	s_wait_loadcnt 0x0
	v_cmp_eq_u32_e64 s0, s6, v5
	v_cmp_eq_u32_e64 s1, s6, v7
	s_and_b32 s0, s0, s1
	s_delay_alu instid0(SALU_CYCLE_1)
	s_or_not1_b32 s1, s0, exec_lo
.LBB0_2502:                             ;   in Loop: Header=BB0_2498 Depth=2
	s_or_b32 exec_lo, exec_lo, s15
	s_delay_alu instid0(SALU_CYCLE_1) | instskip(NEXT) | instid1(SALU_CYCLE_1)
	s_and_b32 s0, exec_lo, s1
	s_or_b32 s13, s0, s13
	s_delay_alu instid0(SALU_CYCLE_1)
	s_and_not1_b32 exec_lo, exec_lo, s13
	s_cbranch_execnz .LBB0_2498
; %bb.2503:                             ;   in Loop: Header=BB0_2498 Depth=2
	s_or_b32 exec_lo, exec_lo, s13
	s_wait_loadcnt 0x0
	v_dual_mov_b32 v5, v6 :: v_dual_mov_b32 v14, 0
	s_mov_b32 s13, 0
	s_delay_alu instid0(VALU_DEP_1) | instskip(SKIP_1) | instid1(SALU_CYCLE_1)
	v_cmp_eq_u64_e64 s0, s[6:7], v[4:5]
	s_or_b32 s12, s0, s12
	s_and_not1_b32 exec_lo, exec_lo, s12
	s_cbranch_execnz .LBB0_2498
; %bb.2504:                             ;   in Loop: Header=BB0_1755 Depth=1
	s_or_b32 exec_lo, exec_lo, s12
	s_add_co_i32 s6, s4, 0x6b
	s_mov_b32 s1, s5
	s_bfe_u32 s0, s6, 0x100003
	v_dual_mov_b32 v0, s6 :: v_dual_mov_b32 v1, s6
	s_mulk_i32 s0, 0x20c5
	v_dual_mov_b32 v3, s6 :: v_dual_mov_b32 v14, 0
	s_lshr_b32 s0, s0, 20
	s_mov_b32 s7, s5
	s_mulk_i32 s0, 0x3e8
	s_mov_b32 s12, 0
	s_sub_co_i32 s0, s6, s0
	s_delay_alu instid0(SALU_CYCLE_1) | instskip(NEXT) | instid1(SALU_CYCLE_1)
	s_and_b32 s0, s0, 0xffff
	s_lshl_b32 s0, s0, 12
	s_delay_alu instid0(SALU_CYCLE_1)
	v_add_nc_u64_e32 v[4:5], s[0:1], v[10:11]
	v_add_nc_u64_e32 v[8:9], s[0:1], v[12:13]
	global_store_b128 v[4:5], v[0:3], off th:TH_STORE_NT
.LBB0_2505:                             ;   Parent Loop BB0_1755 Depth=1
                                        ; =>  This Inner Loop Header: Depth=2
	s_wait_loadcnt 0x0
	global_load_b128 v[4:7], v[8:9], off th:TH_LOAD_NT
	v_add_nc_u32_e32 v14, 1, v14
	s_mov_b32 s1, -1
	s_mov_b32 s14, -1
	s_mov_b32 s15, exec_lo
	s_wait_xcnt 0x0
	v_cmpx_eq_u32_e32 0xf4240, v14
	s_cbranch_execz .LBB0_2507
; %bb.2506:                             ;   in Loop: Header=BB0_2505 Depth=2
	s_wait_loadcnt 0x0
	s_wait_storecnt 0x0
	global_load_b32 v0, v2, s[10:11] scope:SCOPE_SYS
	s_wait_loadcnt 0x0
	global_inv scope:SCOPE_SYS
	v_mov_b32_e32 v14, 0
	v_cmp_eq_u32_e64 s0, 0, v0
	s_or_not1_b32 s14, s0, exec_lo
.LBB0_2507:                             ;   in Loop: Header=BB0_2505 Depth=2
	s_wait_xcnt 0x0
	s_or_b32 exec_lo, exec_lo, s15
	s_and_saveexec_b32 s15, s14
	s_cbranch_execz .LBB0_2509
; %bb.2508:                             ;   in Loop: Header=BB0_2505 Depth=2
	s_wait_loadcnt 0x0
	v_cmp_eq_u32_e64 s0, s6, v5
	v_cmp_eq_u32_e64 s1, s6, v7
	s_and_b32 s0, s0, s1
	s_delay_alu instid0(SALU_CYCLE_1)
	s_or_not1_b32 s1, s0, exec_lo
.LBB0_2509:                             ;   in Loop: Header=BB0_2505 Depth=2
	s_or_b32 exec_lo, exec_lo, s15
	s_delay_alu instid0(SALU_CYCLE_1) | instskip(NEXT) | instid1(SALU_CYCLE_1)
	s_and_b32 s0, exec_lo, s1
	s_or_b32 s13, s0, s13
	s_delay_alu instid0(SALU_CYCLE_1)
	s_and_not1_b32 exec_lo, exec_lo, s13
	s_cbranch_execnz .LBB0_2505
; %bb.2510:                             ;   in Loop: Header=BB0_2505 Depth=2
	s_or_b32 exec_lo, exec_lo, s13
	s_wait_loadcnt 0x0
	v_dual_mov_b32 v5, v6 :: v_dual_mov_b32 v14, 0
	s_mov_b32 s13, 0
	s_delay_alu instid0(VALU_DEP_1) | instskip(SKIP_1) | instid1(SALU_CYCLE_1)
	v_cmp_eq_u64_e64 s0, s[6:7], v[4:5]
	s_or_b32 s12, s0, s12
	s_and_not1_b32 exec_lo, exec_lo, s12
	s_cbranch_execnz .LBB0_2505
; %bb.2511:                             ;   in Loop: Header=BB0_1755 Depth=1
	s_or_b32 exec_lo, exec_lo, s12
	s_add_co_i32 s6, s4, 0x6c
	s_mov_b32 s1, s5
	s_bfe_u32 s0, s6, 0x100003
	v_dual_mov_b32 v0, s6 :: v_dual_mov_b32 v1, s6
	s_mulk_i32 s0, 0x20c5
	v_dual_mov_b32 v3, s6 :: v_dual_mov_b32 v14, 0
	s_lshr_b32 s0, s0, 20
	s_mov_b32 s7, s5
	s_mulk_i32 s0, 0x3e8
	s_mov_b32 s12, 0
	s_sub_co_i32 s0, s6, s0
	s_delay_alu instid0(SALU_CYCLE_1) | instskip(NEXT) | instid1(SALU_CYCLE_1)
	s_and_b32 s0, s0, 0xffff
	s_lshl_b32 s0, s0, 12
	s_delay_alu instid0(SALU_CYCLE_1)
	v_add_nc_u64_e32 v[4:5], s[0:1], v[10:11]
	v_add_nc_u64_e32 v[8:9], s[0:1], v[12:13]
	global_store_b128 v[4:5], v[0:3], off th:TH_STORE_NT
.LBB0_2512:                             ;   Parent Loop BB0_1755 Depth=1
                                        ; =>  This Inner Loop Header: Depth=2
	s_wait_loadcnt 0x0
	global_load_b128 v[4:7], v[8:9], off th:TH_LOAD_NT
	v_add_nc_u32_e32 v14, 1, v14
	s_mov_b32 s1, -1
	s_mov_b32 s14, -1
	s_mov_b32 s15, exec_lo
	s_wait_xcnt 0x0
	v_cmpx_eq_u32_e32 0xf4240, v14
	s_cbranch_execz .LBB0_2514
; %bb.2513:                             ;   in Loop: Header=BB0_2512 Depth=2
	s_wait_loadcnt 0x0
	s_wait_storecnt 0x0
	global_load_b32 v0, v2, s[10:11] scope:SCOPE_SYS
	s_wait_loadcnt 0x0
	global_inv scope:SCOPE_SYS
	v_mov_b32_e32 v14, 0
	v_cmp_eq_u32_e64 s0, 0, v0
	s_or_not1_b32 s14, s0, exec_lo
.LBB0_2514:                             ;   in Loop: Header=BB0_2512 Depth=2
	s_wait_xcnt 0x0
	s_or_b32 exec_lo, exec_lo, s15
	s_and_saveexec_b32 s15, s14
	s_cbranch_execz .LBB0_2516
; %bb.2515:                             ;   in Loop: Header=BB0_2512 Depth=2
	s_wait_loadcnt 0x0
	v_cmp_eq_u32_e64 s0, s6, v5
	v_cmp_eq_u32_e64 s1, s6, v7
	s_and_b32 s0, s0, s1
	s_delay_alu instid0(SALU_CYCLE_1)
	s_or_not1_b32 s1, s0, exec_lo
.LBB0_2516:                             ;   in Loop: Header=BB0_2512 Depth=2
	s_or_b32 exec_lo, exec_lo, s15
	s_delay_alu instid0(SALU_CYCLE_1) | instskip(NEXT) | instid1(SALU_CYCLE_1)
	s_and_b32 s0, exec_lo, s1
	s_or_b32 s13, s0, s13
	s_delay_alu instid0(SALU_CYCLE_1)
	s_and_not1_b32 exec_lo, exec_lo, s13
	s_cbranch_execnz .LBB0_2512
; %bb.2517:                             ;   in Loop: Header=BB0_2512 Depth=2
	s_or_b32 exec_lo, exec_lo, s13
	s_wait_loadcnt 0x0
	v_dual_mov_b32 v5, v6 :: v_dual_mov_b32 v14, 0
	s_mov_b32 s13, 0
	s_delay_alu instid0(VALU_DEP_1) | instskip(SKIP_1) | instid1(SALU_CYCLE_1)
	v_cmp_eq_u64_e64 s0, s[6:7], v[4:5]
	s_or_b32 s12, s0, s12
	s_and_not1_b32 exec_lo, exec_lo, s12
	s_cbranch_execnz .LBB0_2512
; %bb.2518:                             ;   in Loop: Header=BB0_1755 Depth=1
	s_or_b32 exec_lo, exec_lo, s12
	s_add_co_i32 s6, s4, 0x6d
	s_mov_b32 s1, s5
	s_bfe_u32 s0, s6, 0x100003
	v_dual_mov_b32 v0, s6 :: v_dual_mov_b32 v1, s6
	s_mulk_i32 s0, 0x20c5
	v_dual_mov_b32 v3, s6 :: v_dual_mov_b32 v14, 0
	s_lshr_b32 s0, s0, 20
	s_mov_b32 s7, s5
	s_mulk_i32 s0, 0x3e8
	s_mov_b32 s12, 0
	s_sub_co_i32 s0, s6, s0
	s_delay_alu instid0(SALU_CYCLE_1) | instskip(NEXT) | instid1(SALU_CYCLE_1)
	s_and_b32 s0, s0, 0xffff
	s_lshl_b32 s0, s0, 12
	s_delay_alu instid0(SALU_CYCLE_1)
	v_add_nc_u64_e32 v[4:5], s[0:1], v[10:11]
	v_add_nc_u64_e32 v[8:9], s[0:1], v[12:13]
	global_store_b128 v[4:5], v[0:3], off th:TH_STORE_NT
.LBB0_2519:                             ;   Parent Loop BB0_1755 Depth=1
                                        ; =>  This Inner Loop Header: Depth=2
	s_wait_loadcnt 0x0
	global_load_b128 v[4:7], v[8:9], off th:TH_LOAD_NT
	v_add_nc_u32_e32 v14, 1, v14
	s_mov_b32 s1, -1
	s_mov_b32 s14, -1
	s_mov_b32 s15, exec_lo
	s_wait_xcnt 0x0
	v_cmpx_eq_u32_e32 0xf4240, v14
	s_cbranch_execz .LBB0_2521
; %bb.2520:                             ;   in Loop: Header=BB0_2519 Depth=2
	s_wait_loadcnt 0x0
	s_wait_storecnt 0x0
	global_load_b32 v0, v2, s[10:11] scope:SCOPE_SYS
	s_wait_loadcnt 0x0
	global_inv scope:SCOPE_SYS
	v_mov_b32_e32 v14, 0
	v_cmp_eq_u32_e64 s0, 0, v0
	s_or_not1_b32 s14, s0, exec_lo
.LBB0_2521:                             ;   in Loop: Header=BB0_2519 Depth=2
	s_wait_xcnt 0x0
	s_or_b32 exec_lo, exec_lo, s15
	s_and_saveexec_b32 s15, s14
	s_cbranch_execz .LBB0_2523
; %bb.2522:                             ;   in Loop: Header=BB0_2519 Depth=2
	s_wait_loadcnt 0x0
	v_cmp_eq_u32_e64 s0, s6, v5
	v_cmp_eq_u32_e64 s1, s6, v7
	s_and_b32 s0, s0, s1
	s_delay_alu instid0(SALU_CYCLE_1)
	s_or_not1_b32 s1, s0, exec_lo
.LBB0_2523:                             ;   in Loop: Header=BB0_2519 Depth=2
	s_or_b32 exec_lo, exec_lo, s15
	s_delay_alu instid0(SALU_CYCLE_1) | instskip(NEXT) | instid1(SALU_CYCLE_1)
	s_and_b32 s0, exec_lo, s1
	s_or_b32 s13, s0, s13
	s_delay_alu instid0(SALU_CYCLE_1)
	s_and_not1_b32 exec_lo, exec_lo, s13
	s_cbranch_execnz .LBB0_2519
; %bb.2524:                             ;   in Loop: Header=BB0_2519 Depth=2
	s_or_b32 exec_lo, exec_lo, s13
	s_wait_loadcnt 0x0
	v_dual_mov_b32 v5, v6 :: v_dual_mov_b32 v14, 0
	s_mov_b32 s13, 0
	s_delay_alu instid0(VALU_DEP_1) | instskip(SKIP_1) | instid1(SALU_CYCLE_1)
	v_cmp_eq_u64_e64 s0, s[6:7], v[4:5]
	s_or_b32 s12, s0, s12
	s_and_not1_b32 exec_lo, exec_lo, s12
	s_cbranch_execnz .LBB0_2519
; %bb.2525:                             ;   in Loop: Header=BB0_1755 Depth=1
	s_or_b32 exec_lo, exec_lo, s12
	s_add_co_i32 s6, s4, 0x6e
	s_mov_b32 s1, s5
	s_bfe_u32 s0, s6, 0x100003
	v_dual_mov_b32 v0, s6 :: v_dual_mov_b32 v1, s6
	s_mulk_i32 s0, 0x20c5
	v_dual_mov_b32 v3, s6 :: v_dual_mov_b32 v14, 0
	s_lshr_b32 s0, s0, 20
	s_mov_b32 s7, s5
	s_mulk_i32 s0, 0x3e8
	s_mov_b32 s12, 0
	s_sub_co_i32 s0, s6, s0
	s_delay_alu instid0(SALU_CYCLE_1) | instskip(NEXT) | instid1(SALU_CYCLE_1)
	s_and_b32 s0, s0, 0xffff
	s_lshl_b32 s0, s0, 12
	s_delay_alu instid0(SALU_CYCLE_1)
	v_add_nc_u64_e32 v[4:5], s[0:1], v[10:11]
	v_add_nc_u64_e32 v[8:9], s[0:1], v[12:13]
	global_store_b128 v[4:5], v[0:3], off th:TH_STORE_NT
.LBB0_2526:                             ;   Parent Loop BB0_1755 Depth=1
                                        ; =>  This Inner Loop Header: Depth=2
	s_wait_loadcnt 0x0
	global_load_b128 v[4:7], v[8:9], off th:TH_LOAD_NT
	v_add_nc_u32_e32 v14, 1, v14
	s_mov_b32 s1, -1
	s_mov_b32 s14, -1
	s_mov_b32 s15, exec_lo
	s_wait_xcnt 0x0
	v_cmpx_eq_u32_e32 0xf4240, v14
	s_cbranch_execz .LBB0_2528
; %bb.2527:                             ;   in Loop: Header=BB0_2526 Depth=2
	s_wait_loadcnt 0x0
	s_wait_storecnt 0x0
	global_load_b32 v0, v2, s[10:11] scope:SCOPE_SYS
	s_wait_loadcnt 0x0
	global_inv scope:SCOPE_SYS
	v_mov_b32_e32 v14, 0
	v_cmp_eq_u32_e64 s0, 0, v0
	s_or_not1_b32 s14, s0, exec_lo
.LBB0_2528:                             ;   in Loop: Header=BB0_2526 Depth=2
	s_wait_xcnt 0x0
	s_or_b32 exec_lo, exec_lo, s15
	s_and_saveexec_b32 s15, s14
	s_cbranch_execz .LBB0_2530
; %bb.2529:                             ;   in Loop: Header=BB0_2526 Depth=2
	s_wait_loadcnt 0x0
	v_cmp_eq_u32_e64 s0, s6, v5
	v_cmp_eq_u32_e64 s1, s6, v7
	s_and_b32 s0, s0, s1
	s_delay_alu instid0(SALU_CYCLE_1)
	s_or_not1_b32 s1, s0, exec_lo
.LBB0_2530:                             ;   in Loop: Header=BB0_2526 Depth=2
	s_or_b32 exec_lo, exec_lo, s15
	s_delay_alu instid0(SALU_CYCLE_1) | instskip(NEXT) | instid1(SALU_CYCLE_1)
	s_and_b32 s0, exec_lo, s1
	s_or_b32 s13, s0, s13
	s_delay_alu instid0(SALU_CYCLE_1)
	s_and_not1_b32 exec_lo, exec_lo, s13
	s_cbranch_execnz .LBB0_2526
; %bb.2531:                             ;   in Loop: Header=BB0_2526 Depth=2
	s_or_b32 exec_lo, exec_lo, s13
	s_wait_loadcnt 0x0
	v_dual_mov_b32 v5, v6 :: v_dual_mov_b32 v14, 0
	s_mov_b32 s13, 0
	s_delay_alu instid0(VALU_DEP_1) | instskip(SKIP_1) | instid1(SALU_CYCLE_1)
	v_cmp_eq_u64_e64 s0, s[6:7], v[4:5]
	s_or_b32 s12, s0, s12
	s_and_not1_b32 exec_lo, exec_lo, s12
	s_cbranch_execnz .LBB0_2526
; %bb.2532:                             ;   in Loop: Header=BB0_1755 Depth=1
	s_or_b32 exec_lo, exec_lo, s12
	s_add_co_i32 s6, s4, 0x6f
	s_mov_b32 s1, s5
	s_bfe_u32 s0, s6, 0x100003
	v_dual_mov_b32 v0, s6 :: v_dual_mov_b32 v1, s6
	s_mulk_i32 s0, 0x20c5
	v_dual_mov_b32 v3, s6 :: v_dual_mov_b32 v14, 0
	s_lshr_b32 s0, s0, 20
	s_mov_b32 s7, s5
	s_mulk_i32 s0, 0x3e8
	s_mov_b32 s12, 0
	s_sub_co_i32 s0, s6, s0
	s_delay_alu instid0(SALU_CYCLE_1) | instskip(NEXT) | instid1(SALU_CYCLE_1)
	s_and_b32 s0, s0, 0xffff
	s_lshl_b32 s0, s0, 12
	s_delay_alu instid0(SALU_CYCLE_1)
	v_add_nc_u64_e32 v[4:5], s[0:1], v[10:11]
	v_add_nc_u64_e32 v[8:9], s[0:1], v[12:13]
	global_store_b128 v[4:5], v[0:3], off th:TH_STORE_NT
.LBB0_2533:                             ;   Parent Loop BB0_1755 Depth=1
                                        ; =>  This Inner Loop Header: Depth=2
	s_wait_loadcnt 0x0
	global_load_b128 v[4:7], v[8:9], off th:TH_LOAD_NT
	v_add_nc_u32_e32 v14, 1, v14
	s_mov_b32 s1, -1
	s_mov_b32 s14, -1
	s_mov_b32 s15, exec_lo
	s_wait_xcnt 0x0
	v_cmpx_eq_u32_e32 0xf4240, v14
	s_cbranch_execz .LBB0_2535
; %bb.2534:                             ;   in Loop: Header=BB0_2533 Depth=2
	s_wait_loadcnt 0x0
	s_wait_storecnt 0x0
	global_load_b32 v0, v2, s[10:11] scope:SCOPE_SYS
	s_wait_loadcnt 0x0
	global_inv scope:SCOPE_SYS
	v_mov_b32_e32 v14, 0
	v_cmp_eq_u32_e64 s0, 0, v0
	s_or_not1_b32 s14, s0, exec_lo
.LBB0_2535:                             ;   in Loop: Header=BB0_2533 Depth=2
	s_wait_xcnt 0x0
	s_or_b32 exec_lo, exec_lo, s15
	s_and_saveexec_b32 s15, s14
	s_cbranch_execz .LBB0_2537
; %bb.2536:                             ;   in Loop: Header=BB0_2533 Depth=2
	s_wait_loadcnt 0x0
	v_cmp_eq_u32_e64 s0, s6, v5
	v_cmp_eq_u32_e64 s1, s6, v7
	s_and_b32 s0, s0, s1
	s_delay_alu instid0(SALU_CYCLE_1)
	s_or_not1_b32 s1, s0, exec_lo
.LBB0_2537:                             ;   in Loop: Header=BB0_2533 Depth=2
	s_or_b32 exec_lo, exec_lo, s15
	s_delay_alu instid0(SALU_CYCLE_1) | instskip(NEXT) | instid1(SALU_CYCLE_1)
	s_and_b32 s0, exec_lo, s1
	s_or_b32 s13, s0, s13
	s_delay_alu instid0(SALU_CYCLE_1)
	s_and_not1_b32 exec_lo, exec_lo, s13
	s_cbranch_execnz .LBB0_2533
; %bb.2538:                             ;   in Loop: Header=BB0_2533 Depth=2
	s_or_b32 exec_lo, exec_lo, s13
	s_wait_loadcnt 0x0
	v_dual_mov_b32 v5, v6 :: v_dual_mov_b32 v14, 0
	s_mov_b32 s13, 0
	s_delay_alu instid0(VALU_DEP_1) | instskip(SKIP_1) | instid1(SALU_CYCLE_1)
	v_cmp_eq_u64_e64 s0, s[6:7], v[4:5]
	s_or_b32 s12, s0, s12
	s_and_not1_b32 exec_lo, exec_lo, s12
	s_cbranch_execnz .LBB0_2533
; %bb.2539:                             ;   in Loop: Header=BB0_1755 Depth=1
	s_or_b32 exec_lo, exec_lo, s12
	s_add_co_i32 s6, s4, 0x70
	s_mov_b32 s1, s5
	s_bfe_u32 s0, s6, 0x100003
	v_dual_mov_b32 v0, s6 :: v_dual_mov_b32 v1, s6
	s_mulk_i32 s0, 0x20c5
	v_dual_mov_b32 v3, s6 :: v_dual_mov_b32 v14, 0
	s_lshr_b32 s0, s0, 20
	s_mov_b32 s7, s5
	s_mulk_i32 s0, 0x3e8
	s_mov_b32 s12, 0
	s_sub_co_i32 s0, s6, s0
	s_delay_alu instid0(SALU_CYCLE_1) | instskip(NEXT) | instid1(SALU_CYCLE_1)
	s_and_b32 s0, s0, 0xffff
	s_lshl_b32 s0, s0, 12
	s_delay_alu instid0(SALU_CYCLE_1)
	v_add_nc_u64_e32 v[4:5], s[0:1], v[10:11]
	v_add_nc_u64_e32 v[8:9], s[0:1], v[12:13]
	global_store_b128 v[4:5], v[0:3], off th:TH_STORE_NT
.LBB0_2540:                             ;   Parent Loop BB0_1755 Depth=1
                                        ; =>  This Inner Loop Header: Depth=2
	s_wait_loadcnt 0x0
	global_load_b128 v[4:7], v[8:9], off th:TH_LOAD_NT
	v_add_nc_u32_e32 v14, 1, v14
	s_mov_b32 s1, -1
	s_mov_b32 s14, -1
	s_mov_b32 s15, exec_lo
	s_wait_xcnt 0x0
	v_cmpx_eq_u32_e32 0xf4240, v14
	s_cbranch_execz .LBB0_2542
; %bb.2541:                             ;   in Loop: Header=BB0_2540 Depth=2
	s_wait_loadcnt 0x0
	s_wait_storecnt 0x0
	global_load_b32 v0, v2, s[10:11] scope:SCOPE_SYS
	s_wait_loadcnt 0x0
	global_inv scope:SCOPE_SYS
	v_mov_b32_e32 v14, 0
	v_cmp_eq_u32_e64 s0, 0, v0
	s_or_not1_b32 s14, s0, exec_lo
.LBB0_2542:                             ;   in Loop: Header=BB0_2540 Depth=2
	s_wait_xcnt 0x0
	s_or_b32 exec_lo, exec_lo, s15
	s_and_saveexec_b32 s15, s14
	s_cbranch_execz .LBB0_2544
; %bb.2543:                             ;   in Loop: Header=BB0_2540 Depth=2
	s_wait_loadcnt 0x0
	v_cmp_eq_u32_e64 s0, s6, v5
	v_cmp_eq_u32_e64 s1, s6, v7
	s_and_b32 s0, s0, s1
	s_delay_alu instid0(SALU_CYCLE_1)
	s_or_not1_b32 s1, s0, exec_lo
.LBB0_2544:                             ;   in Loop: Header=BB0_2540 Depth=2
	s_or_b32 exec_lo, exec_lo, s15
	s_delay_alu instid0(SALU_CYCLE_1) | instskip(NEXT) | instid1(SALU_CYCLE_1)
	s_and_b32 s0, exec_lo, s1
	s_or_b32 s13, s0, s13
	s_delay_alu instid0(SALU_CYCLE_1)
	s_and_not1_b32 exec_lo, exec_lo, s13
	s_cbranch_execnz .LBB0_2540
; %bb.2545:                             ;   in Loop: Header=BB0_2540 Depth=2
	s_or_b32 exec_lo, exec_lo, s13
	s_wait_loadcnt 0x0
	v_dual_mov_b32 v5, v6 :: v_dual_mov_b32 v14, 0
	s_mov_b32 s13, 0
	s_delay_alu instid0(VALU_DEP_1) | instskip(SKIP_1) | instid1(SALU_CYCLE_1)
	v_cmp_eq_u64_e64 s0, s[6:7], v[4:5]
	s_or_b32 s12, s0, s12
	s_and_not1_b32 exec_lo, exec_lo, s12
	s_cbranch_execnz .LBB0_2540
; %bb.2546:                             ;   in Loop: Header=BB0_1755 Depth=1
	s_or_b32 exec_lo, exec_lo, s12
	s_add_co_i32 s6, s4, 0x71
	s_mov_b32 s1, s5
	s_bfe_u32 s0, s6, 0x100003
	v_dual_mov_b32 v0, s6 :: v_dual_mov_b32 v1, s6
	s_mulk_i32 s0, 0x20c5
	v_dual_mov_b32 v3, s6 :: v_dual_mov_b32 v14, 0
	s_lshr_b32 s0, s0, 20
	s_mov_b32 s7, s5
	s_mulk_i32 s0, 0x3e8
	s_mov_b32 s12, 0
	s_sub_co_i32 s0, s6, s0
	s_delay_alu instid0(SALU_CYCLE_1) | instskip(NEXT) | instid1(SALU_CYCLE_1)
	s_and_b32 s0, s0, 0xffff
	s_lshl_b32 s0, s0, 12
	s_delay_alu instid0(SALU_CYCLE_1)
	v_add_nc_u64_e32 v[4:5], s[0:1], v[10:11]
	v_add_nc_u64_e32 v[8:9], s[0:1], v[12:13]
	global_store_b128 v[4:5], v[0:3], off th:TH_STORE_NT
.LBB0_2547:                             ;   Parent Loop BB0_1755 Depth=1
                                        ; =>  This Inner Loop Header: Depth=2
	s_wait_loadcnt 0x0
	global_load_b128 v[4:7], v[8:9], off th:TH_LOAD_NT
	v_add_nc_u32_e32 v14, 1, v14
	s_mov_b32 s1, -1
	s_mov_b32 s14, -1
	s_mov_b32 s15, exec_lo
	s_wait_xcnt 0x0
	v_cmpx_eq_u32_e32 0xf4240, v14
	s_cbranch_execz .LBB0_2549
; %bb.2548:                             ;   in Loop: Header=BB0_2547 Depth=2
	s_wait_loadcnt 0x0
	s_wait_storecnt 0x0
	global_load_b32 v0, v2, s[10:11] scope:SCOPE_SYS
	s_wait_loadcnt 0x0
	global_inv scope:SCOPE_SYS
	v_mov_b32_e32 v14, 0
	v_cmp_eq_u32_e64 s0, 0, v0
	s_or_not1_b32 s14, s0, exec_lo
.LBB0_2549:                             ;   in Loop: Header=BB0_2547 Depth=2
	s_wait_xcnt 0x0
	s_or_b32 exec_lo, exec_lo, s15
	s_and_saveexec_b32 s15, s14
	s_cbranch_execz .LBB0_2551
; %bb.2550:                             ;   in Loop: Header=BB0_2547 Depth=2
	s_wait_loadcnt 0x0
	v_cmp_eq_u32_e64 s0, s6, v5
	v_cmp_eq_u32_e64 s1, s6, v7
	s_and_b32 s0, s0, s1
	s_delay_alu instid0(SALU_CYCLE_1)
	s_or_not1_b32 s1, s0, exec_lo
.LBB0_2551:                             ;   in Loop: Header=BB0_2547 Depth=2
	s_or_b32 exec_lo, exec_lo, s15
	s_delay_alu instid0(SALU_CYCLE_1) | instskip(NEXT) | instid1(SALU_CYCLE_1)
	s_and_b32 s0, exec_lo, s1
	s_or_b32 s13, s0, s13
	s_delay_alu instid0(SALU_CYCLE_1)
	s_and_not1_b32 exec_lo, exec_lo, s13
	s_cbranch_execnz .LBB0_2547
; %bb.2552:                             ;   in Loop: Header=BB0_2547 Depth=2
	s_or_b32 exec_lo, exec_lo, s13
	s_wait_loadcnt 0x0
	v_dual_mov_b32 v5, v6 :: v_dual_mov_b32 v14, 0
	s_mov_b32 s13, 0
	s_delay_alu instid0(VALU_DEP_1) | instskip(SKIP_1) | instid1(SALU_CYCLE_1)
	v_cmp_eq_u64_e64 s0, s[6:7], v[4:5]
	s_or_b32 s12, s0, s12
	s_and_not1_b32 exec_lo, exec_lo, s12
	s_cbranch_execnz .LBB0_2547
; %bb.2553:                             ;   in Loop: Header=BB0_1755 Depth=1
	s_or_b32 exec_lo, exec_lo, s12
	s_add_co_i32 s6, s4, 0x72
	s_mov_b32 s1, s5
	s_bfe_u32 s0, s6, 0x100003
	v_dual_mov_b32 v0, s6 :: v_dual_mov_b32 v1, s6
	s_mulk_i32 s0, 0x20c5
	v_dual_mov_b32 v3, s6 :: v_dual_mov_b32 v14, 0
	s_lshr_b32 s0, s0, 20
	s_mov_b32 s7, s5
	s_mulk_i32 s0, 0x3e8
	s_mov_b32 s12, 0
	s_sub_co_i32 s0, s6, s0
	s_delay_alu instid0(SALU_CYCLE_1) | instskip(NEXT) | instid1(SALU_CYCLE_1)
	s_and_b32 s0, s0, 0xffff
	s_lshl_b32 s0, s0, 12
	s_delay_alu instid0(SALU_CYCLE_1)
	v_add_nc_u64_e32 v[4:5], s[0:1], v[10:11]
	v_add_nc_u64_e32 v[8:9], s[0:1], v[12:13]
	global_store_b128 v[4:5], v[0:3], off th:TH_STORE_NT
.LBB0_2554:                             ;   Parent Loop BB0_1755 Depth=1
                                        ; =>  This Inner Loop Header: Depth=2
	s_wait_loadcnt 0x0
	global_load_b128 v[4:7], v[8:9], off th:TH_LOAD_NT
	v_add_nc_u32_e32 v14, 1, v14
	s_mov_b32 s1, -1
	s_mov_b32 s14, -1
	s_mov_b32 s15, exec_lo
	s_wait_xcnt 0x0
	v_cmpx_eq_u32_e32 0xf4240, v14
	s_cbranch_execz .LBB0_2556
; %bb.2555:                             ;   in Loop: Header=BB0_2554 Depth=2
	s_wait_loadcnt 0x0
	s_wait_storecnt 0x0
	global_load_b32 v0, v2, s[10:11] scope:SCOPE_SYS
	s_wait_loadcnt 0x0
	global_inv scope:SCOPE_SYS
	v_mov_b32_e32 v14, 0
	v_cmp_eq_u32_e64 s0, 0, v0
	s_or_not1_b32 s14, s0, exec_lo
.LBB0_2556:                             ;   in Loop: Header=BB0_2554 Depth=2
	s_wait_xcnt 0x0
	s_or_b32 exec_lo, exec_lo, s15
	s_and_saveexec_b32 s15, s14
	s_cbranch_execz .LBB0_2558
; %bb.2557:                             ;   in Loop: Header=BB0_2554 Depth=2
	s_wait_loadcnt 0x0
	v_cmp_eq_u32_e64 s0, s6, v5
	v_cmp_eq_u32_e64 s1, s6, v7
	s_and_b32 s0, s0, s1
	s_delay_alu instid0(SALU_CYCLE_1)
	s_or_not1_b32 s1, s0, exec_lo
.LBB0_2558:                             ;   in Loop: Header=BB0_2554 Depth=2
	s_or_b32 exec_lo, exec_lo, s15
	s_delay_alu instid0(SALU_CYCLE_1) | instskip(NEXT) | instid1(SALU_CYCLE_1)
	s_and_b32 s0, exec_lo, s1
	s_or_b32 s13, s0, s13
	s_delay_alu instid0(SALU_CYCLE_1)
	s_and_not1_b32 exec_lo, exec_lo, s13
	s_cbranch_execnz .LBB0_2554
; %bb.2559:                             ;   in Loop: Header=BB0_2554 Depth=2
	s_or_b32 exec_lo, exec_lo, s13
	s_wait_loadcnt 0x0
	v_dual_mov_b32 v5, v6 :: v_dual_mov_b32 v14, 0
	s_mov_b32 s13, 0
	s_delay_alu instid0(VALU_DEP_1) | instskip(SKIP_1) | instid1(SALU_CYCLE_1)
	v_cmp_eq_u64_e64 s0, s[6:7], v[4:5]
	s_or_b32 s12, s0, s12
	s_and_not1_b32 exec_lo, exec_lo, s12
	s_cbranch_execnz .LBB0_2554
; %bb.2560:                             ;   in Loop: Header=BB0_1755 Depth=1
	s_or_b32 exec_lo, exec_lo, s12
	s_add_co_i32 s6, s4, 0x73
	s_mov_b32 s1, s5
	s_bfe_u32 s0, s6, 0x100003
	v_dual_mov_b32 v0, s6 :: v_dual_mov_b32 v1, s6
	s_mulk_i32 s0, 0x20c5
	v_dual_mov_b32 v3, s6 :: v_dual_mov_b32 v14, 0
	s_lshr_b32 s0, s0, 20
	s_mov_b32 s7, s5
	s_mulk_i32 s0, 0x3e8
	s_mov_b32 s12, 0
	s_sub_co_i32 s0, s6, s0
	s_delay_alu instid0(SALU_CYCLE_1) | instskip(NEXT) | instid1(SALU_CYCLE_1)
	s_and_b32 s0, s0, 0xffff
	s_lshl_b32 s0, s0, 12
	s_delay_alu instid0(SALU_CYCLE_1)
	v_add_nc_u64_e32 v[4:5], s[0:1], v[10:11]
	v_add_nc_u64_e32 v[8:9], s[0:1], v[12:13]
	global_store_b128 v[4:5], v[0:3], off th:TH_STORE_NT
.LBB0_2561:                             ;   Parent Loop BB0_1755 Depth=1
                                        ; =>  This Inner Loop Header: Depth=2
	s_wait_loadcnt 0x0
	global_load_b128 v[4:7], v[8:9], off th:TH_LOAD_NT
	v_add_nc_u32_e32 v14, 1, v14
	s_mov_b32 s1, -1
	s_mov_b32 s14, -1
	s_mov_b32 s15, exec_lo
	s_wait_xcnt 0x0
	v_cmpx_eq_u32_e32 0xf4240, v14
	s_cbranch_execz .LBB0_2563
; %bb.2562:                             ;   in Loop: Header=BB0_2561 Depth=2
	s_wait_loadcnt 0x0
	s_wait_storecnt 0x0
	global_load_b32 v0, v2, s[10:11] scope:SCOPE_SYS
	s_wait_loadcnt 0x0
	global_inv scope:SCOPE_SYS
	v_mov_b32_e32 v14, 0
	v_cmp_eq_u32_e64 s0, 0, v0
	s_or_not1_b32 s14, s0, exec_lo
.LBB0_2563:                             ;   in Loop: Header=BB0_2561 Depth=2
	s_wait_xcnt 0x0
	s_or_b32 exec_lo, exec_lo, s15
	s_and_saveexec_b32 s15, s14
	s_cbranch_execz .LBB0_2565
; %bb.2564:                             ;   in Loop: Header=BB0_2561 Depth=2
	s_wait_loadcnt 0x0
	v_cmp_eq_u32_e64 s0, s6, v5
	v_cmp_eq_u32_e64 s1, s6, v7
	s_and_b32 s0, s0, s1
	s_delay_alu instid0(SALU_CYCLE_1)
	s_or_not1_b32 s1, s0, exec_lo
.LBB0_2565:                             ;   in Loop: Header=BB0_2561 Depth=2
	s_or_b32 exec_lo, exec_lo, s15
	s_delay_alu instid0(SALU_CYCLE_1) | instskip(NEXT) | instid1(SALU_CYCLE_1)
	s_and_b32 s0, exec_lo, s1
	s_or_b32 s13, s0, s13
	s_delay_alu instid0(SALU_CYCLE_1)
	s_and_not1_b32 exec_lo, exec_lo, s13
	s_cbranch_execnz .LBB0_2561
; %bb.2566:                             ;   in Loop: Header=BB0_2561 Depth=2
	s_or_b32 exec_lo, exec_lo, s13
	s_wait_loadcnt 0x0
	v_dual_mov_b32 v5, v6 :: v_dual_mov_b32 v14, 0
	s_mov_b32 s13, 0
	s_delay_alu instid0(VALU_DEP_1) | instskip(SKIP_1) | instid1(SALU_CYCLE_1)
	v_cmp_eq_u64_e64 s0, s[6:7], v[4:5]
	s_or_b32 s12, s0, s12
	s_and_not1_b32 exec_lo, exec_lo, s12
	s_cbranch_execnz .LBB0_2561
; %bb.2567:                             ;   in Loop: Header=BB0_1755 Depth=1
	s_or_b32 exec_lo, exec_lo, s12
	s_add_co_i32 s6, s4, 0x74
	s_mov_b32 s1, s5
	s_bfe_u32 s0, s6, 0x100003
	v_dual_mov_b32 v0, s6 :: v_dual_mov_b32 v1, s6
	s_mulk_i32 s0, 0x20c5
	v_dual_mov_b32 v3, s6 :: v_dual_mov_b32 v14, 0
	s_lshr_b32 s0, s0, 20
	s_mov_b32 s7, s5
	s_mulk_i32 s0, 0x3e8
	s_mov_b32 s12, 0
	s_sub_co_i32 s0, s6, s0
	s_delay_alu instid0(SALU_CYCLE_1) | instskip(NEXT) | instid1(SALU_CYCLE_1)
	s_and_b32 s0, s0, 0xffff
	s_lshl_b32 s0, s0, 12
	s_delay_alu instid0(SALU_CYCLE_1)
	v_add_nc_u64_e32 v[4:5], s[0:1], v[10:11]
	v_add_nc_u64_e32 v[8:9], s[0:1], v[12:13]
	global_store_b128 v[4:5], v[0:3], off th:TH_STORE_NT
.LBB0_2568:                             ;   Parent Loop BB0_1755 Depth=1
                                        ; =>  This Inner Loop Header: Depth=2
	s_wait_loadcnt 0x0
	global_load_b128 v[4:7], v[8:9], off th:TH_LOAD_NT
	v_add_nc_u32_e32 v14, 1, v14
	s_mov_b32 s1, -1
	s_mov_b32 s14, -1
	s_mov_b32 s15, exec_lo
	s_wait_xcnt 0x0
	v_cmpx_eq_u32_e32 0xf4240, v14
	s_cbranch_execz .LBB0_2570
; %bb.2569:                             ;   in Loop: Header=BB0_2568 Depth=2
	s_wait_loadcnt 0x0
	s_wait_storecnt 0x0
	global_load_b32 v0, v2, s[10:11] scope:SCOPE_SYS
	s_wait_loadcnt 0x0
	global_inv scope:SCOPE_SYS
	v_mov_b32_e32 v14, 0
	v_cmp_eq_u32_e64 s0, 0, v0
	s_or_not1_b32 s14, s0, exec_lo
.LBB0_2570:                             ;   in Loop: Header=BB0_2568 Depth=2
	s_wait_xcnt 0x0
	s_or_b32 exec_lo, exec_lo, s15
	s_and_saveexec_b32 s15, s14
	s_cbranch_execz .LBB0_2572
; %bb.2571:                             ;   in Loop: Header=BB0_2568 Depth=2
	s_wait_loadcnt 0x0
	v_cmp_eq_u32_e64 s0, s6, v5
	v_cmp_eq_u32_e64 s1, s6, v7
	s_and_b32 s0, s0, s1
	s_delay_alu instid0(SALU_CYCLE_1)
	s_or_not1_b32 s1, s0, exec_lo
.LBB0_2572:                             ;   in Loop: Header=BB0_2568 Depth=2
	s_or_b32 exec_lo, exec_lo, s15
	s_delay_alu instid0(SALU_CYCLE_1) | instskip(NEXT) | instid1(SALU_CYCLE_1)
	s_and_b32 s0, exec_lo, s1
	s_or_b32 s13, s0, s13
	s_delay_alu instid0(SALU_CYCLE_1)
	s_and_not1_b32 exec_lo, exec_lo, s13
	s_cbranch_execnz .LBB0_2568
; %bb.2573:                             ;   in Loop: Header=BB0_2568 Depth=2
	s_or_b32 exec_lo, exec_lo, s13
	s_wait_loadcnt 0x0
	v_dual_mov_b32 v5, v6 :: v_dual_mov_b32 v14, 0
	s_mov_b32 s13, 0
	s_delay_alu instid0(VALU_DEP_1) | instskip(SKIP_1) | instid1(SALU_CYCLE_1)
	v_cmp_eq_u64_e64 s0, s[6:7], v[4:5]
	s_or_b32 s12, s0, s12
	s_and_not1_b32 exec_lo, exec_lo, s12
	s_cbranch_execnz .LBB0_2568
; %bb.2574:                             ;   in Loop: Header=BB0_1755 Depth=1
	s_or_b32 exec_lo, exec_lo, s12
	s_add_co_i32 s6, s4, 0x75
	s_mov_b32 s1, s5
	s_bfe_u32 s0, s6, 0x100003
	v_dual_mov_b32 v0, s6 :: v_dual_mov_b32 v1, s6
	s_mulk_i32 s0, 0x20c5
	v_dual_mov_b32 v3, s6 :: v_dual_mov_b32 v14, 0
	s_lshr_b32 s0, s0, 20
	s_mov_b32 s7, s5
	s_mulk_i32 s0, 0x3e8
	s_mov_b32 s12, 0
	s_sub_co_i32 s0, s6, s0
	s_delay_alu instid0(SALU_CYCLE_1) | instskip(NEXT) | instid1(SALU_CYCLE_1)
	s_and_b32 s0, s0, 0xffff
	s_lshl_b32 s0, s0, 12
	s_delay_alu instid0(SALU_CYCLE_1)
	v_add_nc_u64_e32 v[4:5], s[0:1], v[10:11]
	v_add_nc_u64_e32 v[8:9], s[0:1], v[12:13]
	global_store_b128 v[4:5], v[0:3], off th:TH_STORE_NT
.LBB0_2575:                             ;   Parent Loop BB0_1755 Depth=1
                                        ; =>  This Inner Loop Header: Depth=2
	s_wait_loadcnt 0x0
	global_load_b128 v[4:7], v[8:9], off th:TH_LOAD_NT
	v_add_nc_u32_e32 v14, 1, v14
	s_mov_b32 s1, -1
	s_mov_b32 s14, -1
	s_mov_b32 s15, exec_lo
	s_wait_xcnt 0x0
	v_cmpx_eq_u32_e32 0xf4240, v14
	s_cbranch_execz .LBB0_2577
; %bb.2576:                             ;   in Loop: Header=BB0_2575 Depth=2
	s_wait_loadcnt 0x0
	s_wait_storecnt 0x0
	global_load_b32 v0, v2, s[10:11] scope:SCOPE_SYS
	s_wait_loadcnt 0x0
	global_inv scope:SCOPE_SYS
	v_mov_b32_e32 v14, 0
	v_cmp_eq_u32_e64 s0, 0, v0
	s_or_not1_b32 s14, s0, exec_lo
.LBB0_2577:                             ;   in Loop: Header=BB0_2575 Depth=2
	s_wait_xcnt 0x0
	s_or_b32 exec_lo, exec_lo, s15
	s_and_saveexec_b32 s15, s14
	s_cbranch_execz .LBB0_2579
; %bb.2578:                             ;   in Loop: Header=BB0_2575 Depth=2
	s_wait_loadcnt 0x0
	v_cmp_eq_u32_e64 s0, s6, v5
	v_cmp_eq_u32_e64 s1, s6, v7
	s_and_b32 s0, s0, s1
	s_delay_alu instid0(SALU_CYCLE_1)
	s_or_not1_b32 s1, s0, exec_lo
.LBB0_2579:                             ;   in Loop: Header=BB0_2575 Depth=2
	s_or_b32 exec_lo, exec_lo, s15
	s_delay_alu instid0(SALU_CYCLE_1) | instskip(NEXT) | instid1(SALU_CYCLE_1)
	s_and_b32 s0, exec_lo, s1
	s_or_b32 s13, s0, s13
	s_delay_alu instid0(SALU_CYCLE_1)
	s_and_not1_b32 exec_lo, exec_lo, s13
	s_cbranch_execnz .LBB0_2575
; %bb.2580:                             ;   in Loop: Header=BB0_2575 Depth=2
	s_or_b32 exec_lo, exec_lo, s13
	s_wait_loadcnt 0x0
	v_dual_mov_b32 v5, v6 :: v_dual_mov_b32 v14, 0
	s_mov_b32 s13, 0
	s_delay_alu instid0(VALU_DEP_1) | instskip(SKIP_1) | instid1(SALU_CYCLE_1)
	v_cmp_eq_u64_e64 s0, s[6:7], v[4:5]
	s_or_b32 s12, s0, s12
	s_and_not1_b32 exec_lo, exec_lo, s12
	s_cbranch_execnz .LBB0_2575
; %bb.2581:                             ;   in Loop: Header=BB0_1755 Depth=1
	s_or_b32 exec_lo, exec_lo, s12
	s_add_co_i32 s6, s4, 0x76
	s_mov_b32 s1, s5
	s_bfe_u32 s0, s6, 0x100003
	v_dual_mov_b32 v0, s6 :: v_dual_mov_b32 v1, s6
	s_mulk_i32 s0, 0x20c5
	v_dual_mov_b32 v3, s6 :: v_dual_mov_b32 v14, 0
	s_lshr_b32 s0, s0, 20
	s_mov_b32 s7, s5
	s_mulk_i32 s0, 0x3e8
	s_mov_b32 s12, 0
	s_sub_co_i32 s0, s6, s0
	s_delay_alu instid0(SALU_CYCLE_1) | instskip(NEXT) | instid1(SALU_CYCLE_1)
	s_and_b32 s0, s0, 0xffff
	s_lshl_b32 s0, s0, 12
	s_delay_alu instid0(SALU_CYCLE_1)
	v_add_nc_u64_e32 v[4:5], s[0:1], v[10:11]
	v_add_nc_u64_e32 v[8:9], s[0:1], v[12:13]
	global_store_b128 v[4:5], v[0:3], off th:TH_STORE_NT
.LBB0_2582:                             ;   Parent Loop BB0_1755 Depth=1
                                        ; =>  This Inner Loop Header: Depth=2
	s_wait_loadcnt 0x0
	global_load_b128 v[4:7], v[8:9], off th:TH_LOAD_NT
	v_add_nc_u32_e32 v14, 1, v14
	s_mov_b32 s1, -1
	s_mov_b32 s14, -1
	s_mov_b32 s15, exec_lo
	s_wait_xcnt 0x0
	v_cmpx_eq_u32_e32 0xf4240, v14
	s_cbranch_execz .LBB0_2584
; %bb.2583:                             ;   in Loop: Header=BB0_2582 Depth=2
	s_wait_loadcnt 0x0
	s_wait_storecnt 0x0
	global_load_b32 v0, v2, s[10:11] scope:SCOPE_SYS
	s_wait_loadcnt 0x0
	global_inv scope:SCOPE_SYS
	v_mov_b32_e32 v14, 0
	v_cmp_eq_u32_e64 s0, 0, v0
	s_or_not1_b32 s14, s0, exec_lo
.LBB0_2584:                             ;   in Loop: Header=BB0_2582 Depth=2
	s_wait_xcnt 0x0
	s_or_b32 exec_lo, exec_lo, s15
	s_and_saveexec_b32 s15, s14
	s_cbranch_execz .LBB0_2586
; %bb.2585:                             ;   in Loop: Header=BB0_2582 Depth=2
	s_wait_loadcnt 0x0
	v_cmp_eq_u32_e64 s0, s6, v5
	v_cmp_eq_u32_e64 s1, s6, v7
	s_and_b32 s0, s0, s1
	s_delay_alu instid0(SALU_CYCLE_1)
	s_or_not1_b32 s1, s0, exec_lo
.LBB0_2586:                             ;   in Loop: Header=BB0_2582 Depth=2
	s_or_b32 exec_lo, exec_lo, s15
	s_delay_alu instid0(SALU_CYCLE_1) | instskip(NEXT) | instid1(SALU_CYCLE_1)
	s_and_b32 s0, exec_lo, s1
	s_or_b32 s13, s0, s13
	s_delay_alu instid0(SALU_CYCLE_1)
	s_and_not1_b32 exec_lo, exec_lo, s13
	s_cbranch_execnz .LBB0_2582
; %bb.2587:                             ;   in Loop: Header=BB0_2582 Depth=2
	s_or_b32 exec_lo, exec_lo, s13
	s_wait_loadcnt 0x0
	v_dual_mov_b32 v5, v6 :: v_dual_mov_b32 v14, 0
	s_mov_b32 s13, 0
	s_delay_alu instid0(VALU_DEP_1) | instskip(SKIP_1) | instid1(SALU_CYCLE_1)
	v_cmp_eq_u64_e64 s0, s[6:7], v[4:5]
	s_or_b32 s12, s0, s12
	s_and_not1_b32 exec_lo, exec_lo, s12
	s_cbranch_execnz .LBB0_2582
; %bb.2588:                             ;   in Loop: Header=BB0_1755 Depth=1
	s_or_b32 exec_lo, exec_lo, s12
	s_add_co_i32 s6, s4, 0x77
	s_mov_b32 s1, s5
	s_bfe_u32 s0, s6, 0x100003
	v_dual_mov_b32 v0, s6 :: v_dual_mov_b32 v1, s6
	s_mulk_i32 s0, 0x20c5
	v_dual_mov_b32 v3, s6 :: v_dual_mov_b32 v14, 0
	s_lshr_b32 s0, s0, 20
	s_mov_b32 s7, s5
	s_mulk_i32 s0, 0x3e8
	s_mov_b32 s12, 0
	s_sub_co_i32 s0, s6, s0
	s_delay_alu instid0(SALU_CYCLE_1) | instskip(NEXT) | instid1(SALU_CYCLE_1)
	s_and_b32 s0, s0, 0xffff
	s_lshl_b32 s0, s0, 12
	s_delay_alu instid0(SALU_CYCLE_1)
	v_add_nc_u64_e32 v[4:5], s[0:1], v[10:11]
	v_add_nc_u64_e32 v[8:9], s[0:1], v[12:13]
	global_store_b128 v[4:5], v[0:3], off th:TH_STORE_NT
.LBB0_2589:                             ;   Parent Loop BB0_1755 Depth=1
                                        ; =>  This Inner Loop Header: Depth=2
	s_wait_loadcnt 0x0
	global_load_b128 v[4:7], v[8:9], off th:TH_LOAD_NT
	v_add_nc_u32_e32 v14, 1, v14
	s_mov_b32 s1, -1
	s_mov_b32 s14, -1
	s_mov_b32 s15, exec_lo
	s_wait_xcnt 0x0
	v_cmpx_eq_u32_e32 0xf4240, v14
	s_cbranch_execz .LBB0_2591
; %bb.2590:                             ;   in Loop: Header=BB0_2589 Depth=2
	s_wait_loadcnt 0x0
	s_wait_storecnt 0x0
	global_load_b32 v0, v2, s[10:11] scope:SCOPE_SYS
	s_wait_loadcnt 0x0
	global_inv scope:SCOPE_SYS
	v_mov_b32_e32 v14, 0
	v_cmp_eq_u32_e64 s0, 0, v0
	s_or_not1_b32 s14, s0, exec_lo
.LBB0_2591:                             ;   in Loop: Header=BB0_2589 Depth=2
	s_wait_xcnt 0x0
	s_or_b32 exec_lo, exec_lo, s15
	s_and_saveexec_b32 s15, s14
	s_cbranch_execz .LBB0_2593
; %bb.2592:                             ;   in Loop: Header=BB0_2589 Depth=2
	s_wait_loadcnt 0x0
	v_cmp_eq_u32_e64 s0, s6, v5
	v_cmp_eq_u32_e64 s1, s6, v7
	s_and_b32 s0, s0, s1
	s_delay_alu instid0(SALU_CYCLE_1)
	s_or_not1_b32 s1, s0, exec_lo
.LBB0_2593:                             ;   in Loop: Header=BB0_2589 Depth=2
	s_or_b32 exec_lo, exec_lo, s15
	s_delay_alu instid0(SALU_CYCLE_1) | instskip(NEXT) | instid1(SALU_CYCLE_1)
	s_and_b32 s0, exec_lo, s1
	s_or_b32 s13, s0, s13
	s_delay_alu instid0(SALU_CYCLE_1)
	s_and_not1_b32 exec_lo, exec_lo, s13
	s_cbranch_execnz .LBB0_2589
; %bb.2594:                             ;   in Loop: Header=BB0_2589 Depth=2
	s_or_b32 exec_lo, exec_lo, s13
	s_wait_loadcnt 0x0
	v_dual_mov_b32 v5, v6 :: v_dual_mov_b32 v14, 0
	s_mov_b32 s13, 0
	s_delay_alu instid0(VALU_DEP_1) | instskip(SKIP_1) | instid1(SALU_CYCLE_1)
	v_cmp_eq_u64_e64 s0, s[6:7], v[4:5]
	s_or_b32 s12, s0, s12
	s_and_not1_b32 exec_lo, exec_lo, s12
	s_cbranch_execnz .LBB0_2589
; %bb.2595:                             ;   in Loop: Header=BB0_1755 Depth=1
	s_or_b32 exec_lo, exec_lo, s12
	s_add_co_i32 s6, s4, 0x78
	s_mov_b32 s1, s5
	s_bfe_u32 s0, s6, 0x100003
	v_dual_mov_b32 v0, s6 :: v_dual_mov_b32 v1, s6
	s_mulk_i32 s0, 0x20c5
	v_dual_mov_b32 v3, s6 :: v_dual_mov_b32 v14, 0
	s_lshr_b32 s0, s0, 20
	s_mov_b32 s7, s5
	s_mulk_i32 s0, 0x3e8
	s_mov_b32 s12, 0
	s_sub_co_i32 s0, s6, s0
	s_delay_alu instid0(SALU_CYCLE_1) | instskip(NEXT) | instid1(SALU_CYCLE_1)
	s_and_b32 s0, s0, 0xffff
	s_lshl_b32 s0, s0, 12
	s_delay_alu instid0(SALU_CYCLE_1)
	v_add_nc_u64_e32 v[4:5], s[0:1], v[10:11]
	v_add_nc_u64_e32 v[8:9], s[0:1], v[12:13]
	global_store_b128 v[4:5], v[0:3], off th:TH_STORE_NT
.LBB0_2596:                             ;   Parent Loop BB0_1755 Depth=1
                                        ; =>  This Inner Loop Header: Depth=2
	s_wait_loadcnt 0x0
	global_load_b128 v[4:7], v[8:9], off th:TH_LOAD_NT
	v_add_nc_u32_e32 v14, 1, v14
	s_mov_b32 s1, -1
	s_mov_b32 s14, -1
	s_mov_b32 s15, exec_lo
	s_wait_xcnt 0x0
	v_cmpx_eq_u32_e32 0xf4240, v14
	s_cbranch_execz .LBB0_2598
; %bb.2597:                             ;   in Loop: Header=BB0_2596 Depth=2
	s_wait_loadcnt 0x0
	s_wait_storecnt 0x0
	global_load_b32 v0, v2, s[10:11] scope:SCOPE_SYS
	s_wait_loadcnt 0x0
	global_inv scope:SCOPE_SYS
	v_mov_b32_e32 v14, 0
	v_cmp_eq_u32_e64 s0, 0, v0
	s_or_not1_b32 s14, s0, exec_lo
.LBB0_2598:                             ;   in Loop: Header=BB0_2596 Depth=2
	s_wait_xcnt 0x0
	s_or_b32 exec_lo, exec_lo, s15
	s_and_saveexec_b32 s15, s14
	s_cbranch_execz .LBB0_2600
; %bb.2599:                             ;   in Loop: Header=BB0_2596 Depth=2
	s_wait_loadcnt 0x0
	v_cmp_eq_u32_e64 s0, s6, v5
	v_cmp_eq_u32_e64 s1, s6, v7
	s_and_b32 s0, s0, s1
	s_delay_alu instid0(SALU_CYCLE_1)
	s_or_not1_b32 s1, s0, exec_lo
.LBB0_2600:                             ;   in Loop: Header=BB0_2596 Depth=2
	s_or_b32 exec_lo, exec_lo, s15
	s_delay_alu instid0(SALU_CYCLE_1) | instskip(NEXT) | instid1(SALU_CYCLE_1)
	s_and_b32 s0, exec_lo, s1
	s_or_b32 s13, s0, s13
	s_delay_alu instid0(SALU_CYCLE_1)
	s_and_not1_b32 exec_lo, exec_lo, s13
	s_cbranch_execnz .LBB0_2596
; %bb.2601:                             ;   in Loop: Header=BB0_2596 Depth=2
	s_or_b32 exec_lo, exec_lo, s13
	s_wait_loadcnt 0x0
	v_dual_mov_b32 v5, v6 :: v_dual_mov_b32 v14, 0
	s_mov_b32 s13, 0
	s_delay_alu instid0(VALU_DEP_1) | instskip(SKIP_1) | instid1(SALU_CYCLE_1)
	v_cmp_eq_u64_e64 s0, s[6:7], v[4:5]
	s_or_b32 s12, s0, s12
	s_and_not1_b32 exec_lo, exec_lo, s12
	s_cbranch_execnz .LBB0_2596
; %bb.2602:                             ;   in Loop: Header=BB0_1755 Depth=1
	s_or_b32 exec_lo, exec_lo, s12
	s_add_co_i32 s6, s4, 0x79
	s_mov_b32 s1, s5
	s_bfe_u32 s0, s6, 0x100003
	v_dual_mov_b32 v0, s6 :: v_dual_mov_b32 v1, s6
	s_mulk_i32 s0, 0x20c5
	v_dual_mov_b32 v3, s6 :: v_dual_mov_b32 v14, 0
	s_lshr_b32 s0, s0, 20
	s_mov_b32 s7, s5
	s_mulk_i32 s0, 0x3e8
	s_mov_b32 s12, 0
	s_sub_co_i32 s0, s6, s0
	s_delay_alu instid0(SALU_CYCLE_1) | instskip(NEXT) | instid1(SALU_CYCLE_1)
	s_and_b32 s0, s0, 0xffff
	s_lshl_b32 s0, s0, 12
	s_delay_alu instid0(SALU_CYCLE_1)
	v_add_nc_u64_e32 v[4:5], s[0:1], v[10:11]
	v_add_nc_u64_e32 v[8:9], s[0:1], v[12:13]
	global_store_b128 v[4:5], v[0:3], off th:TH_STORE_NT
.LBB0_2603:                             ;   Parent Loop BB0_1755 Depth=1
                                        ; =>  This Inner Loop Header: Depth=2
	s_wait_loadcnt 0x0
	global_load_b128 v[4:7], v[8:9], off th:TH_LOAD_NT
	v_add_nc_u32_e32 v14, 1, v14
	s_mov_b32 s1, -1
	s_mov_b32 s14, -1
	s_mov_b32 s15, exec_lo
	s_wait_xcnt 0x0
	v_cmpx_eq_u32_e32 0xf4240, v14
	s_cbranch_execz .LBB0_2605
; %bb.2604:                             ;   in Loop: Header=BB0_2603 Depth=2
	s_wait_loadcnt 0x0
	s_wait_storecnt 0x0
	global_load_b32 v0, v2, s[10:11] scope:SCOPE_SYS
	s_wait_loadcnt 0x0
	global_inv scope:SCOPE_SYS
	v_mov_b32_e32 v14, 0
	v_cmp_eq_u32_e64 s0, 0, v0
	s_or_not1_b32 s14, s0, exec_lo
.LBB0_2605:                             ;   in Loop: Header=BB0_2603 Depth=2
	s_wait_xcnt 0x0
	s_or_b32 exec_lo, exec_lo, s15
	s_and_saveexec_b32 s15, s14
	s_cbranch_execz .LBB0_2607
; %bb.2606:                             ;   in Loop: Header=BB0_2603 Depth=2
	s_wait_loadcnt 0x0
	v_cmp_eq_u32_e64 s0, s6, v5
	v_cmp_eq_u32_e64 s1, s6, v7
	s_and_b32 s0, s0, s1
	s_delay_alu instid0(SALU_CYCLE_1)
	s_or_not1_b32 s1, s0, exec_lo
.LBB0_2607:                             ;   in Loop: Header=BB0_2603 Depth=2
	s_or_b32 exec_lo, exec_lo, s15
	s_delay_alu instid0(SALU_CYCLE_1) | instskip(NEXT) | instid1(SALU_CYCLE_1)
	s_and_b32 s0, exec_lo, s1
	s_or_b32 s13, s0, s13
	s_delay_alu instid0(SALU_CYCLE_1)
	s_and_not1_b32 exec_lo, exec_lo, s13
	s_cbranch_execnz .LBB0_2603
; %bb.2608:                             ;   in Loop: Header=BB0_2603 Depth=2
	s_or_b32 exec_lo, exec_lo, s13
	s_wait_loadcnt 0x0
	v_dual_mov_b32 v5, v6 :: v_dual_mov_b32 v14, 0
	s_mov_b32 s13, 0
	s_delay_alu instid0(VALU_DEP_1) | instskip(SKIP_1) | instid1(SALU_CYCLE_1)
	v_cmp_eq_u64_e64 s0, s[6:7], v[4:5]
	s_or_b32 s12, s0, s12
	s_and_not1_b32 exec_lo, exec_lo, s12
	s_cbranch_execnz .LBB0_2603
; %bb.2609:                             ;   in Loop: Header=BB0_1755 Depth=1
	s_or_b32 exec_lo, exec_lo, s12
	s_add_co_i32 s6, s4, 0x7a
	s_mov_b32 s1, s5
	s_bfe_u32 s0, s6, 0x100003
	v_dual_mov_b32 v0, s6 :: v_dual_mov_b32 v1, s6
	s_mulk_i32 s0, 0x20c5
	v_dual_mov_b32 v3, s6 :: v_dual_mov_b32 v14, 0
	s_lshr_b32 s0, s0, 20
	s_mov_b32 s7, s5
	s_mulk_i32 s0, 0x3e8
	s_mov_b32 s12, 0
	s_sub_co_i32 s0, s6, s0
	s_delay_alu instid0(SALU_CYCLE_1) | instskip(NEXT) | instid1(SALU_CYCLE_1)
	s_and_b32 s0, s0, 0xffff
	s_lshl_b32 s0, s0, 12
	s_delay_alu instid0(SALU_CYCLE_1)
	v_add_nc_u64_e32 v[4:5], s[0:1], v[10:11]
	v_add_nc_u64_e32 v[8:9], s[0:1], v[12:13]
	global_store_b128 v[4:5], v[0:3], off th:TH_STORE_NT
.LBB0_2610:                             ;   Parent Loop BB0_1755 Depth=1
                                        ; =>  This Inner Loop Header: Depth=2
	s_wait_loadcnt 0x0
	global_load_b128 v[4:7], v[8:9], off th:TH_LOAD_NT
	v_add_nc_u32_e32 v14, 1, v14
	s_mov_b32 s1, -1
	s_mov_b32 s14, -1
	s_mov_b32 s15, exec_lo
	s_wait_xcnt 0x0
	v_cmpx_eq_u32_e32 0xf4240, v14
	s_cbranch_execz .LBB0_2612
; %bb.2611:                             ;   in Loop: Header=BB0_2610 Depth=2
	s_wait_loadcnt 0x0
	s_wait_storecnt 0x0
	global_load_b32 v0, v2, s[10:11] scope:SCOPE_SYS
	s_wait_loadcnt 0x0
	global_inv scope:SCOPE_SYS
	v_mov_b32_e32 v14, 0
	v_cmp_eq_u32_e64 s0, 0, v0
	s_or_not1_b32 s14, s0, exec_lo
.LBB0_2612:                             ;   in Loop: Header=BB0_2610 Depth=2
	s_wait_xcnt 0x0
	s_or_b32 exec_lo, exec_lo, s15
	s_and_saveexec_b32 s15, s14
	s_cbranch_execz .LBB0_2614
; %bb.2613:                             ;   in Loop: Header=BB0_2610 Depth=2
	s_wait_loadcnt 0x0
	v_cmp_eq_u32_e64 s0, s6, v5
	v_cmp_eq_u32_e64 s1, s6, v7
	s_and_b32 s0, s0, s1
	s_delay_alu instid0(SALU_CYCLE_1)
	s_or_not1_b32 s1, s0, exec_lo
.LBB0_2614:                             ;   in Loop: Header=BB0_2610 Depth=2
	s_or_b32 exec_lo, exec_lo, s15
	s_delay_alu instid0(SALU_CYCLE_1) | instskip(NEXT) | instid1(SALU_CYCLE_1)
	s_and_b32 s0, exec_lo, s1
	s_or_b32 s13, s0, s13
	s_delay_alu instid0(SALU_CYCLE_1)
	s_and_not1_b32 exec_lo, exec_lo, s13
	s_cbranch_execnz .LBB0_2610
; %bb.2615:                             ;   in Loop: Header=BB0_2610 Depth=2
	s_or_b32 exec_lo, exec_lo, s13
	s_wait_loadcnt 0x0
	v_dual_mov_b32 v5, v6 :: v_dual_mov_b32 v14, 0
	s_mov_b32 s13, 0
	s_delay_alu instid0(VALU_DEP_1) | instskip(SKIP_1) | instid1(SALU_CYCLE_1)
	v_cmp_eq_u64_e64 s0, s[6:7], v[4:5]
	s_or_b32 s12, s0, s12
	s_and_not1_b32 exec_lo, exec_lo, s12
	s_cbranch_execnz .LBB0_2610
; %bb.2616:                             ;   in Loop: Header=BB0_1755 Depth=1
	s_or_b32 exec_lo, exec_lo, s12
	s_add_co_i32 s6, s4, 0x7b
	s_mov_b32 s1, s5
	s_bfe_u32 s0, s6, 0x100003
	v_dual_mov_b32 v0, s6 :: v_dual_mov_b32 v1, s6
	s_mulk_i32 s0, 0x20c5
	v_dual_mov_b32 v3, s6 :: v_dual_mov_b32 v14, 0
	s_lshr_b32 s0, s0, 20
	s_mov_b32 s7, s5
	s_mulk_i32 s0, 0x3e8
	s_mov_b32 s12, 0
	s_sub_co_i32 s0, s6, s0
	s_delay_alu instid0(SALU_CYCLE_1) | instskip(NEXT) | instid1(SALU_CYCLE_1)
	s_and_b32 s0, s0, 0xffff
	s_lshl_b32 s0, s0, 12
	s_delay_alu instid0(SALU_CYCLE_1)
	v_add_nc_u64_e32 v[4:5], s[0:1], v[10:11]
	v_add_nc_u64_e32 v[8:9], s[0:1], v[12:13]
	global_store_b128 v[4:5], v[0:3], off th:TH_STORE_NT
.LBB0_2617:                             ;   Parent Loop BB0_1755 Depth=1
                                        ; =>  This Inner Loop Header: Depth=2
	s_wait_loadcnt 0x0
	global_load_b128 v[4:7], v[8:9], off th:TH_LOAD_NT
	v_add_nc_u32_e32 v14, 1, v14
	s_mov_b32 s1, -1
	s_mov_b32 s14, -1
	s_mov_b32 s15, exec_lo
	s_wait_xcnt 0x0
	v_cmpx_eq_u32_e32 0xf4240, v14
	s_cbranch_execz .LBB0_2619
; %bb.2618:                             ;   in Loop: Header=BB0_2617 Depth=2
	s_wait_loadcnt 0x0
	s_wait_storecnt 0x0
	global_load_b32 v0, v2, s[10:11] scope:SCOPE_SYS
	s_wait_loadcnt 0x0
	global_inv scope:SCOPE_SYS
	v_mov_b32_e32 v14, 0
	v_cmp_eq_u32_e64 s0, 0, v0
	s_or_not1_b32 s14, s0, exec_lo
.LBB0_2619:                             ;   in Loop: Header=BB0_2617 Depth=2
	s_wait_xcnt 0x0
	s_or_b32 exec_lo, exec_lo, s15
	s_and_saveexec_b32 s15, s14
	s_cbranch_execz .LBB0_2621
; %bb.2620:                             ;   in Loop: Header=BB0_2617 Depth=2
	s_wait_loadcnt 0x0
	v_cmp_eq_u32_e64 s0, s6, v5
	v_cmp_eq_u32_e64 s1, s6, v7
	s_and_b32 s0, s0, s1
	s_delay_alu instid0(SALU_CYCLE_1)
	s_or_not1_b32 s1, s0, exec_lo
.LBB0_2621:                             ;   in Loop: Header=BB0_2617 Depth=2
	s_or_b32 exec_lo, exec_lo, s15
	s_delay_alu instid0(SALU_CYCLE_1) | instskip(NEXT) | instid1(SALU_CYCLE_1)
	s_and_b32 s0, exec_lo, s1
	s_or_b32 s13, s0, s13
	s_delay_alu instid0(SALU_CYCLE_1)
	s_and_not1_b32 exec_lo, exec_lo, s13
	s_cbranch_execnz .LBB0_2617
; %bb.2622:                             ;   in Loop: Header=BB0_2617 Depth=2
	s_or_b32 exec_lo, exec_lo, s13
	s_wait_loadcnt 0x0
	v_dual_mov_b32 v5, v6 :: v_dual_mov_b32 v14, 0
	s_mov_b32 s13, 0
	s_delay_alu instid0(VALU_DEP_1) | instskip(SKIP_1) | instid1(SALU_CYCLE_1)
	v_cmp_eq_u64_e64 s0, s[6:7], v[4:5]
	s_or_b32 s12, s0, s12
	s_and_not1_b32 exec_lo, exec_lo, s12
	s_cbranch_execnz .LBB0_2617
; %bb.2623:                             ;   in Loop: Header=BB0_1755 Depth=1
	s_or_b32 exec_lo, exec_lo, s12
	s_add_co_i32 s6, s4, 0x7c
	s_mov_b32 s1, s5
	s_bfe_u32 s0, s6, 0x100003
	v_dual_mov_b32 v0, s6 :: v_dual_mov_b32 v1, s6
	s_mulk_i32 s0, 0x20c5
	v_dual_mov_b32 v3, s6 :: v_dual_mov_b32 v14, 0
	s_lshr_b32 s0, s0, 20
	s_mov_b32 s7, s5
	s_mulk_i32 s0, 0x3e8
	s_mov_b32 s12, 0
	s_sub_co_i32 s0, s6, s0
	s_delay_alu instid0(SALU_CYCLE_1) | instskip(NEXT) | instid1(SALU_CYCLE_1)
	s_and_b32 s0, s0, 0xffff
	s_lshl_b32 s0, s0, 12
	s_delay_alu instid0(SALU_CYCLE_1)
	v_add_nc_u64_e32 v[4:5], s[0:1], v[10:11]
	v_add_nc_u64_e32 v[8:9], s[0:1], v[12:13]
	global_store_b128 v[4:5], v[0:3], off th:TH_STORE_NT
.LBB0_2624:                             ;   Parent Loop BB0_1755 Depth=1
                                        ; =>  This Inner Loop Header: Depth=2
	s_wait_loadcnt 0x0
	global_load_b128 v[4:7], v[8:9], off th:TH_LOAD_NT
	v_add_nc_u32_e32 v14, 1, v14
	s_mov_b32 s1, -1
	s_mov_b32 s14, -1
	s_mov_b32 s15, exec_lo
	s_wait_xcnt 0x0
	v_cmpx_eq_u32_e32 0xf4240, v14
	s_cbranch_execz .LBB0_2626
; %bb.2625:                             ;   in Loop: Header=BB0_2624 Depth=2
	s_wait_loadcnt 0x0
	s_wait_storecnt 0x0
	global_load_b32 v0, v2, s[10:11] scope:SCOPE_SYS
	s_wait_loadcnt 0x0
	global_inv scope:SCOPE_SYS
	v_mov_b32_e32 v14, 0
	v_cmp_eq_u32_e64 s0, 0, v0
	s_or_not1_b32 s14, s0, exec_lo
.LBB0_2626:                             ;   in Loop: Header=BB0_2624 Depth=2
	s_wait_xcnt 0x0
	s_or_b32 exec_lo, exec_lo, s15
	s_and_saveexec_b32 s15, s14
	s_cbranch_execz .LBB0_2628
; %bb.2627:                             ;   in Loop: Header=BB0_2624 Depth=2
	s_wait_loadcnt 0x0
	v_cmp_eq_u32_e64 s0, s6, v5
	v_cmp_eq_u32_e64 s1, s6, v7
	s_and_b32 s0, s0, s1
	s_delay_alu instid0(SALU_CYCLE_1)
	s_or_not1_b32 s1, s0, exec_lo
.LBB0_2628:                             ;   in Loop: Header=BB0_2624 Depth=2
	s_or_b32 exec_lo, exec_lo, s15
	s_delay_alu instid0(SALU_CYCLE_1) | instskip(NEXT) | instid1(SALU_CYCLE_1)
	s_and_b32 s0, exec_lo, s1
	s_or_b32 s13, s0, s13
	s_delay_alu instid0(SALU_CYCLE_1)
	s_and_not1_b32 exec_lo, exec_lo, s13
	s_cbranch_execnz .LBB0_2624
; %bb.2629:                             ;   in Loop: Header=BB0_2624 Depth=2
	s_or_b32 exec_lo, exec_lo, s13
	s_wait_loadcnt 0x0
	v_dual_mov_b32 v5, v6 :: v_dual_mov_b32 v14, 0
	s_mov_b32 s13, 0
	s_delay_alu instid0(VALU_DEP_1) | instskip(SKIP_1) | instid1(SALU_CYCLE_1)
	v_cmp_eq_u64_e64 s0, s[6:7], v[4:5]
	s_or_b32 s12, s0, s12
	s_and_not1_b32 exec_lo, exec_lo, s12
	s_cbranch_execnz .LBB0_2624
; %bb.2630:                             ;   in Loop: Header=BB0_1755 Depth=1
	s_or_b32 exec_lo, exec_lo, s12
	s_add_co_i32 s6, s4, 0x7d
	s_mov_b32 s1, s5
	s_bfe_u32 s0, s6, 0x100003
	v_dual_mov_b32 v0, s6 :: v_dual_mov_b32 v1, s6
	s_mulk_i32 s0, 0x20c5
	v_dual_mov_b32 v3, s6 :: v_dual_mov_b32 v14, 0
	s_lshr_b32 s0, s0, 20
	s_mov_b32 s7, s5
	s_mulk_i32 s0, 0x3e8
	s_mov_b32 s12, 0
	s_sub_co_i32 s0, s6, s0
	s_delay_alu instid0(SALU_CYCLE_1) | instskip(NEXT) | instid1(SALU_CYCLE_1)
	s_and_b32 s0, s0, 0xffff
	s_lshl_b32 s0, s0, 12
	s_delay_alu instid0(SALU_CYCLE_1)
	v_add_nc_u64_e32 v[4:5], s[0:1], v[10:11]
	v_add_nc_u64_e32 v[8:9], s[0:1], v[12:13]
	global_store_b128 v[4:5], v[0:3], off th:TH_STORE_NT
.LBB0_2631:                             ;   Parent Loop BB0_1755 Depth=1
                                        ; =>  This Inner Loop Header: Depth=2
	s_wait_loadcnt 0x0
	global_load_b128 v[4:7], v[8:9], off th:TH_LOAD_NT
	v_add_nc_u32_e32 v14, 1, v14
	s_mov_b32 s1, -1
	s_mov_b32 s14, -1
	s_mov_b32 s15, exec_lo
	s_wait_xcnt 0x0
	v_cmpx_eq_u32_e32 0xf4240, v14
	s_cbranch_execz .LBB0_2633
; %bb.2632:                             ;   in Loop: Header=BB0_2631 Depth=2
	s_wait_loadcnt 0x0
	s_wait_storecnt 0x0
	global_load_b32 v0, v2, s[10:11] scope:SCOPE_SYS
	s_wait_loadcnt 0x0
	global_inv scope:SCOPE_SYS
	v_mov_b32_e32 v14, 0
	v_cmp_eq_u32_e64 s0, 0, v0
	s_or_not1_b32 s14, s0, exec_lo
.LBB0_2633:                             ;   in Loop: Header=BB0_2631 Depth=2
	s_wait_xcnt 0x0
	s_or_b32 exec_lo, exec_lo, s15
	s_and_saveexec_b32 s15, s14
	s_cbranch_execz .LBB0_2635
; %bb.2634:                             ;   in Loop: Header=BB0_2631 Depth=2
	s_wait_loadcnt 0x0
	v_cmp_eq_u32_e64 s0, s6, v5
	v_cmp_eq_u32_e64 s1, s6, v7
	s_and_b32 s0, s0, s1
	s_delay_alu instid0(SALU_CYCLE_1)
	s_or_not1_b32 s1, s0, exec_lo
.LBB0_2635:                             ;   in Loop: Header=BB0_2631 Depth=2
	s_or_b32 exec_lo, exec_lo, s15
	s_delay_alu instid0(SALU_CYCLE_1) | instskip(NEXT) | instid1(SALU_CYCLE_1)
	s_and_b32 s0, exec_lo, s1
	s_or_b32 s13, s0, s13
	s_delay_alu instid0(SALU_CYCLE_1)
	s_and_not1_b32 exec_lo, exec_lo, s13
	s_cbranch_execnz .LBB0_2631
; %bb.2636:                             ;   in Loop: Header=BB0_2631 Depth=2
	s_or_b32 exec_lo, exec_lo, s13
	s_wait_loadcnt 0x0
	v_dual_mov_b32 v5, v6 :: v_dual_mov_b32 v14, 0
	s_mov_b32 s13, 0
	s_delay_alu instid0(VALU_DEP_1) | instskip(SKIP_1) | instid1(SALU_CYCLE_1)
	v_cmp_eq_u64_e64 s0, s[6:7], v[4:5]
	s_or_b32 s12, s0, s12
	s_and_not1_b32 exec_lo, exec_lo, s12
	s_cbranch_execnz .LBB0_2631
; %bb.2637:                             ;   in Loop: Header=BB0_1755 Depth=1
	s_or_b32 exec_lo, exec_lo, s12
	s_add_co_i32 s6, s4, 0x7e
	s_mov_b32 s1, s5
	s_bfe_u32 s0, s6, 0x100003
	v_dual_mov_b32 v0, s6 :: v_dual_mov_b32 v1, s6
	s_mulk_i32 s0, 0x20c5
	v_dual_mov_b32 v3, s6 :: v_dual_mov_b32 v14, 0
	s_lshr_b32 s0, s0, 20
	s_mov_b32 s7, s5
	s_mulk_i32 s0, 0x3e8
	s_mov_b32 s12, 0
	s_sub_co_i32 s0, s6, s0
	s_delay_alu instid0(SALU_CYCLE_1) | instskip(NEXT) | instid1(SALU_CYCLE_1)
	s_and_b32 s0, s0, 0xffff
	s_lshl_b32 s0, s0, 12
	s_delay_alu instid0(SALU_CYCLE_1)
	v_add_nc_u64_e32 v[4:5], s[0:1], v[10:11]
	v_add_nc_u64_e32 v[8:9], s[0:1], v[12:13]
	global_store_b128 v[4:5], v[0:3], off th:TH_STORE_NT
.LBB0_2638:                             ;   Parent Loop BB0_1755 Depth=1
                                        ; =>  This Inner Loop Header: Depth=2
	s_wait_loadcnt 0x0
	global_load_b128 v[4:7], v[8:9], off th:TH_LOAD_NT
	v_add_nc_u32_e32 v14, 1, v14
	s_mov_b32 s1, -1
	s_mov_b32 s14, -1
	s_mov_b32 s15, exec_lo
	s_wait_xcnt 0x0
	v_cmpx_eq_u32_e32 0xf4240, v14
	s_cbranch_execz .LBB0_2640
; %bb.2639:                             ;   in Loop: Header=BB0_2638 Depth=2
	s_wait_loadcnt 0x0
	s_wait_storecnt 0x0
	global_load_b32 v0, v2, s[10:11] scope:SCOPE_SYS
	s_wait_loadcnt 0x0
	global_inv scope:SCOPE_SYS
	v_mov_b32_e32 v14, 0
	v_cmp_eq_u32_e64 s0, 0, v0
	s_or_not1_b32 s14, s0, exec_lo
.LBB0_2640:                             ;   in Loop: Header=BB0_2638 Depth=2
	s_wait_xcnt 0x0
	s_or_b32 exec_lo, exec_lo, s15
	s_and_saveexec_b32 s15, s14
	s_cbranch_execz .LBB0_2642
; %bb.2641:                             ;   in Loop: Header=BB0_2638 Depth=2
	s_wait_loadcnt 0x0
	v_cmp_eq_u32_e64 s0, s6, v5
	v_cmp_eq_u32_e64 s1, s6, v7
	s_and_b32 s0, s0, s1
	s_delay_alu instid0(SALU_CYCLE_1)
	s_or_not1_b32 s1, s0, exec_lo
.LBB0_2642:                             ;   in Loop: Header=BB0_2638 Depth=2
	s_or_b32 exec_lo, exec_lo, s15
	s_delay_alu instid0(SALU_CYCLE_1) | instskip(NEXT) | instid1(SALU_CYCLE_1)
	s_and_b32 s0, exec_lo, s1
	s_or_b32 s13, s0, s13
	s_delay_alu instid0(SALU_CYCLE_1)
	s_and_not1_b32 exec_lo, exec_lo, s13
	s_cbranch_execnz .LBB0_2638
; %bb.2643:                             ;   in Loop: Header=BB0_2638 Depth=2
	s_or_b32 exec_lo, exec_lo, s13
	s_wait_loadcnt 0x0
	v_dual_mov_b32 v5, v6 :: v_dual_mov_b32 v14, 0
	s_mov_b32 s13, 0
	s_delay_alu instid0(VALU_DEP_1) | instskip(SKIP_1) | instid1(SALU_CYCLE_1)
	v_cmp_eq_u64_e64 s0, s[6:7], v[4:5]
	s_or_b32 s12, s0, s12
	s_and_not1_b32 exec_lo, exec_lo, s12
	s_cbranch_execnz .LBB0_2638
; %bb.2644:                             ;   in Loop: Header=BB0_1755 Depth=1
	s_or_b32 exec_lo, exec_lo, s12
	s_add_co_i32 s6, s4, 0x7f
	s_mov_b32 s1, s5
	s_bfe_u32 s0, s6, 0x100003
	v_dual_mov_b32 v0, s6 :: v_dual_mov_b32 v1, s6
	s_mulk_i32 s0, 0x20c5
	v_dual_mov_b32 v3, s6 :: v_dual_mov_b32 v14, 0
	s_lshr_b32 s0, s0, 20
	s_mov_b32 s7, s5
	s_mulk_i32 s0, 0x3e8
	s_mov_b32 s12, 0
	s_sub_co_i32 s0, s6, s0
	s_delay_alu instid0(SALU_CYCLE_1) | instskip(NEXT) | instid1(SALU_CYCLE_1)
	s_and_b32 s0, s0, 0xffff
	s_lshl_b32 s0, s0, 12
	s_delay_alu instid0(SALU_CYCLE_1)
	v_add_nc_u64_e32 v[4:5], s[0:1], v[10:11]
	v_add_nc_u64_e32 v[8:9], s[0:1], v[12:13]
	global_store_b128 v[4:5], v[0:3], off th:TH_STORE_NT
.LBB0_2645:                             ;   Parent Loop BB0_1755 Depth=1
                                        ; =>  This Inner Loop Header: Depth=2
	s_wait_loadcnt 0x0
	global_load_b128 v[4:7], v[8:9], off th:TH_LOAD_NT
	v_add_nc_u32_e32 v14, 1, v14
	s_mov_b32 s1, -1
	s_mov_b32 s14, -1
	s_mov_b32 s15, exec_lo
	s_wait_xcnt 0x0
	v_cmpx_eq_u32_e32 0xf4240, v14
	s_cbranch_execz .LBB0_2647
; %bb.2646:                             ;   in Loop: Header=BB0_2645 Depth=2
	s_wait_loadcnt 0x0
	s_wait_storecnt 0x0
	global_load_b32 v0, v2, s[10:11] scope:SCOPE_SYS
	s_wait_loadcnt 0x0
	global_inv scope:SCOPE_SYS
	v_mov_b32_e32 v14, 0
	v_cmp_eq_u32_e64 s0, 0, v0
	s_or_not1_b32 s14, s0, exec_lo
.LBB0_2647:                             ;   in Loop: Header=BB0_2645 Depth=2
	s_wait_xcnt 0x0
	s_or_b32 exec_lo, exec_lo, s15
	s_and_saveexec_b32 s15, s14
	s_cbranch_execz .LBB0_2649
; %bb.2648:                             ;   in Loop: Header=BB0_2645 Depth=2
	s_wait_loadcnt 0x0
	v_cmp_eq_u32_e64 s0, s6, v5
	v_cmp_eq_u32_e64 s1, s6, v7
	s_and_b32 s0, s0, s1
	s_delay_alu instid0(SALU_CYCLE_1)
	s_or_not1_b32 s1, s0, exec_lo
.LBB0_2649:                             ;   in Loop: Header=BB0_2645 Depth=2
	s_or_b32 exec_lo, exec_lo, s15
	s_delay_alu instid0(SALU_CYCLE_1) | instskip(NEXT) | instid1(SALU_CYCLE_1)
	s_and_b32 s0, exec_lo, s1
	s_or_b32 s13, s0, s13
	s_delay_alu instid0(SALU_CYCLE_1)
	s_and_not1_b32 exec_lo, exec_lo, s13
	s_cbranch_execnz .LBB0_2645
; %bb.2650:                             ;   in Loop: Header=BB0_2645 Depth=2
	s_or_b32 exec_lo, exec_lo, s13
	s_wait_loadcnt 0x0
	v_dual_mov_b32 v5, v6 :: v_dual_mov_b32 v14, 0
	s_mov_b32 s13, 0
	s_delay_alu instid0(VALU_DEP_1) | instskip(SKIP_1) | instid1(SALU_CYCLE_1)
	v_cmp_eq_u64_e64 s0, s[6:7], v[4:5]
	s_or_b32 s12, s0, s12
	s_and_not1_b32 exec_lo, exec_lo, s12
	s_cbranch_execnz .LBB0_2645
; %bb.2651:                             ;   in Loop: Header=BB0_1755 Depth=1
	s_or_b32 exec_lo, exec_lo, s12
	s_add_co_i32 s6, s4, 0x80
	s_mov_b32 s1, s5
	s_bfe_u32 s0, s6, 0x100003
	v_dual_mov_b32 v0, s6 :: v_dual_mov_b32 v1, s6
	s_mulk_i32 s0, 0x20c5
	v_dual_mov_b32 v3, s6 :: v_dual_mov_b32 v14, 0
	s_lshr_b32 s0, s0, 20
	s_mov_b32 s7, s5
	s_mulk_i32 s0, 0x3e8
	s_mov_b32 s12, 0
	s_sub_co_i32 s0, s6, s0
	s_delay_alu instid0(SALU_CYCLE_1) | instskip(NEXT) | instid1(SALU_CYCLE_1)
	s_and_b32 s0, s0, 0xffff
	s_lshl_b32 s0, s0, 12
	s_delay_alu instid0(SALU_CYCLE_1)
	v_add_nc_u64_e32 v[4:5], s[0:1], v[10:11]
	v_add_nc_u64_e32 v[8:9], s[0:1], v[12:13]
	global_store_b128 v[4:5], v[0:3], off th:TH_STORE_NT
.LBB0_2652:                             ;   Parent Loop BB0_1755 Depth=1
                                        ; =>  This Inner Loop Header: Depth=2
	s_wait_loadcnt 0x0
	global_load_b128 v[4:7], v[8:9], off th:TH_LOAD_NT
	v_add_nc_u32_e32 v14, 1, v14
	s_mov_b32 s1, -1
	s_mov_b32 s14, -1
	s_mov_b32 s15, exec_lo
	s_wait_xcnt 0x0
	v_cmpx_eq_u32_e32 0xf4240, v14
	s_cbranch_execz .LBB0_2654
; %bb.2653:                             ;   in Loop: Header=BB0_2652 Depth=2
	s_wait_loadcnt 0x0
	s_wait_storecnt 0x0
	global_load_b32 v0, v2, s[10:11] scope:SCOPE_SYS
	s_wait_loadcnt 0x0
	global_inv scope:SCOPE_SYS
	v_mov_b32_e32 v14, 0
	v_cmp_eq_u32_e64 s0, 0, v0
	s_or_not1_b32 s14, s0, exec_lo
.LBB0_2654:                             ;   in Loop: Header=BB0_2652 Depth=2
	s_wait_xcnt 0x0
	s_or_b32 exec_lo, exec_lo, s15
	s_and_saveexec_b32 s15, s14
	s_cbranch_execz .LBB0_2656
; %bb.2655:                             ;   in Loop: Header=BB0_2652 Depth=2
	s_wait_loadcnt 0x0
	v_cmp_eq_u32_e64 s0, s6, v5
	v_cmp_eq_u32_e64 s1, s6, v7
	s_and_b32 s0, s0, s1
	s_delay_alu instid0(SALU_CYCLE_1)
	s_or_not1_b32 s1, s0, exec_lo
.LBB0_2656:                             ;   in Loop: Header=BB0_2652 Depth=2
	s_or_b32 exec_lo, exec_lo, s15
	s_delay_alu instid0(SALU_CYCLE_1) | instskip(NEXT) | instid1(SALU_CYCLE_1)
	s_and_b32 s0, exec_lo, s1
	s_or_b32 s13, s0, s13
	s_delay_alu instid0(SALU_CYCLE_1)
	s_and_not1_b32 exec_lo, exec_lo, s13
	s_cbranch_execnz .LBB0_2652
; %bb.2657:                             ;   in Loop: Header=BB0_2652 Depth=2
	s_or_b32 exec_lo, exec_lo, s13
	s_wait_loadcnt 0x0
	v_dual_mov_b32 v5, v6 :: v_dual_mov_b32 v14, 0
	s_mov_b32 s13, 0
	s_delay_alu instid0(VALU_DEP_1) | instskip(SKIP_1) | instid1(SALU_CYCLE_1)
	v_cmp_eq_u64_e64 s0, s[6:7], v[4:5]
	s_or_b32 s12, s0, s12
	s_and_not1_b32 exec_lo, exec_lo, s12
	s_cbranch_execnz .LBB0_2652
; %bb.2658:                             ;   in Loop: Header=BB0_1755 Depth=1
	s_or_b32 exec_lo, exec_lo, s12
	s_add_co_i32 s6, s4, 0x81
	s_mov_b32 s1, s5
	s_bfe_u32 s0, s6, 0x100003
	v_dual_mov_b32 v0, s6 :: v_dual_mov_b32 v1, s6
	s_mulk_i32 s0, 0x20c5
	v_dual_mov_b32 v3, s6 :: v_dual_mov_b32 v14, 0
	s_lshr_b32 s0, s0, 20
	s_mov_b32 s7, s5
	s_mulk_i32 s0, 0x3e8
	s_mov_b32 s12, 0
	s_sub_co_i32 s0, s6, s0
	s_delay_alu instid0(SALU_CYCLE_1) | instskip(NEXT) | instid1(SALU_CYCLE_1)
	s_and_b32 s0, s0, 0xffff
	s_lshl_b32 s0, s0, 12
	s_delay_alu instid0(SALU_CYCLE_1)
	v_add_nc_u64_e32 v[4:5], s[0:1], v[10:11]
	v_add_nc_u64_e32 v[8:9], s[0:1], v[12:13]
	global_store_b128 v[4:5], v[0:3], off th:TH_STORE_NT
.LBB0_2659:                             ;   Parent Loop BB0_1755 Depth=1
                                        ; =>  This Inner Loop Header: Depth=2
	s_wait_loadcnt 0x0
	global_load_b128 v[4:7], v[8:9], off th:TH_LOAD_NT
	v_add_nc_u32_e32 v14, 1, v14
	s_mov_b32 s1, -1
	s_mov_b32 s14, -1
	s_mov_b32 s15, exec_lo
	s_wait_xcnt 0x0
	v_cmpx_eq_u32_e32 0xf4240, v14
	s_cbranch_execz .LBB0_2661
; %bb.2660:                             ;   in Loop: Header=BB0_2659 Depth=2
	s_wait_loadcnt 0x0
	s_wait_storecnt 0x0
	global_load_b32 v0, v2, s[10:11] scope:SCOPE_SYS
	s_wait_loadcnt 0x0
	global_inv scope:SCOPE_SYS
	v_mov_b32_e32 v14, 0
	v_cmp_eq_u32_e64 s0, 0, v0
	s_or_not1_b32 s14, s0, exec_lo
.LBB0_2661:                             ;   in Loop: Header=BB0_2659 Depth=2
	s_wait_xcnt 0x0
	s_or_b32 exec_lo, exec_lo, s15
	s_and_saveexec_b32 s15, s14
	s_cbranch_execz .LBB0_2663
; %bb.2662:                             ;   in Loop: Header=BB0_2659 Depth=2
	s_wait_loadcnt 0x0
	v_cmp_eq_u32_e64 s0, s6, v5
	v_cmp_eq_u32_e64 s1, s6, v7
	s_and_b32 s0, s0, s1
	s_delay_alu instid0(SALU_CYCLE_1)
	s_or_not1_b32 s1, s0, exec_lo
.LBB0_2663:                             ;   in Loop: Header=BB0_2659 Depth=2
	s_or_b32 exec_lo, exec_lo, s15
	s_delay_alu instid0(SALU_CYCLE_1) | instskip(NEXT) | instid1(SALU_CYCLE_1)
	s_and_b32 s0, exec_lo, s1
	s_or_b32 s13, s0, s13
	s_delay_alu instid0(SALU_CYCLE_1)
	s_and_not1_b32 exec_lo, exec_lo, s13
	s_cbranch_execnz .LBB0_2659
; %bb.2664:                             ;   in Loop: Header=BB0_2659 Depth=2
	s_or_b32 exec_lo, exec_lo, s13
	s_wait_loadcnt 0x0
	v_dual_mov_b32 v5, v6 :: v_dual_mov_b32 v14, 0
	s_mov_b32 s13, 0
	s_delay_alu instid0(VALU_DEP_1) | instskip(SKIP_1) | instid1(SALU_CYCLE_1)
	v_cmp_eq_u64_e64 s0, s[6:7], v[4:5]
	s_or_b32 s12, s0, s12
	s_and_not1_b32 exec_lo, exec_lo, s12
	s_cbranch_execnz .LBB0_2659
; %bb.2665:                             ;   in Loop: Header=BB0_1755 Depth=1
	s_or_b32 exec_lo, exec_lo, s12
	s_add_co_i32 s6, s4, 0x82
	s_mov_b32 s1, s5
	s_bfe_u32 s0, s6, 0x100003
	v_dual_mov_b32 v0, s6 :: v_dual_mov_b32 v1, s6
	s_mulk_i32 s0, 0x20c5
	v_dual_mov_b32 v3, s6 :: v_dual_mov_b32 v14, 0
	s_lshr_b32 s0, s0, 20
	s_mov_b32 s7, s5
	s_mulk_i32 s0, 0x3e8
	s_mov_b32 s12, 0
	s_sub_co_i32 s0, s6, s0
	s_delay_alu instid0(SALU_CYCLE_1) | instskip(NEXT) | instid1(SALU_CYCLE_1)
	s_and_b32 s0, s0, 0xffff
	s_lshl_b32 s0, s0, 12
	s_delay_alu instid0(SALU_CYCLE_1)
	v_add_nc_u64_e32 v[4:5], s[0:1], v[10:11]
	v_add_nc_u64_e32 v[8:9], s[0:1], v[12:13]
	global_store_b128 v[4:5], v[0:3], off th:TH_STORE_NT
.LBB0_2666:                             ;   Parent Loop BB0_1755 Depth=1
                                        ; =>  This Inner Loop Header: Depth=2
	s_wait_loadcnt 0x0
	global_load_b128 v[4:7], v[8:9], off th:TH_LOAD_NT
	v_add_nc_u32_e32 v14, 1, v14
	s_mov_b32 s1, -1
	s_mov_b32 s14, -1
	s_mov_b32 s15, exec_lo
	s_wait_xcnt 0x0
	v_cmpx_eq_u32_e32 0xf4240, v14
	s_cbranch_execz .LBB0_2668
; %bb.2667:                             ;   in Loop: Header=BB0_2666 Depth=2
	s_wait_loadcnt 0x0
	s_wait_storecnt 0x0
	global_load_b32 v0, v2, s[10:11] scope:SCOPE_SYS
	s_wait_loadcnt 0x0
	global_inv scope:SCOPE_SYS
	v_mov_b32_e32 v14, 0
	v_cmp_eq_u32_e64 s0, 0, v0
	s_or_not1_b32 s14, s0, exec_lo
.LBB0_2668:                             ;   in Loop: Header=BB0_2666 Depth=2
	s_wait_xcnt 0x0
	s_or_b32 exec_lo, exec_lo, s15
	s_and_saveexec_b32 s15, s14
	s_cbranch_execz .LBB0_2670
; %bb.2669:                             ;   in Loop: Header=BB0_2666 Depth=2
	s_wait_loadcnt 0x0
	v_cmp_eq_u32_e64 s0, s6, v5
	v_cmp_eq_u32_e64 s1, s6, v7
	s_and_b32 s0, s0, s1
	s_delay_alu instid0(SALU_CYCLE_1)
	s_or_not1_b32 s1, s0, exec_lo
.LBB0_2670:                             ;   in Loop: Header=BB0_2666 Depth=2
	s_or_b32 exec_lo, exec_lo, s15
	s_delay_alu instid0(SALU_CYCLE_1) | instskip(NEXT) | instid1(SALU_CYCLE_1)
	s_and_b32 s0, exec_lo, s1
	s_or_b32 s13, s0, s13
	s_delay_alu instid0(SALU_CYCLE_1)
	s_and_not1_b32 exec_lo, exec_lo, s13
	s_cbranch_execnz .LBB0_2666
; %bb.2671:                             ;   in Loop: Header=BB0_2666 Depth=2
	s_or_b32 exec_lo, exec_lo, s13
	s_wait_loadcnt 0x0
	v_dual_mov_b32 v5, v6 :: v_dual_mov_b32 v14, 0
	s_mov_b32 s13, 0
	s_delay_alu instid0(VALU_DEP_1) | instskip(SKIP_1) | instid1(SALU_CYCLE_1)
	v_cmp_eq_u64_e64 s0, s[6:7], v[4:5]
	s_or_b32 s12, s0, s12
	s_and_not1_b32 exec_lo, exec_lo, s12
	s_cbranch_execnz .LBB0_2666
; %bb.2672:                             ;   in Loop: Header=BB0_1755 Depth=1
	s_or_b32 exec_lo, exec_lo, s12
	s_add_co_i32 s6, s4, 0x83
	s_mov_b32 s1, s5
	s_bfe_u32 s0, s6, 0x100003
	v_dual_mov_b32 v0, s6 :: v_dual_mov_b32 v1, s6
	s_mulk_i32 s0, 0x20c5
	v_dual_mov_b32 v3, s6 :: v_dual_mov_b32 v14, 0
	s_lshr_b32 s0, s0, 20
	s_mov_b32 s7, s5
	s_mulk_i32 s0, 0x3e8
	s_mov_b32 s12, 0
	s_sub_co_i32 s0, s6, s0
	s_delay_alu instid0(SALU_CYCLE_1) | instskip(NEXT) | instid1(SALU_CYCLE_1)
	s_and_b32 s0, s0, 0xffff
	s_lshl_b32 s0, s0, 12
	s_delay_alu instid0(SALU_CYCLE_1)
	v_add_nc_u64_e32 v[4:5], s[0:1], v[10:11]
	v_add_nc_u64_e32 v[8:9], s[0:1], v[12:13]
	global_store_b128 v[4:5], v[0:3], off th:TH_STORE_NT
.LBB0_2673:                             ;   Parent Loop BB0_1755 Depth=1
                                        ; =>  This Inner Loop Header: Depth=2
	s_wait_loadcnt 0x0
	global_load_b128 v[4:7], v[8:9], off th:TH_LOAD_NT
	v_add_nc_u32_e32 v14, 1, v14
	s_mov_b32 s1, -1
	s_mov_b32 s14, -1
	s_mov_b32 s15, exec_lo
	s_wait_xcnt 0x0
	v_cmpx_eq_u32_e32 0xf4240, v14
	s_cbranch_execz .LBB0_2675
; %bb.2674:                             ;   in Loop: Header=BB0_2673 Depth=2
	s_wait_loadcnt 0x0
	s_wait_storecnt 0x0
	global_load_b32 v0, v2, s[10:11] scope:SCOPE_SYS
	s_wait_loadcnt 0x0
	global_inv scope:SCOPE_SYS
	v_mov_b32_e32 v14, 0
	v_cmp_eq_u32_e64 s0, 0, v0
	s_or_not1_b32 s14, s0, exec_lo
.LBB0_2675:                             ;   in Loop: Header=BB0_2673 Depth=2
	s_wait_xcnt 0x0
	s_or_b32 exec_lo, exec_lo, s15
	s_and_saveexec_b32 s15, s14
	s_cbranch_execz .LBB0_2677
; %bb.2676:                             ;   in Loop: Header=BB0_2673 Depth=2
	s_wait_loadcnt 0x0
	v_cmp_eq_u32_e64 s0, s6, v5
	v_cmp_eq_u32_e64 s1, s6, v7
	s_and_b32 s0, s0, s1
	s_delay_alu instid0(SALU_CYCLE_1)
	s_or_not1_b32 s1, s0, exec_lo
.LBB0_2677:                             ;   in Loop: Header=BB0_2673 Depth=2
	s_or_b32 exec_lo, exec_lo, s15
	s_delay_alu instid0(SALU_CYCLE_1) | instskip(NEXT) | instid1(SALU_CYCLE_1)
	s_and_b32 s0, exec_lo, s1
	s_or_b32 s13, s0, s13
	s_delay_alu instid0(SALU_CYCLE_1)
	s_and_not1_b32 exec_lo, exec_lo, s13
	s_cbranch_execnz .LBB0_2673
; %bb.2678:                             ;   in Loop: Header=BB0_2673 Depth=2
	s_or_b32 exec_lo, exec_lo, s13
	s_wait_loadcnt 0x0
	v_dual_mov_b32 v5, v6 :: v_dual_mov_b32 v14, 0
	s_mov_b32 s13, 0
	s_delay_alu instid0(VALU_DEP_1) | instskip(SKIP_1) | instid1(SALU_CYCLE_1)
	v_cmp_eq_u64_e64 s0, s[6:7], v[4:5]
	s_or_b32 s12, s0, s12
	s_and_not1_b32 exec_lo, exec_lo, s12
	s_cbranch_execnz .LBB0_2673
; %bb.2679:                             ;   in Loop: Header=BB0_1755 Depth=1
	s_or_b32 exec_lo, exec_lo, s12
	s_add_co_i32 s6, s4, 0x84
	s_mov_b32 s1, s5
	s_bfe_u32 s0, s6, 0x100003
	v_dual_mov_b32 v0, s6 :: v_dual_mov_b32 v1, s6
	s_mulk_i32 s0, 0x20c5
	v_dual_mov_b32 v3, s6 :: v_dual_mov_b32 v14, 0
	s_lshr_b32 s0, s0, 20
	s_mov_b32 s7, s5
	s_mulk_i32 s0, 0x3e8
	s_mov_b32 s12, 0
	s_sub_co_i32 s0, s6, s0
	s_delay_alu instid0(SALU_CYCLE_1) | instskip(NEXT) | instid1(SALU_CYCLE_1)
	s_and_b32 s0, s0, 0xffff
	s_lshl_b32 s0, s0, 12
	s_delay_alu instid0(SALU_CYCLE_1)
	v_add_nc_u64_e32 v[4:5], s[0:1], v[10:11]
	v_add_nc_u64_e32 v[8:9], s[0:1], v[12:13]
	global_store_b128 v[4:5], v[0:3], off th:TH_STORE_NT
.LBB0_2680:                             ;   Parent Loop BB0_1755 Depth=1
                                        ; =>  This Inner Loop Header: Depth=2
	s_wait_loadcnt 0x0
	global_load_b128 v[4:7], v[8:9], off th:TH_LOAD_NT
	v_add_nc_u32_e32 v14, 1, v14
	s_mov_b32 s1, -1
	s_mov_b32 s14, -1
	s_mov_b32 s15, exec_lo
	s_wait_xcnt 0x0
	v_cmpx_eq_u32_e32 0xf4240, v14
	s_cbranch_execz .LBB0_2682
; %bb.2681:                             ;   in Loop: Header=BB0_2680 Depth=2
	s_wait_loadcnt 0x0
	s_wait_storecnt 0x0
	global_load_b32 v0, v2, s[10:11] scope:SCOPE_SYS
	s_wait_loadcnt 0x0
	global_inv scope:SCOPE_SYS
	v_mov_b32_e32 v14, 0
	v_cmp_eq_u32_e64 s0, 0, v0
	s_or_not1_b32 s14, s0, exec_lo
.LBB0_2682:                             ;   in Loop: Header=BB0_2680 Depth=2
	s_wait_xcnt 0x0
	s_or_b32 exec_lo, exec_lo, s15
	s_and_saveexec_b32 s15, s14
	s_cbranch_execz .LBB0_2684
; %bb.2683:                             ;   in Loop: Header=BB0_2680 Depth=2
	s_wait_loadcnt 0x0
	v_cmp_eq_u32_e64 s0, s6, v5
	v_cmp_eq_u32_e64 s1, s6, v7
	s_and_b32 s0, s0, s1
	s_delay_alu instid0(SALU_CYCLE_1)
	s_or_not1_b32 s1, s0, exec_lo
.LBB0_2684:                             ;   in Loop: Header=BB0_2680 Depth=2
	s_or_b32 exec_lo, exec_lo, s15
	s_delay_alu instid0(SALU_CYCLE_1) | instskip(NEXT) | instid1(SALU_CYCLE_1)
	s_and_b32 s0, exec_lo, s1
	s_or_b32 s13, s0, s13
	s_delay_alu instid0(SALU_CYCLE_1)
	s_and_not1_b32 exec_lo, exec_lo, s13
	s_cbranch_execnz .LBB0_2680
; %bb.2685:                             ;   in Loop: Header=BB0_2680 Depth=2
	s_or_b32 exec_lo, exec_lo, s13
	s_wait_loadcnt 0x0
	v_dual_mov_b32 v5, v6 :: v_dual_mov_b32 v14, 0
	s_mov_b32 s13, 0
	s_delay_alu instid0(VALU_DEP_1) | instskip(SKIP_1) | instid1(SALU_CYCLE_1)
	v_cmp_eq_u64_e64 s0, s[6:7], v[4:5]
	s_or_b32 s12, s0, s12
	s_and_not1_b32 exec_lo, exec_lo, s12
	s_cbranch_execnz .LBB0_2680
; %bb.2686:                             ;   in Loop: Header=BB0_1755 Depth=1
	s_or_b32 exec_lo, exec_lo, s12
	s_add_co_i32 s6, s4, 0x85
	s_mov_b32 s1, s5
	s_bfe_u32 s0, s6, 0x100003
	v_dual_mov_b32 v0, s6 :: v_dual_mov_b32 v1, s6
	s_mulk_i32 s0, 0x20c5
	v_dual_mov_b32 v3, s6 :: v_dual_mov_b32 v14, 0
	s_lshr_b32 s0, s0, 20
	s_mov_b32 s7, s5
	s_mulk_i32 s0, 0x3e8
	s_mov_b32 s12, 0
	s_sub_co_i32 s0, s6, s0
	s_delay_alu instid0(SALU_CYCLE_1) | instskip(NEXT) | instid1(SALU_CYCLE_1)
	s_and_b32 s0, s0, 0xffff
	s_lshl_b32 s0, s0, 12
	s_delay_alu instid0(SALU_CYCLE_1)
	v_add_nc_u64_e32 v[4:5], s[0:1], v[10:11]
	v_add_nc_u64_e32 v[8:9], s[0:1], v[12:13]
	global_store_b128 v[4:5], v[0:3], off th:TH_STORE_NT
.LBB0_2687:                             ;   Parent Loop BB0_1755 Depth=1
                                        ; =>  This Inner Loop Header: Depth=2
	s_wait_loadcnt 0x0
	global_load_b128 v[4:7], v[8:9], off th:TH_LOAD_NT
	v_add_nc_u32_e32 v14, 1, v14
	s_mov_b32 s1, -1
	s_mov_b32 s14, -1
	s_mov_b32 s15, exec_lo
	s_wait_xcnt 0x0
	v_cmpx_eq_u32_e32 0xf4240, v14
	s_cbranch_execz .LBB0_2689
; %bb.2688:                             ;   in Loop: Header=BB0_2687 Depth=2
	s_wait_loadcnt 0x0
	s_wait_storecnt 0x0
	global_load_b32 v0, v2, s[10:11] scope:SCOPE_SYS
	s_wait_loadcnt 0x0
	global_inv scope:SCOPE_SYS
	v_mov_b32_e32 v14, 0
	v_cmp_eq_u32_e64 s0, 0, v0
	s_or_not1_b32 s14, s0, exec_lo
.LBB0_2689:                             ;   in Loop: Header=BB0_2687 Depth=2
	s_wait_xcnt 0x0
	s_or_b32 exec_lo, exec_lo, s15
	s_and_saveexec_b32 s15, s14
	s_cbranch_execz .LBB0_2691
; %bb.2690:                             ;   in Loop: Header=BB0_2687 Depth=2
	s_wait_loadcnt 0x0
	v_cmp_eq_u32_e64 s0, s6, v5
	v_cmp_eq_u32_e64 s1, s6, v7
	s_and_b32 s0, s0, s1
	s_delay_alu instid0(SALU_CYCLE_1)
	s_or_not1_b32 s1, s0, exec_lo
.LBB0_2691:                             ;   in Loop: Header=BB0_2687 Depth=2
	s_or_b32 exec_lo, exec_lo, s15
	s_delay_alu instid0(SALU_CYCLE_1) | instskip(NEXT) | instid1(SALU_CYCLE_1)
	s_and_b32 s0, exec_lo, s1
	s_or_b32 s13, s0, s13
	s_delay_alu instid0(SALU_CYCLE_1)
	s_and_not1_b32 exec_lo, exec_lo, s13
	s_cbranch_execnz .LBB0_2687
; %bb.2692:                             ;   in Loop: Header=BB0_2687 Depth=2
	s_or_b32 exec_lo, exec_lo, s13
	s_wait_loadcnt 0x0
	v_dual_mov_b32 v5, v6 :: v_dual_mov_b32 v14, 0
	s_mov_b32 s13, 0
	s_delay_alu instid0(VALU_DEP_1) | instskip(SKIP_1) | instid1(SALU_CYCLE_1)
	v_cmp_eq_u64_e64 s0, s[6:7], v[4:5]
	s_or_b32 s12, s0, s12
	s_and_not1_b32 exec_lo, exec_lo, s12
	s_cbranch_execnz .LBB0_2687
; %bb.2693:                             ;   in Loop: Header=BB0_1755 Depth=1
	s_or_b32 exec_lo, exec_lo, s12
	s_add_co_i32 s6, s4, 0x86
	s_mov_b32 s1, s5
	s_bfe_u32 s0, s6, 0x100003
	v_dual_mov_b32 v0, s6 :: v_dual_mov_b32 v1, s6
	s_mulk_i32 s0, 0x20c5
	v_dual_mov_b32 v3, s6 :: v_dual_mov_b32 v14, 0
	s_lshr_b32 s0, s0, 20
	s_mov_b32 s7, s5
	s_mulk_i32 s0, 0x3e8
	s_mov_b32 s12, 0
	s_sub_co_i32 s0, s6, s0
	s_delay_alu instid0(SALU_CYCLE_1) | instskip(NEXT) | instid1(SALU_CYCLE_1)
	s_and_b32 s0, s0, 0xffff
	s_lshl_b32 s0, s0, 12
	s_delay_alu instid0(SALU_CYCLE_1)
	v_add_nc_u64_e32 v[4:5], s[0:1], v[10:11]
	v_add_nc_u64_e32 v[8:9], s[0:1], v[12:13]
	global_store_b128 v[4:5], v[0:3], off th:TH_STORE_NT
.LBB0_2694:                             ;   Parent Loop BB0_1755 Depth=1
                                        ; =>  This Inner Loop Header: Depth=2
	s_wait_loadcnt 0x0
	global_load_b128 v[4:7], v[8:9], off th:TH_LOAD_NT
	v_add_nc_u32_e32 v14, 1, v14
	s_mov_b32 s1, -1
	s_mov_b32 s14, -1
	s_mov_b32 s15, exec_lo
	s_wait_xcnt 0x0
	v_cmpx_eq_u32_e32 0xf4240, v14
	s_cbranch_execz .LBB0_2696
; %bb.2695:                             ;   in Loop: Header=BB0_2694 Depth=2
	s_wait_loadcnt 0x0
	s_wait_storecnt 0x0
	global_load_b32 v0, v2, s[10:11] scope:SCOPE_SYS
	s_wait_loadcnt 0x0
	global_inv scope:SCOPE_SYS
	v_mov_b32_e32 v14, 0
	v_cmp_eq_u32_e64 s0, 0, v0
	s_or_not1_b32 s14, s0, exec_lo
.LBB0_2696:                             ;   in Loop: Header=BB0_2694 Depth=2
	s_wait_xcnt 0x0
	s_or_b32 exec_lo, exec_lo, s15
	s_and_saveexec_b32 s15, s14
	s_cbranch_execz .LBB0_2698
; %bb.2697:                             ;   in Loop: Header=BB0_2694 Depth=2
	s_wait_loadcnt 0x0
	v_cmp_eq_u32_e64 s0, s6, v5
	v_cmp_eq_u32_e64 s1, s6, v7
	s_and_b32 s0, s0, s1
	s_delay_alu instid0(SALU_CYCLE_1)
	s_or_not1_b32 s1, s0, exec_lo
.LBB0_2698:                             ;   in Loop: Header=BB0_2694 Depth=2
	s_or_b32 exec_lo, exec_lo, s15
	s_delay_alu instid0(SALU_CYCLE_1) | instskip(NEXT) | instid1(SALU_CYCLE_1)
	s_and_b32 s0, exec_lo, s1
	s_or_b32 s13, s0, s13
	s_delay_alu instid0(SALU_CYCLE_1)
	s_and_not1_b32 exec_lo, exec_lo, s13
	s_cbranch_execnz .LBB0_2694
; %bb.2699:                             ;   in Loop: Header=BB0_2694 Depth=2
	s_or_b32 exec_lo, exec_lo, s13
	s_wait_loadcnt 0x0
	v_dual_mov_b32 v5, v6 :: v_dual_mov_b32 v14, 0
	s_mov_b32 s13, 0
	s_delay_alu instid0(VALU_DEP_1) | instskip(SKIP_1) | instid1(SALU_CYCLE_1)
	v_cmp_eq_u64_e64 s0, s[6:7], v[4:5]
	s_or_b32 s12, s0, s12
	s_and_not1_b32 exec_lo, exec_lo, s12
	s_cbranch_execnz .LBB0_2694
; %bb.2700:                             ;   in Loop: Header=BB0_1755 Depth=1
	s_or_b32 exec_lo, exec_lo, s12
	s_add_co_i32 s6, s4, 0x87
	s_mov_b32 s1, s5
	s_bfe_u32 s0, s6, 0x100003
	v_dual_mov_b32 v0, s6 :: v_dual_mov_b32 v1, s6
	s_mulk_i32 s0, 0x20c5
	v_dual_mov_b32 v3, s6 :: v_dual_mov_b32 v14, 0
	s_lshr_b32 s0, s0, 20
	s_mov_b32 s7, s5
	s_mulk_i32 s0, 0x3e8
	s_mov_b32 s12, 0
	s_sub_co_i32 s0, s6, s0
	s_delay_alu instid0(SALU_CYCLE_1) | instskip(NEXT) | instid1(SALU_CYCLE_1)
	s_and_b32 s0, s0, 0xffff
	s_lshl_b32 s0, s0, 12
	s_delay_alu instid0(SALU_CYCLE_1)
	v_add_nc_u64_e32 v[4:5], s[0:1], v[10:11]
	v_add_nc_u64_e32 v[8:9], s[0:1], v[12:13]
	global_store_b128 v[4:5], v[0:3], off th:TH_STORE_NT
.LBB0_2701:                             ;   Parent Loop BB0_1755 Depth=1
                                        ; =>  This Inner Loop Header: Depth=2
	s_wait_loadcnt 0x0
	global_load_b128 v[4:7], v[8:9], off th:TH_LOAD_NT
	v_add_nc_u32_e32 v14, 1, v14
	s_mov_b32 s1, -1
	s_mov_b32 s14, -1
	s_mov_b32 s15, exec_lo
	s_wait_xcnt 0x0
	v_cmpx_eq_u32_e32 0xf4240, v14
	s_cbranch_execz .LBB0_2703
; %bb.2702:                             ;   in Loop: Header=BB0_2701 Depth=2
	s_wait_loadcnt 0x0
	s_wait_storecnt 0x0
	global_load_b32 v0, v2, s[10:11] scope:SCOPE_SYS
	s_wait_loadcnt 0x0
	global_inv scope:SCOPE_SYS
	v_mov_b32_e32 v14, 0
	v_cmp_eq_u32_e64 s0, 0, v0
	s_or_not1_b32 s14, s0, exec_lo
.LBB0_2703:                             ;   in Loop: Header=BB0_2701 Depth=2
	s_wait_xcnt 0x0
	s_or_b32 exec_lo, exec_lo, s15
	s_and_saveexec_b32 s15, s14
	s_cbranch_execz .LBB0_2705
; %bb.2704:                             ;   in Loop: Header=BB0_2701 Depth=2
	s_wait_loadcnt 0x0
	v_cmp_eq_u32_e64 s0, s6, v5
	v_cmp_eq_u32_e64 s1, s6, v7
	s_and_b32 s0, s0, s1
	s_delay_alu instid0(SALU_CYCLE_1)
	s_or_not1_b32 s1, s0, exec_lo
.LBB0_2705:                             ;   in Loop: Header=BB0_2701 Depth=2
	s_or_b32 exec_lo, exec_lo, s15
	s_delay_alu instid0(SALU_CYCLE_1) | instskip(NEXT) | instid1(SALU_CYCLE_1)
	s_and_b32 s0, exec_lo, s1
	s_or_b32 s13, s0, s13
	s_delay_alu instid0(SALU_CYCLE_1)
	s_and_not1_b32 exec_lo, exec_lo, s13
	s_cbranch_execnz .LBB0_2701
; %bb.2706:                             ;   in Loop: Header=BB0_2701 Depth=2
	s_or_b32 exec_lo, exec_lo, s13
	s_wait_loadcnt 0x0
	v_dual_mov_b32 v5, v6 :: v_dual_mov_b32 v14, 0
	s_mov_b32 s13, 0
	s_delay_alu instid0(VALU_DEP_1) | instskip(SKIP_1) | instid1(SALU_CYCLE_1)
	v_cmp_eq_u64_e64 s0, s[6:7], v[4:5]
	s_or_b32 s12, s0, s12
	s_and_not1_b32 exec_lo, exec_lo, s12
	s_cbranch_execnz .LBB0_2701
; %bb.2707:                             ;   in Loop: Header=BB0_1755 Depth=1
	s_or_b32 exec_lo, exec_lo, s12
	s_add_co_i32 s6, s4, 0x88
	s_mov_b32 s1, s5
	s_bfe_u32 s0, s6, 0x100003
	v_dual_mov_b32 v0, s6 :: v_dual_mov_b32 v1, s6
	s_mulk_i32 s0, 0x20c5
	v_dual_mov_b32 v3, s6 :: v_dual_mov_b32 v14, 0
	s_lshr_b32 s0, s0, 20
	s_mov_b32 s7, s5
	s_mulk_i32 s0, 0x3e8
	s_mov_b32 s12, 0
	s_sub_co_i32 s0, s6, s0
	s_delay_alu instid0(SALU_CYCLE_1) | instskip(NEXT) | instid1(SALU_CYCLE_1)
	s_and_b32 s0, s0, 0xffff
	s_lshl_b32 s0, s0, 12
	s_delay_alu instid0(SALU_CYCLE_1)
	v_add_nc_u64_e32 v[4:5], s[0:1], v[10:11]
	v_add_nc_u64_e32 v[8:9], s[0:1], v[12:13]
	global_store_b128 v[4:5], v[0:3], off th:TH_STORE_NT
.LBB0_2708:                             ;   Parent Loop BB0_1755 Depth=1
                                        ; =>  This Inner Loop Header: Depth=2
	s_wait_loadcnt 0x0
	global_load_b128 v[4:7], v[8:9], off th:TH_LOAD_NT
	v_add_nc_u32_e32 v14, 1, v14
	s_mov_b32 s1, -1
	s_mov_b32 s14, -1
	s_mov_b32 s15, exec_lo
	s_wait_xcnt 0x0
	v_cmpx_eq_u32_e32 0xf4240, v14
	s_cbranch_execz .LBB0_2710
; %bb.2709:                             ;   in Loop: Header=BB0_2708 Depth=2
	s_wait_loadcnt 0x0
	s_wait_storecnt 0x0
	global_load_b32 v0, v2, s[10:11] scope:SCOPE_SYS
	s_wait_loadcnt 0x0
	global_inv scope:SCOPE_SYS
	v_mov_b32_e32 v14, 0
	v_cmp_eq_u32_e64 s0, 0, v0
	s_or_not1_b32 s14, s0, exec_lo
.LBB0_2710:                             ;   in Loop: Header=BB0_2708 Depth=2
	s_wait_xcnt 0x0
	s_or_b32 exec_lo, exec_lo, s15
	s_and_saveexec_b32 s15, s14
	s_cbranch_execz .LBB0_2712
; %bb.2711:                             ;   in Loop: Header=BB0_2708 Depth=2
	s_wait_loadcnt 0x0
	v_cmp_eq_u32_e64 s0, s6, v5
	v_cmp_eq_u32_e64 s1, s6, v7
	s_and_b32 s0, s0, s1
	s_delay_alu instid0(SALU_CYCLE_1)
	s_or_not1_b32 s1, s0, exec_lo
.LBB0_2712:                             ;   in Loop: Header=BB0_2708 Depth=2
	s_or_b32 exec_lo, exec_lo, s15
	s_delay_alu instid0(SALU_CYCLE_1) | instskip(NEXT) | instid1(SALU_CYCLE_1)
	s_and_b32 s0, exec_lo, s1
	s_or_b32 s13, s0, s13
	s_delay_alu instid0(SALU_CYCLE_1)
	s_and_not1_b32 exec_lo, exec_lo, s13
	s_cbranch_execnz .LBB0_2708
; %bb.2713:                             ;   in Loop: Header=BB0_2708 Depth=2
	s_or_b32 exec_lo, exec_lo, s13
	s_wait_loadcnt 0x0
	v_dual_mov_b32 v5, v6 :: v_dual_mov_b32 v14, 0
	s_mov_b32 s13, 0
	s_delay_alu instid0(VALU_DEP_1) | instskip(SKIP_1) | instid1(SALU_CYCLE_1)
	v_cmp_eq_u64_e64 s0, s[6:7], v[4:5]
	s_or_b32 s12, s0, s12
	s_and_not1_b32 exec_lo, exec_lo, s12
	s_cbranch_execnz .LBB0_2708
; %bb.2714:                             ;   in Loop: Header=BB0_1755 Depth=1
	s_or_b32 exec_lo, exec_lo, s12
	s_add_co_i32 s6, s4, 0x89
	s_mov_b32 s1, s5
	s_bfe_u32 s0, s6, 0x100003
	v_dual_mov_b32 v0, s6 :: v_dual_mov_b32 v1, s6
	s_mulk_i32 s0, 0x20c5
	v_dual_mov_b32 v3, s6 :: v_dual_mov_b32 v14, 0
	s_lshr_b32 s0, s0, 20
	s_mov_b32 s7, s5
	s_mulk_i32 s0, 0x3e8
	s_mov_b32 s12, 0
	s_sub_co_i32 s0, s6, s0
	s_delay_alu instid0(SALU_CYCLE_1) | instskip(NEXT) | instid1(SALU_CYCLE_1)
	s_and_b32 s0, s0, 0xffff
	s_lshl_b32 s0, s0, 12
	s_delay_alu instid0(SALU_CYCLE_1)
	v_add_nc_u64_e32 v[4:5], s[0:1], v[10:11]
	v_add_nc_u64_e32 v[8:9], s[0:1], v[12:13]
	global_store_b128 v[4:5], v[0:3], off th:TH_STORE_NT
.LBB0_2715:                             ;   Parent Loop BB0_1755 Depth=1
                                        ; =>  This Inner Loop Header: Depth=2
	s_wait_loadcnt 0x0
	global_load_b128 v[4:7], v[8:9], off th:TH_LOAD_NT
	v_add_nc_u32_e32 v14, 1, v14
	s_mov_b32 s1, -1
	s_mov_b32 s14, -1
	s_mov_b32 s15, exec_lo
	s_wait_xcnt 0x0
	v_cmpx_eq_u32_e32 0xf4240, v14
	s_cbranch_execz .LBB0_2717
; %bb.2716:                             ;   in Loop: Header=BB0_2715 Depth=2
	s_wait_loadcnt 0x0
	s_wait_storecnt 0x0
	global_load_b32 v0, v2, s[10:11] scope:SCOPE_SYS
	s_wait_loadcnt 0x0
	global_inv scope:SCOPE_SYS
	v_mov_b32_e32 v14, 0
	v_cmp_eq_u32_e64 s0, 0, v0
	s_or_not1_b32 s14, s0, exec_lo
.LBB0_2717:                             ;   in Loop: Header=BB0_2715 Depth=2
	s_wait_xcnt 0x0
	s_or_b32 exec_lo, exec_lo, s15
	s_and_saveexec_b32 s15, s14
	s_cbranch_execz .LBB0_2719
; %bb.2718:                             ;   in Loop: Header=BB0_2715 Depth=2
	s_wait_loadcnt 0x0
	v_cmp_eq_u32_e64 s0, s6, v5
	v_cmp_eq_u32_e64 s1, s6, v7
	s_and_b32 s0, s0, s1
	s_delay_alu instid0(SALU_CYCLE_1)
	s_or_not1_b32 s1, s0, exec_lo
.LBB0_2719:                             ;   in Loop: Header=BB0_2715 Depth=2
	s_or_b32 exec_lo, exec_lo, s15
	s_delay_alu instid0(SALU_CYCLE_1) | instskip(NEXT) | instid1(SALU_CYCLE_1)
	s_and_b32 s0, exec_lo, s1
	s_or_b32 s13, s0, s13
	s_delay_alu instid0(SALU_CYCLE_1)
	s_and_not1_b32 exec_lo, exec_lo, s13
	s_cbranch_execnz .LBB0_2715
; %bb.2720:                             ;   in Loop: Header=BB0_2715 Depth=2
	s_or_b32 exec_lo, exec_lo, s13
	s_wait_loadcnt 0x0
	v_dual_mov_b32 v5, v6 :: v_dual_mov_b32 v14, 0
	s_mov_b32 s13, 0
	s_delay_alu instid0(VALU_DEP_1) | instskip(SKIP_1) | instid1(SALU_CYCLE_1)
	v_cmp_eq_u64_e64 s0, s[6:7], v[4:5]
	s_or_b32 s12, s0, s12
	s_and_not1_b32 exec_lo, exec_lo, s12
	s_cbranch_execnz .LBB0_2715
; %bb.2721:                             ;   in Loop: Header=BB0_1755 Depth=1
	s_or_b32 exec_lo, exec_lo, s12
	s_add_co_i32 s6, s4, 0x8a
	s_mov_b32 s1, s5
	s_bfe_u32 s0, s6, 0x100003
	v_dual_mov_b32 v0, s6 :: v_dual_mov_b32 v1, s6
	s_mulk_i32 s0, 0x20c5
	v_dual_mov_b32 v3, s6 :: v_dual_mov_b32 v14, 0
	s_lshr_b32 s0, s0, 20
	s_mov_b32 s7, s5
	s_mulk_i32 s0, 0x3e8
	s_mov_b32 s12, 0
	s_sub_co_i32 s0, s6, s0
	s_delay_alu instid0(SALU_CYCLE_1) | instskip(NEXT) | instid1(SALU_CYCLE_1)
	s_and_b32 s0, s0, 0xffff
	s_lshl_b32 s0, s0, 12
	s_delay_alu instid0(SALU_CYCLE_1)
	v_add_nc_u64_e32 v[4:5], s[0:1], v[10:11]
	v_add_nc_u64_e32 v[8:9], s[0:1], v[12:13]
	global_store_b128 v[4:5], v[0:3], off th:TH_STORE_NT
.LBB0_2722:                             ;   Parent Loop BB0_1755 Depth=1
                                        ; =>  This Inner Loop Header: Depth=2
	s_wait_loadcnt 0x0
	global_load_b128 v[4:7], v[8:9], off th:TH_LOAD_NT
	v_add_nc_u32_e32 v14, 1, v14
	s_mov_b32 s1, -1
	s_mov_b32 s14, -1
	s_mov_b32 s15, exec_lo
	s_wait_xcnt 0x0
	v_cmpx_eq_u32_e32 0xf4240, v14
	s_cbranch_execz .LBB0_2724
; %bb.2723:                             ;   in Loop: Header=BB0_2722 Depth=2
	s_wait_loadcnt 0x0
	s_wait_storecnt 0x0
	global_load_b32 v0, v2, s[10:11] scope:SCOPE_SYS
	s_wait_loadcnt 0x0
	global_inv scope:SCOPE_SYS
	v_mov_b32_e32 v14, 0
	v_cmp_eq_u32_e64 s0, 0, v0
	s_or_not1_b32 s14, s0, exec_lo
.LBB0_2724:                             ;   in Loop: Header=BB0_2722 Depth=2
	s_wait_xcnt 0x0
	s_or_b32 exec_lo, exec_lo, s15
	s_and_saveexec_b32 s15, s14
	s_cbranch_execz .LBB0_2726
; %bb.2725:                             ;   in Loop: Header=BB0_2722 Depth=2
	s_wait_loadcnt 0x0
	v_cmp_eq_u32_e64 s0, s6, v5
	v_cmp_eq_u32_e64 s1, s6, v7
	s_and_b32 s0, s0, s1
	s_delay_alu instid0(SALU_CYCLE_1)
	s_or_not1_b32 s1, s0, exec_lo
.LBB0_2726:                             ;   in Loop: Header=BB0_2722 Depth=2
	s_or_b32 exec_lo, exec_lo, s15
	s_delay_alu instid0(SALU_CYCLE_1) | instskip(NEXT) | instid1(SALU_CYCLE_1)
	s_and_b32 s0, exec_lo, s1
	s_or_b32 s13, s0, s13
	s_delay_alu instid0(SALU_CYCLE_1)
	s_and_not1_b32 exec_lo, exec_lo, s13
	s_cbranch_execnz .LBB0_2722
; %bb.2727:                             ;   in Loop: Header=BB0_2722 Depth=2
	s_or_b32 exec_lo, exec_lo, s13
	s_wait_loadcnt 0x0
	v_dual_mov_b32 v5, v6 :: v_dual_mov_b32 v14, 0
	s_mov_b32 s13, 0
	s_delay_alu instid0(VALU_DEP_1) | instskip(SKIP_1) | instid1(SALU_CYCLE_1)
	v_cmp_eq_u64_e64 s0, s[6:7], v[4:5]
	s_or_b32 s12, s0, s12
	s_and_not1_b32 exec_lo, exec_lo, s12
	s_cbranch_execnz .LBB0_2722
; %bb.2728:                             ;   in Loop: Header=BB0_1755 Depth=1
	s_or_b32 exec_lo, exec_lo, s12
	s_add_co_i32 s6, s4, 0x8b
	s_mov_b32 s1, s5
	s_bfe_u32 s0, s6, 0x100003
	v_dual_mov_b32 v0, s6 :: v_dual_mov_b32 v1, s6
	s_mulk_i32 s0, 0x20c5
	v_dual_mov_b32 v3, s6 :: v_dual_mov_b32 v14, 0
	s_lshr_b32 s0, s0, 20
	s_mov_b32 s7, s5
	s_mulk_i32 s0, 0x3e8
	s_mov_b32 s12, 0
	s_sub_co_i32 s0, s6, s0
	s_delay_alu instid0(SALU_CYCLE_1) | instskip(NEXT) | instid1(SALU_CYCLE_1)
	s_and_b32 s0, s0, 0xffff
	s_lshl_b32 s0, s0, 12
	s_delay_alu instid0(SALU_CYCLE_1)
	v_add_nc_u64_e32 v[4:5], s[0:1], v[10:11]
	v_add_nc_u64_e32 v[8:9], s[0:1], v[12:13]
	global_store_b128 v[4:5], v[0:3], off th:TH_STORE_NT
.LBB0_2729:                             ;   Parent Loop BB0_1755 Depth=1
                                        ; =>  This Inner Loop Header: Depth=2
	s_wait_loadcnt 0x0
	global_load_b128 v[4:7], v[8:9], off th:TH_LOAD_NT
	v_add_nc_u32_e32 v14, 1, v14
	s_mov_b32 s1, -1
	s_mov_b32 s14, -1
	s_mov_b32 s15, exec_lo
	s_wait_xcnt 0x0
	v_cmpx_eq_u32_e32 0xf4240, v14
	s_cbranch_execz .LBB0_2731
; %bb.2730:                             ;   in Loop: Header=BB0_2729 Depth=2
	s_wait_loadcnt 0x0
	s_wait_storecnt 0x0
	global_load_b32 v0, v2, s[10:11] scope:SCOPE_SYS
	s_wait_loadcnt 0x0
	global_inv scope:SCOPE_SYS
	v_mov_b32_e32 v14, 0
	v_cmp_eq_u32_e64 s0, 0, v0
	s_or_not1_b32 s14, s0, exec_lo
.LBB0_2731:                             ;   in Loop: Header=BB0_2729 Depth=2
	s_wait_xcnt 0x0
	s_or_b32 exec_lo, exec_lo, s15
	s_and_saveexec_b32 s15, s14
	s_cbranch_execz .LBB0_2733
; %bb.2732:                             ;   in Loop: Header=BB0_2729 Depth=2
	s_wait_loadcnt 0x0
	v_cmp_eq_u32_e64 s0, s6, v5
	v_cmp_eq_u32_e64 s1, s6, v7
	s_and_b32 s0, s0, s1
	s_delay_alu instid0(SALU_CYCLE_1)
	s_or_not1_b32 s1, s0, exec_lo
.LBB0_2733:                             ;   in Loop: Header=BB0_2729 Depth=2
	s_or_b32 exec_lo, exec_lo, s15
	s_delay_alu instid0(SALU_CYCLE_1) | instskip(NEXT) | instid1(SALU_CYCLE_1)
	s_and_b32 s0, exec_lo, s1
	s_or_b32 s13, s0, s13
	s_delay_alu instid0(SALU_CYCLE_1)
	s_and_not1_b32 exec_lo, exec_lo, s13
	s_cbranch_execnz .LBB0_2729
; %bb.2734:                             ;   in Loop: Header=BB0_2729 Depth=2
	s_or_b32 exec_lo, exec_lo, s13
	s_wait_loadcnt 0x0
	v_dual_mov_b32 v5, v6 :: v_dual_mov_b32 v14, 0
	s_mov_b32 s13, 0
	s_delay_alu instid0(VALU_DEP_1) | instskip(SKIP_1) | instid1(SALU_CYCLE_1)
	v_cmp_eq_u64_e64 s0, s[6:7], v[4:5]
	s_or_b32 s12, s0, s12
	s_and_not1_b32 exec_lo, exec_lo, s12
	s_cbranch_execnz .LBB0_2729
; %bb.2735:                             ;   in Loop: Header=BB0_1755 Depth=1
	s_or_b32 exec_lo, exec_lo, s12
	s_add_co_i32 s6, s4, 0x8c
	s_mov_b32 s1, s5
	s_bfe_u32 s0, s6, 0x100003
	v_dual_mov_b32 v0, s6 :: v_dual_mov_b32 v1, s6
	s_mulk_i32 s0, 0x20c5
	v_dual_mov_b32 v3, s6 :: v_dual_mov_b32 v14, 0
	s_lshr_b32 s0, s0, 20
	s_mov_b32 s7, s5
	s_mulk_i32 s0, 0x3e8
	s_mov_b32 s12, 0
	s_sub_co_i32 s0, s6, s0
	s_delay_alu instid0(SALU_CYCLE_1) | instskip(NEXT) | instid1(SALU_CYCLE_1)
	s_and_b32 s0, s0, 0xffff
	s_lshl_b32 s0, s0, 12
	s_delay_alu instid0(SALU_CYCLE_1)
	v_add_nc_u64_e32 v[4:5], s[0:1], v[10:11]
	v_add_nc_u64_e32 v[8:9], s[0:1], v[12:13]
	global_store_b128 v[4:5], v[0:3], off th:TH_STORE_NT
.LBB0_2736:                             ;   Parent Loop BB0_1755 Depth=1
                                        ; =>  This Inner Loop Header: Depth=2
	s_wait_loadcnt 0x0
	global_load_b128 v[4:7], v[8:9], off th:TH_LOAD_NT
	v_add_nc_u32_e32 v14, 1, v14
	s_mov_b32 s1, -1
	s_mov_b32 s14, -1
	s_mov_b32 s15, exec_lo
	s_wait_xcnt 0x0
	v_cmpx_eq_u32_e32 0xf4240, v14
	s_cbranch_execz .LBB0_2738
; %bb.2737:                             ;   in Loop: Header=BB0_2736 Depth=2
	s_wait_loadcnt 0x0
	s_wait_storecnt 0x0
	global_load_b32 v0, v2, s[10:11] scope:SCOPE_SYS
	s_wait_loadcnt 0x0
	global_inv scope:SCOPE_SYS
	v_mov_b32_e32 v14, 0
	v_cmp_eq_u32_e64 s0, 0, v0
	s_or_not1_b32 s14, s0, exec_lo
.LBB0_2738:                             ;   in Loop: Header=BB0_2736 Depth=2
	s_wait_xcnt 0x0
	s_or_b32 exec_lo, exec_lo, s15
	s_and_saveexec_b32 s15, s14
	s_cbranch_execz .LBB0_2740
; %bb.2739:                             ;   in Loop: Header=BB0_2736 Depth=2
	s_wait_loadcnt 0x0
	v_cmp_eq_u32_e64 s0, s6, v5
	v_cmp_eq_u32_e64 s1, s6, v7
	s_and_b32 s0, s0, s1
	s_delay_alu instid0(SALU_CYCLE_1)
	s_or_not1_b32 s1, s0, exec_lo
.LBB0_2740:                             ;   in Loop: Header=BB0_2736 Depth=2
	s_or_b32 exec_lo, exec_lo, s15
	s_delay_alu instid0(SALU_CYCLE_1) | instskip(NEXT) | instid1(SALU_CYCLE_1)
	s_and_b32 s0, exec_lo, s1
	s_or_b32 s13, s0, s13
	s_delay_alu instid0(SALU_CYCLE_1)
	s_and_not1_b32 exec_lo, exec_lo, s13
	s_cbranch_execnz .LBB0_2736
; %bb.2741:                             ;   in Loop: Header=BB0_2736 Depth=2
	s_or_b32 exec_lo, exec_lo, s13
	s_wait_loadcnt 0x0
	v_dual_mov_b32 v5, v6 :: v_dual_mov_b32 v14, 0
	s_mov_b32 s13, 0
	s_delay_alu instid0(VALU_DEP_1) | instskip(SKIP_1) | instid1(SALU_CYCLE_1)
	v_cmp_eq_u64_e64 s0, s[6:7], v[4:5]
	s_or_b32 s12, s0, s12
	s_and_not1_b32 exec_lo, exec_lo, s12
	s_cbranch_execnz .LBB0_2736
; %bb.2742:                             ;   in Loop: Header=BB0_1755 Depth=1
	s_or_b32 exec_lo, exec_lo, s12
	s_add_co_i32 s6, s4, 0x8d
	s_mov_b32 s1, s5
	s_bfe_u32 s0, s6, 0x100003
	v_dual_mov_b32 v0, s6 :: v_dual_mov_b32 v1, s6
	s_mulk_i32 s0, 0x20c5
	v_dual_mov_b32 v3, s6 :: v_dual_mov_b32 v14, 0
	s_lshr_b32 s0, s0, 20
	s_mov_b32 s7, s5
	s_mulk_i32 s0, 0x3e8
	s_mov_b32 s12, 0
	s_sub_co_i32 s0, s6, s0
	s_delay_alu instid0(SALU_CYCLE_1) | instskip(NEXT) | instid1(SALU_CYCLE_1)
	s_and_b32 s0, s0, 0xffff
	s_lshl_b32 s0, s0, 12
	s_delay_alu instid0(SALU_CYCLE_1)
	v_add_nc_u64_e32 v[4:5], s[0:1], v[10:11]
	v_add_nc_u64_e32 v[8:9], s[0:1], v[12:13]
	global_store_b128 v[4:5], v[0:3], off th:TH_STORE_NT
.LBB0_2743:                             ;   Parent Loop BB0_1755 Depth=1
                                        ; =>  This Inner Loop Header: Depth=2
	s_wait_loadcnt 0x0
	global_load_b128 v[4:7], v[8:9], off th:TH_LOAD_NT
	v_add_nc_u32_e32 v14, 1, v14
	s_mov_b32 s1, -1
	s_mov_b32 s14, -1
	s_mov_b32 s15, exec_lo
	s_wait_xcnt 0x0
	v_cmpx_eq_u32_e32 0xf4240, v14
	s_cbranch_execz .LBB0_2745
; %bb.2744:                             ;   in Loop: Header=BB0_2743 Depth=2
	s_wait_loadcnt 0x0
	s_wait_storecnt 0x0
	global_load_b32 v0, v2, s[10:11] scope:SCOPE_SYS
	s_wait_loadcnt 0x0
	global_inv scope:SCOPE_SYS
	v_mov_b32_e32 v14, 0
	v_cmp_eq_u32_e64 s0, 0, v0
	s_or_not1_b32 s14, s0, exec_lo
.LBB0_2745:                             ;   in Loop: Header=BB0_2743 Depth=2
	s_wait_xcnt 0x0
	s_or_b32 exec_lo, exec_lo, s15
	s_and_saveexec_b32 s15, s14
	s_cbranch_execz .LBB0_2747
; %bb.2746:                             ;   in Loop: Header=BB0_2743 Depth=2
	s_wait_loadcnt 0x0
	v_cmp_eq_u32_e64 s0, s6, v5
	v_cmp_eq_u32_e64 s1, s6, v7
	s_and_b32 s0, s0, s1
	s_delay_alu instid0(SALU_CYCLE_1)
	s_or_not1_b32 s1, s0, exec_lo
.LBB0_2747:                             ;   in Loop: Header=BB0_2743 Depth=2
	s_or_b32 exec_lo, exec_lo, s15
	s_delay_alu instid0(SALU_CYCLE_1) | instskip(NEXT) | instid1(SALU_CYCLE_1)
	s_and_b32 s0, exec_lo, s1
	s_or_b32 s13, s0, s13
	s_delay_alu instid0(SALU_CYCLE_1)
	s_and_not1_b32 exec_lo, exec_lo, s13
	s_cbranch_execnz .LBB0_2743
; %bb.2748:                             ;   in Loop: Header=BB0_2743 Depth=2
	s_or_b32 exec_lo, exec_lo, s13
	s_wait_loadcnt 0x0
	v_dual_mov_b32 v5, v6 :: v_dual_mov_b32 v14, 0
	s_mov_b32 s13, 0
	s_delay_alu instid0(VALU_DEP_1) | instskip(SKIP_1) | instid1(SALU_CYCLE_1)
	v_cmp_eq_u64_e64 s0, s[6:7], v[4:5]
	s_or_b32 s12, s0, s12
	s_and_not1_b32 exec_lo, exec_lo, s12
	s_cbranch_execnz .LBB0_2743
; %bb.2749:                             ;   in Loop: Header=BB0_1755 Depth=1
	s_or_b32 exec_lo, exec_lo, s12
	s_add_co_i32 s6, s4, 0x8e
	s_mov_b32 s1, s5
	s_bfe_u32 s0, s6, 0x100003
	v_dual_mov_b32 v0, s6 :: v_dual_mov_b32 v1, s6
	s_mulk_i32 s0, 0x20c5
	v_dual_mov_b32 v3, s6 :: v_dual_mov_b32 v14, 0
	s_lshr_b32 s0, s0, 20
	s_mov_b32 s7, s5
	s_mulk_i32 s0, 0x3e8
	s_mov_b32 s12, 0
	s_sub_co_i32 s0, s6, s0
	s_delay_alu instid0(SALU_CYCLE_1) | instskip(NEXT) | instid1(SALU_CYCLE_1)
	s_and_b32 s0, s0, 0xffff
	s_lshl_b32 s0, s0, 12
	s_delay_alu instid0(SALU_CYCLE_1)
	v_add_nc_u64_e32 v[4:5], s[0:1], v[10:11]
	v_add_nc_u64_e32 v[8:9], s[0:1], v[12:13]
	global_store_b128 v[4:5], v[0:3], off th:TH_STORE_NT
.LBB0_2750:                             ;   Parent Loop BB0_1755 Depth=1
                                        ; =>  This Inner Loop Header: Depth=2
	s_wait_loadcnt 0x0
	global_load_b128 v[4:7], v[8:9], off th:TH_LOAD_NT
	v_add_nc_u32_e32 v14, 1, v14
	s_mov_b32 s1, -1
	s_mov_b32 s14, -1
	s_mov_b32 s15, exec_lo
	s_wait_xcnt 0x0
	v_cmpx_eq_u32_e32 0xf4240, v14
	s_cbranch_execz .LBB0_2752
; %bb.2751:                             ;   in Loop: Header=BB0_2750 Depth=2
	s_wait_loadcnt 0x0
	s_wait_storecnt 0x0
	global_load_b32 v0, v2, s[10:11] scope:SCOPE_SYS
	s_wait_loadcnt 0x0
	global_inv scope:SCOPE_SYS
	v_mov_b32_e32 v14, 0
	v_cmp_eq_u32_e64 s0, 0, v0
	s_or_not1_b32 s14, s0, exec_lo
.LBB0_2752:                             ;   in Loop: Header=BB0_2750 Depth=2
	s_wait_xcnt 0x0
	s_or_b32 exec_lo, exec_lo, s15
	s_and_saveexec_b32 s15, s14
	s_cbranch_execz .LBB0_2754
; %bb.2753:                             ;   in Loop: Header=BB0_2750 Depth=2
	s_wait_loadcnt 0x0
	v_cmp_eq_u32_e64 s0, s6, v5
	v_cmp_eq_u32_e64 s1, s6, v7
	s_and_b32 s0, s0, s1
	s_delay_alu instid0(SALU_CYCLE_1)
	s_or_not1_b32 s1, s0, exec_lo
.LBB0_2754:                             ;   in Loop: Header=BB0_2750 Depth=2
	s_or_b32 exec_lo, exec_lo, s15
	s_delay_alu instid0(SALU_CYCLE_1) | instskip(NEXT) | instid1(SALU_CYCLE_1)
	s_and_b32 s0, exec_lo, s1
	s_or_b32 s13, s0, s13
	s_delay_alu instid0(SALU_CYCLE_1)
	s_and_not1_b32 exec_lo, exec_lo, s13
	s_cbranch_execnz .LBB0_2750
; %bb.2755:                             ;   in Loop: Header=BB0_2750 Depth=2
	s_or_b32 exec_lo, exec_lo, s13
	s_wait_loadcnt 0x0
	v_dual_mov_b32 v5, v6 :: v_dual_mov_b32 v14, 0
	s_mov_b32 s13, 0
	s_delay_alu instid0(VALU_DEP_1) | instskip(SKIP_1) | instid1(SALU_CYCLE_1)
	v_cmp_eq_u64_e64 s0, s[6:7], v[4:5]
	s_or_b32 s12, s0, s12
	s_and_not1_b32 exec_lo, exec_lo, s12
	s_cbranch_execnz .LBB0_2750
; %bb.2756:                             ;   in Loop: Header=BB0_1755 Depth=1
	s_or_b32 exec_lo, exec_lo, s12
	s_add_co_i32 s6, s4, 0x8f
	s_mov_b32 s1, s5
	s_bfe_u32 s0, s6, 0x100003
	v_dual_mov_b32 v0, s6 :: v_dual_mov_b32 v1, s6
	s_mulk_i32 s0, 0x20c5
	v_dual_mov_b32 v3, s6 :: v_dual_mov_b32 v14, 0
	s_lshr_b32 s0, s0, 20
	s_mov_b32 s7, s5
	s_mulk_i32 s0, 0x3e8
	s_mov_b32 s12, 0
	s_sub_co_i32 s0, s6, s0
	s_delay_alu instid0(SALU_CYCLE_1) | instskip(NEXT) | instid1(SALU_CYCLE_1)
	s_and_b32 s0, s0, 0xffff
	s_lshl_b32 s0, s0, 12
	s_delay_alu instid0(SALU_CYCLE_1)
	v_add_nc_u64_e32 v[4:5], s[0:1], v[10:11]
	v_add_nc_u64_e32 v[8:9], s[0:1], v[12:13]
	global_store_b128 v[4:5], v[0:3], off th:TH_STORE_NT
.LBB0_2757:                             ;   Parent Loop BB0_1755 Depth=1
                                        ; =>  This Inner Loop Header: Depth=2
	s_wait_loadcnt 0x0
	global_load_b128 v[4:7], v[8:9], off th:TH_LOAD_NT
	v_add_nc_u32_e32 v14, 1, v14
	s_mov_b32 s1, -1
	s_mov_b32 s14, -1
	s_mov_b32 s15, exec_lo
	s_wait_xcnt 0x0
	v_cmpx_eq_u32_e32 0xf4240, v14
	s_cbranch_execz .LBB0_2759
; %bb.2758:                             ;   in Loop: Header=BB0_2757 Depth=2
	s_wait_loadcnt 0x0
	s_wait_storecnt 0x0
	global_load_b32 v0, v2, s[10:11] scope:SCOPE_SYS
	s_wait_loadcnt 0x0
	global_inv scope:SCOPE_SYS
	v_mov_b32_e32 v14, 0
	v_cmp_eq_u32_e64 s0, 0, v0
	s_or_not1_b32 s14, s0, exec_lo
.LBB0_2759:                             ;   in Loop: Header=BB0_2757 Depth=2
	s_wait_xcnt 0x0
	s_or_b32 exec_lo, exec_lo, s15
	s_and_saveexec_b32 s15, s14
	s_cbranch_execz .LBB0_2761
; %bb.2760:                             ;   in Loop: Header=BB0_2757 Depth=2
	s_wait_loadcnt 0x0
	v_cmp_eq_u32_e64 s0, s6, v5
	v_cmp_eq_u32_e64 s1, s6, v7
	s_and_b32 s0, s0, s1
	s_delay_alu instid0(SALU_CYCLE_1)
	s_or_not1_b32 s1, s0, exec_lo
.LBB0_2761:                             ;   in Loop: Header=BB0_2757 Depth=2
	s_or_b32 exec_lo, exec_lo, s15
	s_delay_alu instid0(SALU_CYCLE_1) | instskip(NEXT) | instid1(SALU_CYCLE_1)
	s_and_b32 s0, exec_lo, s1
	s_or_b32 s13, s0, s13
	s_delay_alu instid0(SALU_CYCLE_1)
	s_and_not1_b32 exec_lo, exec_lo, s13
	s_cbranch_execnz .LBB0_2757
; %bb.2762:                             ;   in Loop: Header=BB0_2757 Depth=2
	s_or_b32 exec_lo, exec_lo, s13
	s_wait_loadcnt 0x0
	v_dual_mov_b32 v5, v6 :: v_dual_mov_b32 v14, 0
	s_mov_b32 s13, 0
	s_delay_alu instid0(VALU_DEP_1) | instskip(SKIP_1) | instid1(SALU_CYCLE_1)
	v_cmp_eq_u64_e64 s0, s[6:7], v[4:5]
	s_or_b32 s12, s0, s12
	s_and_not1_b32 exec_lo, exec_lo, s12
	s_cbranch_execnz .LBB0_2757
; %bb.2763:                             ;   in Loop: Header=BB0_1755 Depth=1
	s_or_b32 exec_lo, exec_lo, s12
	s_add_co_i32 s6, s4, 0x90
	s_mov_b32 s1, s5
	s_bfe_u32 s0, s6, 0x100003
	v_dual_mov_b32 v0, s6 :: v_dual_mov_b32 v1, s6
	s_mulk_i32 s0, 0x20c5
	v_dual_mov_b32 v3, s6 :: v_dual_mov_b32 v14, 0
	s_lshr_b32 s0, s0, 20
	s_mov_b32 s7, s5
	s_mulk_i32 s0, 0x3e8
	s_mov_b32 s12, 0
	s_sub_co_i32 s0, s6, s0
	s_delay_alu instid0(SALU_CYCLE_1) | instskip(NEXT) | instid1(SALU_CYCLE_1)
	s_and_b32 s0, s0, 0xffff
	s_lshl_b32 s0, s0, 12
	s_delay_alu instid0(SALU_CYCLE_1)
	v_add_nc_u64_e32 v[4:5], s[0:1], v[10:11]
	v_add_nc_u64_e32 v[8:9], s[0:1], v[12:13]
	global_store_b128 v[4:5], v[0:3], off th:TH_STORE_NT
.LBB0_2764:                             ;   Parent Loop BB0_1755 Depth=1
                                        ; =>  This Inner Loop Header: Depth=2
	s_wait_loadcnt 0x0
	global_load_b128 v[4:7], v[8:9], off th:TH_LOAD_NT
	v_add_nc_u32_e32 v14, 1, v14
	s_mov_b32 s1, -1
	s_mov_b32 s14, -1
	s_mov_b32 s15, exec_lo
	s_wait_xcnt 0x0
	v_cmpx_eq_u32_e32 0xf4240, v14
	s_cbranch_execz .LBB0_2766
; %bb.2765:                             ;   in Loop: Header=BB0_2764 Depth=2
	s_wait_loadcnt 0x0
	s_wait_storecnt 0x0
	global_load_b32 v0, v2, s[10:11] scope:SCOPE_SYS
	s_wait_loadcnt 0x0
	global_inv scope:SCOPE_SYS
	v_mov_b32_e32 v14, 0
	v_cmp_eq_u32_e64 s0, 0, v0
	s_or_not1_b32 s14, s0, exec_lo
.LBB0_2766:                             ;   in Loop: Header=BB0_2764 Depth=2
	s_wait_xcnt 0x0
	s_or_b32 exec_lo, exec_lo, s15
	s_and_saveexec_b32 s15, s14
	s_cbranch_execz .LBB0_2768
; %bb.2767:                             ;   in Loop: Header=BB0_2764 Depth=2
	s_wait_loadcnt 0x0
	v_cmp_eq_u32_e64 s0, s6, v5
	v_cmp_eq_u32_e64 s1, s6, v7
	s_and_b32 s0, s0, s1
	s_delay_alu instid0(SALU_CYCLE_1)
	s_or_not1_b32 s1, s0, exec_lo
.LBB0_2768:                             ;   in Loop: Header=BB0_2764 Depth=2
	s_or_b32 exec_lo, exec_lo, s15
	s_delay_alu instid0(SALU_CYCLE_1) | instskip(NEXT) | instid1(SALU_CYCLE_1)
	s_and_b32 s0, exec_lo, s1
	s_or_b32 s13, s0, s13
	s_delay_alu instid0(SALU_CYCLE_1)
	s_and_not1_b32 exec_lo, exec_lo, s13
	s_cbranch_execnz .LBB0_2764
; %bb.2769:                             ;   in Loop: Header=BB0_2764 Depth=2
	s_or_b32 exec_lo, exec_lo, s13
	s_wait_loadcnt 0x0
	v_dual_mov_b32 v5, v6 :: v_dual_mov_b32 v14, 0
	s_mov_b32 s13, 0
	s_delay_alu instid0(VALU_DEP_1) | instskip(SKIP_1) | instid1(SALU_CYCLE_1)
	v_cmp_eq_u64_e64 s0, s[6:7], v[4:5]
	s_or_b32 s12, s0, s12
	s_and_not1_b32 exec_lo, exec_lo, s12
	s_cbranch_execnz .LBB0_2764
; %bb.2770:                             ;   in Loop: Header=BB0_1755 Depth=1
	s_or_b32 exec_lo, exec_lo, s12
	s_add_co_i32 s6, s4, 0x91
	s_mov_b32 s1, s5
	s_bfe_u32 s0, s6, 0x100003
	v_dual_mov_b32 v0, s6 :: v_dual_mov_b32 v1, s6
	s_mulk_i32 s0, 0x20c5
	v_dual_mov_b32 v3, s6 :: v_dual_mov_b32 v14, 0
	s_lshr_b32 s0, s0, 20
	s_mov_b32 s7, s5
	s_mulk_i32 s0, 0x3e8
	s_mov_b32 s12, 0
	s_sub_co_i32 s0, s6, s0
	s_delay_alu instid0(SALU_CYCLE_1) | instskip(NEXT) | instid1(SALU_CYCLE_1)
	s_and_b32 s0, s0, 0xffff
	s_lshl_b32 s0, s0, 12
	s_delay_alu instid0(SALU_CYCLE_1)
	v_add_nc_u64_e32 v[4:5], s[0:1], v[10:11]
	v_add_nc_u64_e32 v[8:9], s[0:1], v[12:13]
	global_store_b128 v[4:5], v[0:3], off th:TH_STORE_NT
.LBB0_2771:                             ;   Parent Loop BB0_1755 Depth=1
                                        ; =>  This Inner Loop Header: Depth=2
	s_wait_loadcnt 0x0
	global_load_b128 v[4:7], v[8:9], off th:TH_LOAD_NT
	v_add_nc_u32_e32 v14, 1, v14
	s_mov_b32 s1, -1
	s_mov_b32 s14, -1
	s_mov_b32 s15, exec_lo
	s_wait_xcnt 0x0
	v_cmpx_eq_u32_e32 0xf4240, v14
	s_cbranch_execz .LBB0_2773
; %bb.2772:                             ;   in Loop: Header=BB0_2771 Depth=2
	s_wait_loadcnt 0x0
	s_wait_storecnt 0x0
	global_load_b32 v0, v2, s[10:11] scope:SCOPE_SYS
	s_wait_loadcnt 0x0
	global_inv scope:SCOPE_SYS
	v_mov_b32_e32 v14, 0
	v_cmp_eq_u32_e64 s0, 0, v0
	s_or_not1_b32 s14, s0, exec_lo
.LBB0_2773:                             ;   in Loop: Header=BB0_2771 Depth=2
	s_wait_xcnt 0x0
	s_or_b32 exec_lo, exec_lo, s15
	s_and_saveexec_b32 s15, s14
	s_cbranch_execz .LBB0_2775
; %bb.2774:                             ;   in Loop: Header=BB0_2771 Depth=2
	s_wait_loadcnt 0x0
	v_cmp_eq_u32_e64 s0, s6, v5
	v_cmp_eq_u32_e64 s1, s6, v7
	s_and_b32 s0, s0, s1
	s_delay_alu instid0(SALU_CYCLE_1)
	s_or_not1_b32 s1, s0, exec_lo
.LBB0_2775:                             ;   in Loop: Header=BB0_2771 Depth=2
	s_or_b32 exec_lo, exec_lo, s15
	s_delay_alu instid0(SALU_CYCLE_1) | instskip(NEXT) | instid1(SALU_CYCLE_1)
	s_and_b32 s0, exec_lo, s1
	s_or_b32 s13, s0, s13
	s_delay_alu instid0(SALU_CYCLE_1)
	s_and_not1_b32 exec_lo, exec_lo, s13
	s_cbranch_execnz .LBB0_2771
; %bb.2776:                             ;   in Loop: Header=BB0_2771 Depth=2
	s_or_b32 exec_lo, exec_lo, s13
	s_wait_loadcnt 0x0
	v_dual_mov_b32 v5, v6 :: v_dual_mov_b32 v14, 0
	s_mov_b32 s13, 0
	s_delay_alu instid0(VALU_DEP_1) | instskip(SKIP_1) | instid1(SALU_CYCLE_1)
	v_cmp_eq_u64_e64 s0, s[6:7], v[4:5]
	s_or_b32 s12, s0, s12
	s_and_not1_b32 exec_lo, exec_lo, s12
	s_cbranch_execnz .LBB0_2771
; %bb.2777:                             ;   in Loop: Header=BB0_1755 Depth=1
	s_or_b32 exec_lo, exec_lo, s12
	s_add_co_i32 s6, s4, 0x92
	s_mov_b32 s1, s5
	s_bfe_u32 s0, s6, 0x100003
	v_dual_mov_b32 v0, s6 :: v_dual_mov_b32 v1, s6
	s_mulk_i32 s0, 0x20c5
	v_dual_mov_b32 v3, s6 :: v_dual_mov_b32 v14, 0
	s_lshr_b32 s0, s0, 20
	s_mov_b32 s7, s5
	s_mulk_i32 s0, 0x3e8
	s_mov_b32 s12, 0
	s_sub_co_i32 s0, s6, s0
	s_delay_alu instid0(SALU_CYCLE_1) | instskip(NEXT) | instid1(SALU_CYCLE_1)
	s_and_b32 s0, s0, 0xffff
	s_lshl_b32 s0, s0, 12
	s_delay_alu instid0(SALU_CYCLE_1)
	v_add_nc_u64_e32 v[4:5], s[0:1], v[10:11]
	v_add_nc_u64_e32 v[8:9], s[0:1], v[12:13]
	global_store_b128 v[4:5], v[0:3], off th:TH_STORE_NT
.LBB0_2778:                             ;   Parent Loop BB0_1755 Depth=1
                                        ; =>  This Inner Loop Header: Depth=2
	s_wait_loadcnt 0x0
	global_load_b128 v[4:7], v[8:9], off th:TH_LOAD_NT
	v_add_nc_u32_e32 v14, 1, v14
	s_mov_b32 s1, -1
	s_mov_b32 s14, -1
	s_mov_b32 s15, exec_lo
	s_wait_xcnt 0x0
	v_cmpx_eq_u32_e32 0xf4240, v14
	s_cbranch_execz .LBB0_2780
; %bb.2779:                             ;   in Loop: Header=BB0_2778 Depth=2
	s_wait_loadcnt 0x0
	s_wait_storecnt 0x0
	global_load_b32 v0, v2, s[10:11] scope:SCOPE_SYS
	s_wait_loadcnt 0x0
	global_inv scope:SCOPE_SYS
	v_mov_b32_e32 v14, 0
	v_cmp_eq_u32_e64 s0, 0, v0
	s_or_not1_b32 s14, s0, exec_lo
.LBB0_2780:                             ;   in Loop: Header=BB0_2778 Depth=2
	s_wait_xcnt 0x0
	s_or_b32 exec_lo, exec_lo, s15
	s_and_saveexec_b32 s15, s14
	s_cbranch_execz .LBB0_2782
; %bb.2781:                             ;   in Loop: Header=BB0_2778 Depth=2
	s_wait_loadcnt 0x0
	v_cmp_eq_u32_e64 s0, s6, v5
	v_cmp_eq_u32_e64 s1, s6, v7
	s_and_b32 s0, s0, s1
	s_delay_alu instid0(SALU_CYCLE_1)
	s_or_not1_b32 s1, s0, exec_lo
.LBB0_2782:                             ;   in Loop: Header=BB0_2778 Depth=2
	s_or_b32 exec_lo, exec_lo, s15
	s_delay_alu instid0(SALU_CYCLE_1) | instskip(NEXT) | instid1(SALU_CYCLE_1)
	s_and_b32 s0, exec_lo, s1
	s_or_b32 s13, s0, s13
	s_delay_alu instid0(SALU_CYCLE_1)
	s_and_not1_b32 exec_lo, exec_lo, s13
	s_cbranch_execnz .LBB0_2778
; %bb.2783:                             ;   in Loop: Header=BB0_2778 Depth=2
	s_or_b32 exec_lo, exec_lo, s13
	s_wait_loadcnt 0x0
	v_dual_mov_b32 v5, v6 :: v_dual_mov_b32 v14, 0
	s_mov_b32 s13, 0
	s_delay_alu instid0(VALU_DEP_1) | instskip(SKIP_1) | instid1(SALU_CYCLE_1)
	v_cmp_eq_u64_e64 s0, s[6:7], v[4:5]
	s_or_b32 s12, s0, s12
	s_and_not1_b32 exec_lo, exec_lo, s12
	s_cbranch_execnz .LBB0_2778
; %bb.2784:                             ;   in Loop: Header=BB0_1755 Depth=1
	s_or_b32 exec_lo, exec_lo, s12
	s_add_co_i32 s6, s4, 0x93
	s_mov_b32 s1, s5
	s_bfe_u32 s0, s6, 0x100003
	v_dual_mov_b32 v0, s6 :: v_dual_mov_b32 v1, s6
	s_mulk_i32 s0, 0x20c5
	v_dual_mov_b32 v3, s6 :: v_dual_mov_b32 v14, 0
	s_lshr_b32 s0, s0, 20
	s_mov_b32 s7, s5
	s_mulk_i32 s0, 0x3e8
	s_mov_b32 s12, 0
	s_sub_co_i32 s0, s6, s0
	s_delay_alu instid0(SALU_CYCLE_1) | instskip(NEXT) | instid1(SALU_CYCLE_1)
	s_and_b32 s0, s0, 0xffff
	s_lshl_b32 s0, s0, 12
	s_delay_alu instid0(SALU_CYCLE_1)
	v_add_nc_u64_e32 v[4:5], s[0:1], v[10:11]
	v_add_nc_u64_e32 v[8:9], s[0:1], v[12:13]
	global_store_b128 v[4:5], v[0:3], off th:TH_STORE_NT
.LBB0_2785:                             ;   Parent Loop BB0_1755 Depth=1
                                        ; =>  This Inner Loop Header: Depth=2
	s_wait_loadcnt 0x0
	global_load_b128 v[4:7], v[8:9], off th:TH_LOAD_NT
	v_add_nc_u32_e32 v14, 1, v14
	s_mov_b32 s1, -1
	s_mov_b32 s14, -1
	s_mov_b32 s15, exec_lo
	s_wait_xcnt 0x0
	v_cmpx_eq_u32_e32 0xf4240, v14
	s_cbranch_execz .LBB0_2787
; %bb.2786:                             ;   in Loop: Header=BB0_2785 Depth=2
	s_wait_loadcnt 0x0
	s_wait_storecnt 0x0
	global_load_b32 v0, v2, s[10:11] scope:SCOPE_SYS
	s_wait_loadcnt 0x0
	global_inv scope:SCOPE_SYS
	v_mov_b32_e32 v14, 0
	v_cmp_eq_u32_e64 s0, 0, v0
	s_or_not1_b32 s14, s0, exec_lo
.LBB0_2787:                             ;   in Loop: Header=BB0_2785 Depth=2
	s_wait_xcnt 0x0
	s_or_b32 exec_lo, exec_lo, s15
	s_and_saveexec_b32 s15, s14
	s_cbranch_execz .LBB0_2789
; %bb.2788:                             ;   in Loop: Header=BB0_2785 Depth=2
	s_wait_loadcnt 0x0
	v_cmp_eq_u32_e64 s0, s6, v5
	v_cmp_eq_u32_e64 s1, s6, v7
	s_and_b32 s0, s0, s1
	s_delay_alu instid0(SALU_CYCLE_1)
	s_or_not1_b32 s1, s0, exec_lo
.LBB0_2789:                             ;   in Loop: Header=BB0_2785 Depth=2
	s_or_b32 exec_lo, exec_lo, s15
	s_delay_alu instid0(SALU_CYCLE_1) | instskip(NEXT) | instid1(SALU_CYCLE_1)
	s_and_b32 s0, exec_lo, s1
	s_or_b32 s13, s0, s13
	s_delay_alu instid0(SALU_CYCLE_1)
	s_and_not1_b32 exec_lo, exec_lo, s13
	s_cbranch_execnz .LBB0_2785
; %bb.2790:                             ;   in Loop: Header=BB0_2785 Depth=2
	s_or_b32 exec_lo, exec_lo, s13
	s_wait_loadcnt 0x0
	v_dual_mov_b32 v5, v6 :: v_dual_mov_b32 v14, 0
	s_mov_b32 s13, 0
	s_delay_alu instid0(VALU_DEP_1) | instskip(SKIP_1) | instid1(SALU_CYCLE_1)
	v_cmp_eq_u64_e64 s0, s[6:7], v[4:5]
	s_or_b32 s12, s0, s12
	s_and_not1_b32 exec_lo, exec_lo, s12
	s_cbranch_execnz .LBB0_2785
; %bb.2791:                             ;   in Loop: Header=BB0_1755 Depth=1
	s_or_b32 exec_lo, exec_lo, s12
	s_add_co_i32 s6, s4, 0x94
	s_mov_b32 s1, s5
	s_bfe_u32 s0, s6, 0x100003
	v_dual_mov_b32 v0, s6 :: v_dual_mov_b32 v1, s6
	s_mulk_i32 s0, 0x20c5
	v_dual_mov_b32 v3, s6 :: v_dual_mov_b32 v14, 0
	s_lshr_b32 s0, s0, 20
	s_mov_b32 s7, s5
	s_mulk_i32 s0, 0x3e8
	s_mov_b32 s12, 0
	s_sub_co_i32 s0, s6, s0
	s_delay_alu instid0(SALU_CYCLE_1) | instskip(NEXT) | instid1(SALU_CYCLE_1)
	s_and_b32 s0, s0, 0xffff
	s_lshl_b32 s0, s0, 12
	s_delay_alu instid0(SALU_CYCLE_1)
	v_add_nc_u64_e32 v[4:5], s[0:1], v[10:11]
	v_add_nc_u64_e32 v[8:9], s[0:1], v[12:13]
	global_store_b128 v[4:5], v[0:3], off th:TH_STORE_NT
.LBB0_2792:                             ;   Parent Loop BB0_1755 Depth=1
                                        ; =>  This Inner Loop Header: Depth=2
	s_wait_loadcnt 0x0
	global_load_b128 v[4:7], v[8:9], off th:TH_LOAD_NT
	v_add_nc_u32_e32 v14, 1, v14
	s_mov_b32 s1, -1
	s_mov_b32 s14, -1
	s_mov_b32 s15, exec_lo
	s_wait_xcnt 0x0
	v_cmpx_eq_u32_e32 0xf4240, v14
	s_cbranch_execz .LBB0_2794
; %bb.2793:                             ;   in Loop: Header=BB0_2792 Depth=2
	s_wait_loadcnt 0x0
	s_wait_storecnt 0x0
	global_load_b32 v0, v2, s[10:11] scope:SCOPE_SYS
	s_wait_loadcnt 0x0
	global_inv scope:SCOPE_SYS
	v_mov_b32_e32 v14, 0
	v_cmp_eq_u32_e64 s0, 0, v0
	s_or_not1_b32 s14, s0, exec_lo
.LBB0_2794:                             ;   in Loop: Header=BB0_2792 Depth=2
	s_wait_xcnt 0x0
	s_or_b32 exec_lo, exec_lo, s15
	s_and_saveexec_b32 s15, s14
	s_cbranch_execz .LBB0_2796
; %bb.2795:                             ;   in Loop: Header=BB0_2792 Depth=2
	s_wait_loadcnt 0x0
	v_cmp_eq_u32_e64 s0, s6, v5
	v_cmp_eq_u32_e64 s1, s6, v7
	s_and_b32 s0, s0, s1
	s_delay_alu instid0(SALU_CYCLE_1)
	s_or_not1_b32 s1, s0, exec_lo
.LBB0_2796:                             ;   in Loop: Header=BB0_2792 Depth=2
	s_or_b32 exec_lo, exec_lo, s15
	s_delay_alu instid0(SALU_CYCLE_1) | instskip(NEXT) | instid1(SALU_CYCLE_1)
	s_and_b32 s0, exec_lo, s1
	s_or_b32 s13, s0, s13
	s_delay_alu instid0(SALU_CYCLE_1)
	s_and_not1_b32 exec_lo, exec_lo, s13
	s_cbranch_execnz .LBB0_2792
; %bb.2797:                             ;   in Loop: Header=BB0_2792 Depth=2
	s_or_b32 exec_lo, exec_lo, s13
	s_wait_loadcnt 0x0
	v_dual_mov_b32 v5, v6 :: v_dual_mov_b32 v14, 0
	s_mov_b32 s13, 0
	s_delay_alu instid0(VALU_DEP_1) | instskip(SKIP_1) | instid1(SALU_CYCLE_1)
	v_cmp_eq_u64_e64 s0, s[6:7], v[4:5]
	s_or_b32 s12, s0, s12
	s_and_not1_b32 exec_lo, exec_lo, s12
	s_cbranch_execnz .LBB0_2792
; %bb.2798:                             ;   in Loop: Header=BB0_1755 Depth=1
	s_or_b32 exec_lo, exec_lo, s12
	s_add_co_i32 s6, s4, 0x95
	s_mov_b32 s1, s5
	s_bfe_u32 s0, s6, 0x100003
	v_dual_mov_b32 v0, s6 :: v_dual_mov_b32 v1, s6
	s_mulk_i32 s0, 0x20c5
	v_dual_mov_b32 v3, s6 :: v_dual_mov_b32 v14, 0
	s_lshr_b32 s0, s0, 20
	s_mov_b32 s7, s5
	s_mulk_i32 s0, 0x3e8
	s_mov_b32 s12, 0
	s_sub_co_i32 s0, s6, s0
	s_delay_alu instid0(SALU_CYCLE_1) | instskip(NEXT) | instid1(SALU_CYCLE_1)
	s_and_b32 s0, s0, 0xffff
	s_lshl_b32 s0, s0, 12
	s_delay_alu instid0(SALU_CYCLE_1)
	v_add_nc_u64_e32 v[4:5], s[0:1], v[10:11]
	v_add_nc_u64_e32 v[8:9], s[0:1], v[12:13]
	global_store_b128 v[4:5], v[0:3], off th:TH_STORE_NT
.LBB0_2799:                             ;   Parent Loop BB0_1755 Depth=1
                                        ; =>  This Inner Loop Header: Depth=2
	s_wait_loadcnt 0x0
	global_load_b128 v[4:7], v[8:9], off th:TH_LOAD_NT
	v_add_nc_u32_e32 v14, 1, v14
	s_mov_b32 s1, -1
	s_mov_b32 s14, -1
	s_mov_b32 s15, exec_lo
	s_wait_xcnt 0x0
	v_cmpx_eq_u32_e32 0xf4240, v14
	s_cbranch_execz .LBB0_2801
; %bb.2800:                             ;   in Loop: Header=BB0_2799 Depth=2
	s_wait_loadcnt 0x0
	s_wait_storecnt 0x0
	global_load_b32 v0, v2, s[10:11] scope:SCOPE_SYS
	s_wait_loadcnt 0x0
	global_inv scope:SCOPE_SYS
	v_mov_b32_e32 v14, 0
	v_cmp_eq_u32_e64 s0, 0, v0
	s_or_not1_b32 s14, s0, exec_lo
.LBB0_2801:                             ;   in Loop: Header=BB0_2799 Depth=2
	s_wait_xcnt 0x0
	s_or_b32 exec_lo, exec_lo, s15
	s_and_saveexec_b32 s15, s14
	s_cbranch_execz .LBB0_2803
; %bb.2802:                             ;   in Loop: Header=BB0_2799 Depth=2
	s_wait_loadcnt 0x0
	v_cmp_eq_u32_e64 s0, s6, v5
	v_cmp_eq_u32_e64 s1, s6, v7
	s_and_b32 s0, s0, s1
	s_delay_alu instid0(SALU_CYCLE_1)
	s_or_not1_b32 s1, s0, exec_lo
.LBB0_2803:                             ;   in Loop: Header=BB0_2799 Depth=2
	s_or_b32 exec_lo, exec_lo, s15
	s_delay_alu instid0(SALU_CYCLE_1) | instskip(NEXT) | instid1(SALU_CYCLE_1)
	s_and_b32 s0, exec_lo, s1
	s_or_b32 s13, s0, s13
	s_delay_alu instid0(SALU_CYCLE_1)
	s_and_not1_b32 exec_lo, exec_lo, s13
	s_cbranch_execnz .LBB0_2799
; %bb.2804:                             ;   in Loop: Header=BB0_2799 Depth=2
	s_or_b32 exec_lo, exec_lo, s13
	s_wait_loadcnt 0x0
	v_dual_mov_b32 v5, v6 :: v_dual_mov_b32 v14, 0
	s_mov_b32 s13, 0
	s_delay_alu instid0(VALU_DEP_1) | instskip(SKIP_1) | instid1(SALU_CYCLE_1)
	v_cmp_eq_u64_e64 s0, s[6:7], v[4:5]
	s_or_b32 s12, s0, s12
	s_and_not1_b32 exec_lo, exec_lo, s12
	s_cbranch_execnz .LBB0_2799
; %bb.2805:                             ;   in Loop: Header=BB0_1755 Depth=1
	s_or_b32 exec_lo, exec_lo, s12
	s_add_co_i32 s6, s4, 0x96
	s_mov_b32 s1, s5
	s_bfe_u32 s0, s6, 0x100003
	v_dual_mov_b32 v0, s6 :: v_dual_mov_b32 v1, s6
	s_mulk_i32 s0, 0x20c5
	v_dual_mov_b32 v3, s6 :: v_dual_mov_b32 v14, 0
	s_lshr_b32 s0, s0, 20
	s_mov_b32 s7, s5
	s_mulk_i32 s0, 0x3e8
	s_mov_b32 s12, 0
	s_sub_co_i32 s0, s6, s0
	s_delay_alu instid0(SALU_CYCLE_1) | instskip(NEXT) | instid1(SALU_CYCLE_1)
	s_and_b32 s0, s0, 0xffff
	s_lshl_b32 s0, s0, 12
	s_delay_alu instid0(SALU_CYCLE_1)
	v_add_nc_u64_e32 v[4:5], s[0:1], v[10:11]
	v_add_nc_u64_e32 v[8:9], s[0:1], v[12:13]
	global_store_b128 v[4:5], v[0:3], off th:TH_STORE_NT
.LBB0_2806:                             ;   Parent Loop BB0_1755 Depth=1
                                        ; =>  This Inner Loop Header: Depth=2
	s_wait_loadcnt 0x0
	global_load_b128 v[4:7], v[8:9], off th:TH_LOAD_NT
	v_add_nc_u32_e32 v14, 1, v14
	s_mov_b32 s1, -1
	s_mov_b32 s14, -1
	s_mov_b32 s15, exec_lo
	s_wait_xcnt 0x0
	v_cmpx_eq_u32_e32 0xf4240, v14
	s_cbranch_execz .LBB0_2808
; %bb.2807:                             ;   in Loop: Header=BB0_2806 Depth=2
	s_wait_loadcnt 0x0
	s_wait_storecnt 0x0
	global_load_b32 v0, v2, s[10:11] scope:SCOPE_SYS
	s_wait_loadcnt 0x0
	global_inv scope:SCOPE_SYS
	v_mov_b32_e32 v14, 0
	v_cmp_eq_u32_e64 s0, 0, v0
	s_or_not1_b32 s14, s0, exec_lo
.LBB0_2808:                             ;   in Loop: Header=BB0_2806 Depth=2
	s_wait_xcnt 0x0
	s_or_b32 exec_lo, exec_lo, s15
	s_and_saveexec_b32 s15, s14
	s_cbranch_execz .LBB0_2810
; %bb.2809:                             ;   in Loop: Header=BB0_2806 Depth=2
	s_wait_loadcnt 0x0
	v_cmp_eq_u32_e64 s0, s6, v5
	v_cmp_eq_u32_e64 s1, s6, v7
	s_and_b32 s0, s0, s1
	s_delay_alu instid0(SALU_CYCLE_1)
	s_or_not1_b32 s1, s0, exec_lo
.LBB0_2810:                             ;   in Loop: Header=BB0_2806 Depth=2
	s_or_b32 exec_lo, exec_lo, s15
	s_delay_alu instid0(SALU_CYCLE_1) | instskip(NEXT) | instid1(SALU_CYCLE_1)
	s_and_b32 s0, exec_lo, s1
	s_or_b32 s13, s0, s13
	s_delay_alu instid0(SALU_CYCLE_1)
	s_and_not1_b32 exec_lo, exec_lo, s13
	s_cbranch_execnz .LBB0_2806
; %bb.2811:                             ;   in Loop: Header=BB0_2806 Depth=2
	s_or_b32 exec_lo, exec_lo, s13
	s_wait_loadcnt 0x0
	v_dual_mov_b32 v5, v6 :: v_dual_mov_b32 v14, 0
	s_mov_b32 s13, 0
	s_delay_alu instid0(VALU_DEP_1) | instskip(SKIP_1) | instid1(SALU_CYCLE_1)
	v_cmp_eq_u64_e64 s0, s[6:7], v[4:5]
	s_or_b32 s12, s0, s12
	s_and_not1_b32 exec_lo, exec_lo, s12
	s_cbranch_execnz .LBB0_2806
; %bb.2812:                             ;   in Loop: Header=BB0_1755 Depth=1
	s_or_b32 exec_lo, exec_lo, s12
	s_add_co_i32 s6, s4, 0x97
	s_mov_b32 s1, s5
	s_bfe_u32 s0, s6, 0x100003
	v_dual_mov_b32 v0, s6 :: v_dual_mov_b32 v1, s6
	s_mulk_i32 s0, 0x20c5
	v_dual_mov_b32 v3, s6 :: v_dual_mov_b32 v14, 0
	s_lshr_b32 s0, s0, 20
	s_mov_b32 s7, s5
	s_mulk_i32 s0, 0x3e8
	s_mov_b32 s12, 0
	s_sub_co_i32 s0, s6, s0
	s_delay_alu instid0(SALU_CYCLE_1) | instskip(NEXT) | instid1(SALU_CYCLE_1)
	s_and_b32 s0, s0, 0xffff
	s_lshl_b32 s0, s0, 12
	s_delay_alu instid0(SALU_CYCLE_1)
	v_add_nc_u64_e32 v[4:5], s[0:1], v[10:11]
	v_add_nc_u64_e32 v[8:9], s[0:1], v[12:13]
	global_store_b128 v[4:5], v[0:3], off th:TH_STORE_NT
.LBB0_2813:                             ;   Parent Loop BB0_1755 Depth=1
                                        ; =>  This Inner Loop Header: Depth=2
	s_wait_loadcnt 0x0
	global_load_b128 v[4:7], v[8:9], off th:TH_LOAD_NT
	v_add_nc_u32_e32 v14, 1, v14
	s_mov_b32 s1, -1
	s_mov_b32 s14, -1
	s_mov_b32 s15, exec_lo
	s_wait_xcnt 0x0
	v_cmpx_eq_u32_e32 0xf4240, v14
	s_cbranch_execz .LBB0_2815
; %bb.2814:                             ;   in Loop: Header=BB0_2813 Depth=2
	s_wait_loadcnt 0x0
	s_wait_storecnt 0x0
	global_load_b32 v0, v2, s[10:11] scope:SCOPE_SYS
	s_wait_loadcnt 0x0
	global_inv scope:SCOPE_SYS
	v_mov_b32_e32 v14, 0
	v_cmp_eq_u32_e64 s0, 0, v0
	s_or_not1_b32 s14, s0, exec_lo
.LBB0_2815:                             ;   in Loop: Header=BB0_2813 Depth=2
	s_wait_xcnt 0x0
	s_or_b32 exec_lo, exec_lo, s15
	s_and_saveexec_b32 s15, s14
	s_cbranch_execz .LBB0_2817
; %bb.2816:                             ;   in Loop: Header=BB0_2813 Depth=2
	s_wait_loadcnt 0x0
	v_cmp_eq_u32_e64 s0, s6, v5
	v_cmp_eq_u32_e64 s1, s6, v7
	s_and_b32 s0, s0, s1
	s_delay_alu instid0(SALU_CYCLE_1)
	s_or_not1_b32 s1, s0, exec_lo
.LBB0_2817:                             ;   in Loop: Header=BB0_2813 Depth=2
	s_or_b32 exec_lo, exec_lo, s15
	s_delay_alu instid0(SALU_CYCLE_1) | instskip(NEXT) | instid1(SALU_CYCLE_1)
	s_and_b32 s0, exec_lo, s1
	s_or_b32 s13, s0, s13
	s_delay_alu instid0(SALU_CYCLE_1)
	s_and_not1_b32 exec_lo, exec_lo, s13
	s_cbranch_execnz .LBB0_2813
; %bb.2818:                             ;   in Loop: Header=BB0_2813 Depth=2
	s_or_b32 exec_lo, exec_lo, s13
	s_wait_loadcnt 0x0
	v_dual_mov_b32 v5, v6 :: v_dual_mov_b32 v14, 0
	s_mov_b32 s13, 0
	s_delay_alu instid0(VALU_DEP_1) | instskip(SKIP_1) | instid1(SALU_CYCLE_1)
	v_cmp_eq_u64_e64 s0, s[6:7], v[4:5]
	s_or_b32 s12, s0, s12
	s_and_not1_b32 exec_lo, exec_lo, s12
	s_cbranch_execnz .LBB0_2813
; %bb.2819:                             ;   in Loop: Header=BB0_1755 Depth=1
	s_or_b32 exec_lo, exec_lo, s12
	s_add_co_i32 s6, s4, 0x98
	s_mov_b32 s1, s5
	s_bfe_u32 s0, s6, 0x100003
	v_dual_mov_b32 v0, s6 :: v_dual_mov_b32 v1, s6
	s_mulk_i32 s0, 0x20c5
	v_dual_mov_b32 v3, s6 :: v_dual_mov_b32 v14, 0
	s_lshr_b32 s0, s0, 20
	s_mov_b32 s7, s5
	s_mulk_i32 s0, 0x3e8
	s_mov_b32 s12, 0
	s_sub_co_i32 s0, s6, s0
	s_delay_alu instid0(SALU_CYCLE_1) | instskip(NEXT) | instid1(SALU_CYCLE_1)
	s_and_b32 s0, s0, 0xffff
	s_lshl_b32 s0, s0, 12
	s_delay_alu instid0(SALU_CYCLE_1)
	v_add_nc_u64_e32 v[4:5], s[0:1], v[10:11]
	v_add_nc_u64_e32 v[8:9], s[0:1], v[12:13]
	global_store_b128 v[4:5], v[0:3], off th:TH_STORE_NT
.LBB0_2820:                             ;   Parent Loop BB0_1755 Depth=1
                                        ; =>  This Inner Loop Header: Depth=2
	s_wait_loadcnt 0x0
	global_load_b128 v[4:7], v[8:9], off th:TH_LOAD_NT
	v_add_nc_u32_e32 v14, 1, v14
	s_mov_b32 s1, -1
	s_mov_b32 s14, -1
	s_mov_b32 s15, exec_lo
	s_wait_xcnt 0x0
	v_cmpx_eq_u32_e32 0xf4240, v14
	s_cbranch_execz .LBB0_2822
; %bb.2821:                             ;   in Loop: Header=BB0_2820 Depth=2
	s_wait_loadcnt 0x0
	s_wait_storecnt 0x0
	global_load_b32 v0, v2, s[10:11] scope:SCOPE_SYS
	s_wait_loadcnt 0x0
	global_inv scope:SCOPE_SYS
	v_mov_b32_e32 v14, 0
	v_cmp_eq_u32_e64 s0, 0, v0
	s_or_not1_b32 s14, s0, exec_lo
.LBB0_2822:                             ;   in Loop: Header=BB0_2820 Depth=2
	s_wait_xcnt 0x0
	s_or_b32 exec_lo, exec_lo, s15
	s_and_saveexec_b32 s15, s14
	s_cbranch_execz .LBB0_2824
; %bb.2823:                             ;   in Loop: Header=BB0_2820 Depth=2
	s_wait_loadcnt 0x0
	v_cmp_eq_u32_e64 s0, s6, v5
	v_cmp_eq_u32_e64 s1, s6, v7
	s_and_b32 s0, s0, s1
	s_delay_alu instid0(SALU_CYCLE_1)
	s_or_not1_b32 s1, s0, exec_lo
.LBB0_2824:                             ;   in Loop: Header=BB0_2820 Depth=2
	s_or_b32 exec_lo, exec_lo, s15
	s_delay_alu instid0(SALU_CYCLE_1) | instskip(NEXT) | instid1(SALU_CYCLE_1)
	s_and_b32 s0, exec_lo, s1
	s_or_b32 s13, s0, s13
	s_delay_alu instid0(SALU_CYCLE_1)
	s_and_not1_b32 exec_lo, exec_lo, s13
	s_cbranch_execnz .LBB0_2820
; %bb.2825:                             ;   in Loop: Header=BB0_2820 Depth=2
	s_or_b32 exec_lo, exec_lo, s13
	s_wait_loadcnt 0x0
	v_dual_mov_b32 v5, v6 :: v_dual_mov_b32 v14, 0
	s_mov_b32 s13, 0
	s_delay_alu instid0(VALU_DEP_1) | instskip(SKIP_1) | instid1(SALU_CYCLE_1)
	v_cmp_eq_u64_e64 s0, s[6:7], v[4:5]
	s_or_b32 s12, s0, s12
	s_and_not1_b32 exec_lo, exec_lo, s12
	s_cbranch_execnz .LBB0_2820
; %bb.2826:                             ;   in Loop: Header=BB0_1755 Depth=1
	s_or_b32 exec_lo, exec_lo, s12
	s_add_co_i32 s6, s4, 0x99
	s_mov_b32 s1, s5
	s_bfe_u32 s0, s6, 0x100003
	v_dual_mov_b32 v0, s6 :: v_dual_mov_b32 v1, s6
	s_mulk_i32 s0, 0x20c5
	v_dual_mov_b32 v3, s6 :: v_dual_mov_b32 v14, 0
	s_lshr_b32 s0, s0, 20
	s_mov_b32 s7, s5
	s_mulk_i32 s0, 0x3e8
	s_mov_b32 s12, 0
	s_sub_co_i32 s0, s6, s0
	s_delay_alu instid0(SALU_CYCLE_1) | instskip(NEXT) | instid1(SALU_CYCLE_1)
	s_and_b32 s0, s0, 0xffff
	s_lshl_b32 s0, s0, 12
	s_delay_alu instid0(SALU_CYCLE_1)
	v_add_nc_u64_e32 v[4:5], s[0:1], v[10:11]
	v_add_nc_u64_e32 v[8:9], s[0:1], v[12:13]
	global_store_b128 v[4:5], v[0:3], off th:TH_STORE_NT
.LBB0_2827:                             ;   Parent Loop BB0_1755 Depth=1
                                        ; =>  This Inner Loop Header: Depth=2
	s_wait_loadcnt 0x0
	global_load_b128 v[4:7], v[8:9], off th:TH_LOAD_NT
	v_add_nc_u32_e32 v14, 1, v14
	s_mov_b32 s1, -1
	s_mov_b32 s14, -1
	s_mov_b32 s15, exec_lo
	s_wait_xcnt 0x0
	v_cmpx_eq_u32_e32 0xf4240, v14
	s_cbranch_execz .LBB0_2829
; %bb.2828:                             ;   in Loop: Header=BB0_2827 Depth=2
	s_wait_loadcnt 0x0
	s_wait_storecnt 0x0
	global_load_b32 v0, v2, s[10:11] scope:SCOPE_SYS
	s_wait_loadcnt 0x0
	global_inv scope:SCOPE_SYS
	v_mov_b32_e32 v14, 0
	v_cmp_eq_u32_e64 s0, 0, v0
	s_or_not1_b32 s14, s0, exec_lo
.LBB0_2829:                             ;   in Loop: Header=BB0_2827 Depth=2
	s_wait_xcnt 0x0
	s_or_b32 exec_lo, exec_lo, s15
	s_and_saveexec_b32 s15, s14
	s_cbranch_execz .LBB0_2831
; %bb.2830:                             ;   in Loop: Header=BB0_2827 Depth=2
	s_wait_loadcnt 0x0
	v_cmp_eq_u32_e64 s0, s6, v5
	v_cmp_eq_u32_e64 s1, s6, v7
	s_and_b32 s0, s0, s1
	s_delay_alu instid0(SALU_CYCLE_1)
	s_or_not1_b32 s1, s0, exec_lo
.LBB0_2831:                             ;   in Loop: Header=BB0_2827 Depth=2
	s_or_b32 exec_lo, exec_lo, s15
	s_delay_alu instid0(SALU_CYCLE_1) | instskip(NEXT) | instid1(SALU_CYCLE_1)
	s_and_b32 s0, exec_lo, s1
	s_or_b32 s13, s0, s13
	s_delay_alu instid0(SALU_CYCLE_1)
	s_and_not1_b32 exec_lo, exec_lo, s13
	s_cbranch_execnz .LBB0_2827
; %bb.2832:                             ;   in Loop: Header=BB0_2827 Depth=2
	s_or_b32 exec_lo, exec_lo, s13
	s_wait_loadcnt 0x0
	v_dual_mov_b32 v5, v6 :: v_dual_mov_b32 v14, 0
	s_mov_b32 s13, 0
	s_delay_alu instid0(VALU_DEP_1) | instskip(SKIP_1) | instid1(SALU_CYCLE_1)
	v_cmp_eq_u64_e64 s0, s[6:7], v[4:5]
	s_or_b32 s12, s0, s12
	s_and_not1_b32 exec_lo, exec_lo, s12
	s_cbranch_execnz .LBB0_2827
; %bb.2833:                             ;   in Loop: Header=BB0_1755 Depth=1
	s_or_b32 exec_lo, exec_lo, s12
	s_add_co_i32 s6, s4, 0x9a
	s_mov_b32 s1, s5
	s_bfe_u32 s0, s6, 0x100003
	v_dual_mov_b32 v0, s6 :: v_dual_mov_b32 v1, s6
	s_mulk_i32 s0, 0x20c5
	v_dual_mov_b32 v3, s6 :: v_dual_mov_b32 v14, 0
	s_lshr_b32 s0, s0, 20
	s_mov_b32 s7, s5
	s_mulk_i32 s0, 0x3e8
	s_mov_b32 s12, 0
	s_sub_co_i32 s0, s6, s0
	s_delay_alu instid0(SALU_CYCLE_1) | instskip(NEXT) | instid1(SALU_CYCLE_1)
	s_and_b32 s0, s0, 0xffff
	s_lshl_b32 s0, s0, 12
	s_delay_alu instid0(SALU_CYCLE_1)
	v_add_nc_u64_e32 v[4:5], s[0:1], v[10:11]
	v_add_nc_u64_e32 v[8:9], s[0:1], v[12:13]
	global_store_b128 v[4:5], v[0:3], off th:TH_STORE_NT
.LBB0_2834:                             ;   Parent Loop BB0_1755 Depth=1
                                        ; =>  This Inner Loop Header: Depth=2
	s_wait_loadcnt 0x0
	global_load_b128 v[4:7], v[8:9], off th:TH_LOAD_NT
	v_add_nc_u32_e32 v14, 1, v14
	s_mov_b32 s1, -1
	s_mov_b32 s14, -1
	s_mov_b32 s15, exec_lo
	s_wait_xcnt 0x0
	v_cmpx_eq_u32_e32 0xf4240, v14
	s_cbranch_execz .LBB0_2836
; %bb.2835:                             ;   in Loop: Header=BB0_2834 Depth=2
	s_wait_loadcnt 0x0
	s_wait_storecnt 0x0
	global_load_b32 v0, v2, s[10:11] scope:SCOPE_SYS
	s_wait_loadcnt 0x0
	global_inv scope:SCOPE_SYS
	v_mov_b32_e32 v14, 0
	v_cmp_eq_u32_e64 s0, 0, v0
	s_or_not1_b32 s14, s0, exec_lo
.LBB0_2836:                             ;   in Loop: Header=BB0_2834 Depth=2
	s_wait_xcnt 0x0
	s_or_b32 exec_lo, exec_lo, s15
	s_and_saveexec_b32 s15, s14
	s_cbranch_execz .LBB0_2838
; %bb.2837:                             ;   in Loop: Header=BB0_2834 Depth=2
	s_wait_loadcnt 0x0
	v_cmp_eq_u32_e64 s0, s6, v5
	v_cmp_eq_u32_e64 s1, s6, v7
	s_and_b32 s0, s0, s1
	s_delay_alu instid0(SALU_CYCLE_1)
	s_or_not1_b32 s1, s0, exec_lo
.LBB0_2838:                             ;   in Loop: Header=BB0_2834 Depth=2
	s_or_b32 exec_lo, exec_lo, s15
	s_delay_alu instid0(SALU_CYCLE_1) | instskip(NEXT) | instid1(SALU_CYCLE_1)
	s_and_b32 s0, exec_lo, s1
	s_or_b32 s13, s0, s13
	s_delay_alu instid0(SALU_CYCLE_1)
	s_and_not1_b32 exec_lo, exec_lo, s13
	s_cbranch_execnz .LBB0_2834
; %bb.2839:                             ;   in Loop: Header=BB0_2834 Depth=2
	s_or_b32 exec_lo, exec_lo, s13
	s_wait_loadcnt 0x0
	v_dual_mov_b32 v5, v6 :: v_dual_mov_b32 v14, 0
	s_mov_b32 s13, 0
	s_delay_alu instid0(VALU_DEP_1) | instskip(SKIP_1) | instid1(SALU_CYCLE_1)
	v_cmp_eq_u64_e64 s0, s[6:7], v[4:5]
	s_or_b32 s12, s0, s12
	s_and_not1_b32 exec_lo, exec_lo, s12
	s_cbranch_execnz .LBB0_2834
; %bb.2840:                             ;   in Loop: Header=BB0_1755 Depth=1
	s_or_b32 exec_lo, exec_lo, s12
	s_add_co_i32 s6, s4, 0x9b
	s_mov_b32 s1, s5
	s_bfe_u32 s0, s6, 0x100003
	v_dual_mov_b32 v0, s6 :: v_dual_mov_b32 v1, s6
	s_mulk_i32 s0, 0x20c5
	v_dual_mov_b32 v3, s6 :: v_dual_mov_b32 v14, 0
	s_lshr_b32 s0, s0, 20
	s_mov_b32 s7, s5
	s_mulk_i32 s0, 0x3e8
	s_mov_b32 s12, 0
	s_sub_co_i32 s0, s6, s0
	s_delay_alu instid0(SALU_CYCLE_1) | instskip(NEXT) | instid1(SALU_CYCLE_1)
	s_and_b32 s0, s0, 0xffff
	s_lshl_b32 s0, s0, 12
	s_delay_alu instid0(SALU_CYCLE_1)
	v_add_nc_u64_e32 v[4:5], s[0:1], v[10:11]
	v_add_nc_u64_e32 v[8:9], s[0:1], v[12:13]
	global_store_b128 v[4:5], v[0:3], off th:TH_STORE_NT
.LBB0_2841:                             ;   Parent Loop BB0_1755 Depth=1
                                        ; =>  This Inner Loop Header: Depth=2
	s_wait_loadcnt 0x0
	global_load_b128 v[4:7], v[8:9], off th:TH_LOAD_NT
	v_add_nc_u32_e32 v14, 1, v14
	s_mov_b32 s1, -1
	s_mov_b32 s14, -1
	s_mov_b32 s15, exec_lo
	s_wait_xcnt 0x0
	v_cmpx_eq_u32_e32 0xf4240, v14
	s_cbranch_execz .LBB0_2843
; %bb.2842:                             ;   in Loop: Header=BB0_2841 Depth=2
	s_wait_loadcnt 0x0
	s_wait_storecnt 0x0
	global_load_b32 v0, v2, s[10:11] scope:SCOPE_SYS
	s_wait_loadcnt 0x0
	global_inv scope:SCOPE_SYS
	v_mov_b32_e32 v14, 0
	v_cmp_eq_u32_e64 s0, 0, v0
	s_or_not1_b32 s14, s0, exec_lo
.LBB0_2843:                             ;   in Loop: Header=BB0_2841 Depth=2
	s_wait_xcnt 0x0
	s_or_b32 exec_lo, exec_lo, s15
	s_and_saveexec_b32 s15, s14
	s_cbranch_execz .LBB0_2845
; %bb.2844:                             ;   in Loop: Header=BB0_2841 Depth=2
	s_wait_loadcnt 0x0
	v_cmp_eq_u32_e64 s0, s6, v5
	v_cmp_eq_u32_e64 s1, s6, v7
	s_and_b32 s0, s0, s1
	s_delay_alu instid0(SALU_CYCLE_1)
	s_or_not1_b32 s1, s0, exec_lo
.LBB0_2845:                             ;   in Loop: Header=BB0_2841 Depth=2
	s_or_b32 exec_lo, exec_lo, s15
	s_delay_alu instid0(SALU_CYCLE_1) | instskip(NEXT) | instid1(SALU_CYCLE_1)
	s_and_b32 s0, exec_lo, s1
	s_or_b32 s13, s0, s13
	s_delay_alu instid0(SALU_CYCLE_1)
	s_and_not1_b32 exec_lo, exec_lo, s13
	s_cbranch_execnz .LBB0_2841
; %bb.2846:                             ;   in Loop: Header=BB0_2841 Depth=2
	s_or_b32 exec_lo, exec_lo, s13
	s_wait_loadcnt 0x0
	v_dual_mov_b32 v5, v6 :: v_dual_mov_b32 v14, 0
	s_mov_b32 s13, 0
	s_delay_alu instid0(VALU_DEP_1) | instskip(SKIP_1) | instid1(SALU_CYCLE_1)
	v_cmp_eq_u64_e64 s0, s[6:7], v[4:5]
	s_or_b32 s12, s0, s12
	s_and_not1_b32 exec_lo, exec_lo, s12
	s_cbranch_execnz .LBB0_2841
; %bb.2847:                             ;   in Loop: Header=BB0_1755 Depth=1
	s_or_b32 exec_lo, exec_lo, s12
	s_add_co_i32 s6, s4, 0x9c
	s_mov_b32 s1, s5
	s_bfe_u32 s0, s6, 0x100003
	v_dual_mov_b32 v0, s6 :: v_dual_mov_b32 v1, s6
	s_mulk_i32 s0, 0x20c5
	v_dual_mov_b32 v3, s6 :: v_dual_mov_b32 v14, 0
	s_lshr_b32 s0, s0, 20
	s_mov_b32 s7, s5
	s_mulk_i32 s0, 0x3e8
	s_mov_b32 s12, 0
	s_sub_co_i32 s0, s6, s0
	s_delay_alu instid0(SALU_CYCLE_1) | instskip(NEXT) | instid1(SALU_CYCLE_1)
	s_and_b32 s0, s0, 0xffff
	s_lshl_b32 s0, s0, 12
	s_delay_alu instid0(SALU_CYCLE_1)
	v_add_nc_u64_e32 v[4:5], s[0:1], v[10:11]
	v_add_nc_u64_e32 v[8:9], s[0:1], v[12:13]
	global_store_b128 v[4:5], v[0:3], off th:TH_STORE_NT
.LBB0_2848:                             ;   Parent Loop BB0_1755 Depth=1
                                        ; =>  This Inner Loop Header: Depth=2
	s_wait_loadcnt 0x0
	global_load_b128 v[4:7], v[8:9], off th:TH_LOAD_NT
	v_add_nc_u32_e32 v14, 1, v14
	s_mov_b32 s1, -1
	s_mov_b32 s14, -1
	s_mov_b32 s15, exec_lo
	s_wait_xcnt 0x0
	v_cmpx_eq_u32_e32 0xf4240, v14
	s_cbranch_execz .LBB0_2850
; %bb.2849:                             ;   in Loop: Header=BB0_2848 Depth=2
	s_wait_loadcnt 0x0
	s_wait_storecnt 0x0
	global_load_b32 v0, v2, s[10:11] scope:SCOPE_SYS
	s_wait_loadcnt 0x0
	global_inv scope:SCOPE_SYS
	v_mov_b32_e32 v14, 0
	v_cmp_eq_u32_e64 s0, 0, v0
	s_or_not1_b32 s14, s0, exec_lo
.LBB0_2850:                             ;   in Loop: Header=BB0_2848 Depth=2
	s_wait_xcnt 0x0
	s_or_b32 exec_lo, exec_lo, s15
	s_and_saveexec_b32 s15, s14
	s_cbranch_execz .LBB0_2852
; %bb.2851:                             ;   in Loop: Header=BB0_2848 Depth=2
	s_wait_loadcnt 0x0
	v_cmp_eq_u32_e64 s0, s6, v5
	v_cmp_eq_u32_e64 s1, s6, v7
	s_and_b32 s0, s0, s1
	s_delay_alu instid0(SALU_CYCLE_1)
	s_or_not1_b32 s1, s0, exec_lo
.LBB0_2852:                             ;   in Loop: Header=BB0_2848 Depth=2
	s_or_b32 exec_lo, exec_lo, s15
	s_delay_alu instid0(SALU_CYCLE_1) | instskip(NEXT) | instid1(SALU_CYCLE_1)
	s_and_b32 s0, exec_lo, s1
	s_or_b32 s13, s0, s13
	s_delay_alu instid0(SALU_CYCLE_1)
	s_and_not1_b32 exec_lo, exec_lo, s13
	s_cbranch_execnz .LBB0_2848
; %bb.2853:                             ;   in Loop: Header=BB0_2848 Depth=2
	s_or_b32 exec_lo, exec_lo, s13
	s_wait_loadcnt 0x0
	v_dual_mov_b32 v5, v6 :: v_dual_mov_b32 v14, 0
	s_mov_b32 s13, 0
	s_delay_alu instid0(VALU_DEP_1) | instskip(SKIP_1) | instid1(SALU_CYCLE_1)
	v_cmp_eq_u64_e64 s0, s[6:7], v[4:5]
	s_or_b32 s12, s0, s12
	s_and_not1_b32 exec_lo, exec_lo, s12
	s_cbranch_execnz .LBB0_2848
; %bb.2854:                             ;   in Loop: Header=BB0_1755 Depth=1
	s_or_b32 exec_lo, exec_lo, s12
	s_add_co_i32 s6, s4, 0x9d
	s_mov_b32 s1, s5
	s_bfe_u32 s0, s6, 0x100003
	v_dual_mov_b32 v0, s6 :: v_dual_mov_b32 v1, s6
	s_mulk_i32 s0, 0x20c5
	v_dual_mov_b32 v3, s6 :: v_dual_mov_b32 v14, 0
	s_lshr_b32 s0, s0, 20
	s_mov_b32 s7, s5
	s_mulk_i32 s0, 0x3e8
	s_mov_b32 s12, 0
	s_sub_co_i32 s0, s6, s0
	s_delay_alu instid0(SALU_CYCLE_1) | instskip(NEXT) | instid1(SALU_CYCLE_1)
	s_and_b32 s0, s0, 0xffff
	s_lshl_b32 s0, s0, 12
	s_delay_alu instid0(SALU_CYCLE_1)
	v_add_nc_u64_e32 v[4:5], s[0:1], v[10:11]
	v_add_nc_u64_e32 v[8:9], s[0:1], v[12:13]
	global_store_b128 v[4:5], v[0:3], off th:TH_STORE_NT
.LBB0_2855:                             ;   Parent Loop BB0_1755 Depth=1
                                        ; =>  This Inner Loop Header: Depth=2
	s_wait_loadcnt 0x0
	global_load_b128 v[4:7], v[8:9], off th:TH_LOAD_NT
	v_add_nc_u32_e32 v14, 1, v14
	s_mov_b32 s1, -1
	s_mov_b32 s14, -1
	s_mov_b32 s15, exec_lo
	s_wait_xcnt 0x0
	v_cmpx_eq_u32_e32 0xf4240, v14
	s_cbranch_execz .LBB0_2857
; %bb.2856:                             ;   in Loop: Header=BB0_2855 Depth=2
	s_wait_loadcnt 0x0
	s_wait_storecnt 0x0
	global_load_b32 v0, v2, s[10:11] scope:SCOPE_SYS
	s_wait_loadcnt 0x0
	global_inv scope:SCOPE_SYS
	v_mov_b32_e32 v14, 0
	v_cmp_eq_u32_e64 s0, 0, v0
	s_or_not1_b32 s14, s0, exec_lo
.LBB0_2857:                             ;   in Loop: Header=BB0_2855 Depth=2
	s_wait_xcnt 0x0
	s_or_b32 exec_lo, exec_lo, s15
	s_and_saveexec_b32 s15, s14
	s_cbranch_execz .LBB0_2859
; %bb.2858:                             ;   in Loop: Header=BB0_2855 Depth=2
	s_wait_loadcnt 0x0
	v_cmp_eq_u32_e64 s0, s6, v5
	v_cmp_eq_u32_e64 s1, s6, v7
	s_and_b32 s0, s0, s1
	s_delay_alu instid0(SALU_CYCLE_1)
	s_or_not1_b32 s1, s0, exec_lo
.LBB0_2859:                             ;   in Loop: Header=BB0_2855 Depth=2
	s_or_b32 exec_lo, exec_lo, s15
	s_delay_alu instid0(SALU_CYCLE_1) | instskip(NEXT) | instid1(SALU_CYCLE_1)
	s_and_b32 s0, exec_lo, s1
	s_or_b32 s13, s0, s13
	s_delay_alu instid0(SALU_CYCLE_1)
	s_and_not1_b32 exec_lo, exec_lo, s13
	s_cbranch_execnz .LBB0_2855
; %bb.2860:                             ;   in Loop: Header=BB0_2855 Depth=2
	s_or_b32 exec_lo, exec_lo, s13
	s_wait_loadcnt 0x0
	v_dual_mov_b32 v5, v6 :: v_dual_mov_b32 v14, 0
	s_mov_b32 s13, 0
	s_delay_alu instid0(VALU_DEP_1) | instskip(SKIP_1) | instid1(SALU_CYCLE_1)
	v_cmp_eq_u64_e64 s0, s[6:7], v[4:5]
	s_or_b32 s12, s0, s12
	s_and_not1_b32 exec_lo, exec_lo, s12
	s_cbranch_execnz .LBB0_2855
; %bb.2861:                             ;   in Loop: Header=BB0_1755 Depth=1
	s_or_b32 exec_lo, exec_lo, s12
	s_add_co_i32 s6, s4, 0x9e
	s_mov_b32 s1, s5
	s_bfe_u32 s0, s6, 0x100003
	v_dual_mov_b32 v0, s6 :: v_dual_mov_b32 v1, s6
	s_mulk_i32 s0, 0x20c5
	v_dual_mov_b32 v3, s6 :: v_dual_mov_b32 v14, 0
	s_lshr_b32 s0, s0, 20
	s_mov_b32 s7, s5
	s_mulk_i32 s0, 0x3e8
	s_mov_b32 s12, 0
	s_sub_co_i32 s0, s6, s0
	s_delay_alu instid0(SALU_CYCLE_1) | instskip(NEXT) | instid1(SALU_CYCLE_1)
	s_and_b32 s0, s0, 0xffff
	s_lshl_b32 s0, s0, 12
	s_delay_alu instid0(SALU_CYCLE_1)
	v_add_nc_u64_e32 v[4:5], s[0:1], v[10:11]
	v_add_nc_u64_e32 v[8:9], s[0:1], v[12:13]
	global_store_b128 v[4:5], v[0:3], off th:TH_STORE_NT
.LBB0_2862:                             ;   Parent Loop BB0_1755 Depth=1
                                        ; =>  This Inner Loop Header: Depth=2
	s_wait_loadcnt 0x0
	global_load_b128 v[4:7], v[8:9], off th:TH_LOAD_NT
	v_add_nc_u32_e32 v14, 1, v14
	s_mov_b32 s1, -1
	s_mov_b32 s14, -1
	s_mov_b32 s15, exec_lo
	s_wait_xcnt 0x0
	v_cmpx_eq_u32_e32 0xf4240, v14
	s_cbranch_execz .LBB0_2864
; %bb.2863:                             ;   in Loop: Header=BB0_2862 Depth=2
	s_wait_loadcnt 0x0
	s_wait_storecnt 0x0
	global_load_b32 v0, v2, s[10:11] scope:SCOPE_SYS
	s_wait_loadcnt 0x0
	global_inv scope:SCOPE_SYS
	v_mov_b32_e32 v14, 0
	v_cmp_eq_u32_e64 s0, 0, v0
	s_or_not1_b32 s14, s0, exec_lo
.LBB0_2864:                             ;   in Loop: Header=BB0_2862 Depth=2
	s_wait_xcnt 0x0
	s_or_b32 exec_lo, exec_lo, s15
	s_and_saveexec_b32 s15, s14
	s_cbranch_execz .LBB0_2866
; %bb.2865:                             ;   in Loop: Header=BB0_2862 Depth=2
	s_wait_loadcnt 0x0
	v_cmp_eq_u32_e64 s0, s6, v5
	v_cmp_eq_u32_e64 s1, s6, v7
	s_and_b32 s0, s0, s1
	s_delay_alu instid0(SALU_CYCLE_1)
	s_or_not1_b32 s1, s0, exec_lo
.LBB0_2866:                             ;   in Loop: Header=BB0_2862 Depth=2
	s_or_b32 exec_lo, exec_lo, s15
	s_delay_alu instid0(SALU_CYCLE_1) | instskip(NEXT) | instid1(SALU_CYCLE_1)
	s_and_b32 s0, exec_lo, s1
	s_or_b32 s13, s0, s13
	s_delay_alu instid0(SALU_CYCLE_1)
	s_and_not1_b32 exec_lo, exec_lo, s13
	s_cbranch_execnz .LBB0_2862
; %bb.2867:                             ;   in Loop: Header=BB0_2862 Depth=2
	s_or_b32 exec_lo, exec_lo, s13
	s_wait_loadcnt 0x0
	v_dual_mov_b32 v5, v6 :: v_dual_mov_b32 v14, 0
	s_mov_b32 s13, 0
	s_delay_alu instid0(VALU_DEP_1) | instskip(SKIP_1) | instid1(SALU_CYCLE_1)
	v_cmp_eq_u64_e64 s0, s[6:7], v[4:5]
	s_or_b32 s12, s0, s12
	s_and_not1_b32 exec_lo, exec_lo, s12
	s_cbranch_execnz .LBB0_2862
; %bb.2868:                             ;   in Loop: Header=BB0_1755 Depth=1
	s_or_b32 exec_lo, exec_lo, s12
	s_add_co_i32 s6, s4, 0x9f
	s_mov_b32 s1, s5
	s_bfe_u32 s0, s6, 0x100003
	v_dual_mov_b32 v0, s6 :: v_dual_mov_b32 v1, s6
	s_mulk_i32 s0, 0x20c5
	v_dual_mov_b32 v3, s6 :: v_dual_mov_b32 v14, 0
	s_lshr_b32 s0, s0, 20
	s_mov_b32 s7, s5
	s_mulk_i32 s0, 0x3e8
	s_mov_b32 s12, 0
	s_sub_co_i32 s0, s6, s0
	s_delay_alu instid0(SALU_CYCLE_1) | instskip(NEXT) | instid1(SALU_CYCLE_1)
	s_and_b32 s0, s0, 0xffff
	s_lshl_b32 s0, s0, 12
	s_delay_alu instid0(SALU_CYCLE_1)
	v_add_nc_u64_e32 v[4:5], s[0:1], v[10:11]
	v_add_nc_u64_e32 v[8:9], s[0:1], v[12:13]
	global_store_b128 v[4:5], v[0:3], off th:TH_STORE_NT
.LBB0_2869:                             ;   Parent Loop BB0_1755 Depth=1
                                        ; =>  This Inner Loop Header: Depth=2
	s_wait_loadcnt 0x0
	global_load_b128 v[4:7], v[8:9], off th:TH_LOAD_NT
	v_add_nc_u32_e32 v14, 1, v14
	s_mov_b32 s1, -1
	s_mov_b32 s14, -1
	s_mov_b32 s15, exec_lo
	s_wait_xcnt 0x0
	v_cmpx_eq_u32_e32 0xf4240, v14
	s_cbranch_execz .LBB0_2871
; %bb.2870:                             ;   in Loop: Header=BB0_2869 Depth=2
	s_wait_loadcnt 0x0
	s_wait_storecnt 0x0
	global_load_b32 v0, v2, s[10:11] scope:SCOPE_SYS
	s_wait_loadcnt 0x0
	global_inv scope:SCOPE_SYS
	v_mov_b32_e32 v14, 0
	v_cmp_eq_u32_e64 s0, 0, v0
	s_or_not1_b32 s14, s0, exec_lo
.LBB0_2871:                             ;   in Loop: Header=BB0_2869 Depth=2
	s_wait_xcnt 0x0
	s_or_b32 exec_lo, exec_lo, s15
	s_and_saveexec_b32 s15, s14
	s_cbranch_execz .LBB0_2873
; %bb.2872:                             ;   in Loop: Header=BB0_2869 Depth=2
	s_wait_loadcnt 0x0
	v_cmp_eq_u32_e64 s0, s6, v5
	v_cmp_eq_u32_e64 s1, s6, v7
	s_and_b32 s0, s0, s1
	s_delay_alu instid0(SALU_CYCLE_1)
	s_or_not1_b32 s1, s0, exec_lo
.LBB0_2873:                             ;   in Loop: Header=BB0_2869 Depth=2
	s_or_b32 exec_lo, exec_lo, s15
	s_delay_alu instid0(SALU_CYCLE_1) | instskip(NEXT) | instid1(SALU_CYCLE_1)
	s_and_b32 s0, exec_lo, s1
	s_or_b32 s13, s0, s13
	s_delay_alu instid0(SALU_CYCLE_1)
	s_and_not1_b32 exec_lo, exec_lo, s13
	s_cbranch_execnz .LBB0_2869
; %bb.2874:                             ;   in Loop: Header=BB0_2869 Depth=2
	s_or_b32 exec_lo, exec_lo, s13
	s_wait_loadcnt 0x0
	v_dual_mov_b32 v5, v6 :: v_dual_mov_b32 v14, 0
	s_mov_b32 s13, 0
	s_delay_alu instid0(VALU_DEP_1) | instskip(SKIP_1) | instid1(SALU_CYCLE_1)
	v_cmp_eq_u64_e64 s0, s[6:7], v[4:5]
	s_or_b32 s12, s0, s12
	s_and_not1_b32 exec_lo, exec_lo, s12
	s_cbranch_execnz .LBB0_2869
; %bb.2875:                             ;   in Loop: Header=BB0_1755 Depth=1
	s_or_b32 exec_lo, exec_lo, s12
	s_add_co_i32 s6, s4, 0xa0
	s_mov_b32 s1, s5
	s_bfe_u32 s0, s6, 0x100003
	v_dual_mov_b32 v0, s6 :: v_dual_mov_b32 v1, s6
	s_mulk_i32 s0, 0x20c5
	v_dual_mov_b32 v3, s6 :: v_dual_mov_b32 v14, 0
	s_lshr_b32 s0, s0, 20
	s_mov_b32 s7, s5
	s_mulk_i32 s0, 0x3e8
	s_mov_b32 s12, 0
	s_sub_co_i32 s0, s6, s0
	s_delay_alu instid0(SALU_CYCLE_1) | instskip(NEXT) | instid1(SALU_CYCLE_1)
	s_and_b32 s0, s0, 0xffff
	s_lshl_b32 s0, s0, 12
	s_delay_alu instid0(SALU_CYCLE_1)
	v_add_nc_u64_e32 v[4:5], s[0:1], v[10:11]
	v_add_nc_u64_e32 v[8:9], s[0:1], v[12:13]
	global_store_b128 v[4:5], v[0:3], off th:TH_STORE_NT
.LBB0_2876:                             ;   Parent Loop BB0_1755 Depth=1
                                        ; =>  This Inner Loop Header: Depth=2
	s_wait_loadcnt 0x0
	global_load_b128 v[4:7], v[8:9], off th:TH_LOAD_NT
	v_add_nc_u32_e32 v14, 1, v14
	s_mov_b32 s1, -1
	s_mov_b32 s14, -1
	s_mov_b32 s15, exec_lo
	s_wait_xcnt 0x0
	v_cmpx_eq_u32_e32 0xf4240, v14
	s_cbranch_execz .LBB0_2878
; %bb.2877:                             ;   in Loop: Header=BB0_2876 Depth=2
	s_wait_loadcnt 0x0
	s_wait_storecnt 0x0
	global_load_b32 v0, v2, s[10:11] scope:SCOPE_SYS
	s_wait_loadcnt 0x0
	global_inv scope:SCOPE_SYS
	v_mov_b32_e32 v14, 0
	v_cmp_eq_u32_e64 s0, 0, v0
	s_or_not1_b32 s14, s0, exec_lo
.LBB0_2878:                             ;   in Loop: Header=BB0_2876 Depth=2
	s_wait_xcnt 0x0
	s_or_b32 exec_lo, exec_lo, s15
	s_and_saveexec_b32 s15, s14
	s_cbranch_execz .LBB0_2880
; %bb.2879:                             ;   in Loop: Header=BB0_2876 Depth=2
	s_wait_loadcnt 0x0
	v_cmp_eq_u32_e64 s0, s6, v5
	v_cmp_eq_u32_e64 s1, s6, v7
	s_and_b32 s0, s0, s1
	s_delay_alu instid0(SALU_CYCLE_1)
	s_or_not1_b32 s1, s0, exec_lo
.LBB0_2880:                             ;   in Loop: Header=BB0_2876 Depth=2
	s_or_b32 exec_lo, exec_lo, s15
	s_delay_alu instid0(SALU_CYCLE_1) | instskip(NEXT) | instid1(SALU_CYCLE_1)
	s_and_b32 s0, exec_lo, s1
	s_or_b32 s13, s0, s13
	s_delay_alu instid0(SALU_CYCLE_1)
	s_and_not1_b32 exec_lo, exec_lo, s13
	s_cbranch_execnz .LBB0_2876
; %bb.2881:                             ;   in Loop: Header=BB0_2876 Depth=2
	s_or_b32 exec_lo, exec_lo, s13
	s_wait_loadcnt 0x0
	v_dual_mov_b32 v5, v6 :: v_dual_mov_b32 v14, 0
	s_mov_b32 s13, 0
	s_delay_alu instid0(VALU_DEP_1) | instskip(SKIP_1) | instid1(SALU_CYCLE_1)
	v_cmp_eq_u64_e64 s0, s[6:7], v[4:5]
	s_or_b32 s12, s0, s12
	s_and_not1_b32 exec_lo, exec_lo, s12
	s_cbranch_execnz .LBB0_2876
; %bb.2882:                             ;   in Loop: Header=BB0_1755 Depth=1
	s_or_b32 exec_lo, exec_lo, s12
	s_add_co_i32 s6, s4, 0xa1
	s_mov_b32 s1, s5
	s_bfe_u32 s0, s6, 0x100003
	v_dual_mov_b32 v0, s6 :: v_dual_mov_b32 v1, s6
	s_mulk_i32 s0, 0x20c5
	v_dual_mov_b32 v3, s6 :: v_dual_mov_b32 v14, 0
	s_lshr_b32 s0, s0, 20
	s_mov_b32 s7, s5
	s_mulk_i32 s0, 0x3e8
	s_mov_b32 s12, 0
	s_sub_co_i32 s0, s6, s0
	s_delay_alu instid0(SALU_CYCLE_1) | instskip(NEXT) | instid1(SALU_CYCLE_1)
	s_and_b32 s0, s0, 0xffff
	s_lshl_b32 s0, s0, 12
	s_delay_alu instid0(SALU_CYCLE_1)
	v_add_nc_u64_e32 v[4:5], s[0:1], v[10:11]
	v_add_nc_u64_e32 v[8:9], s[0:1], v[12:13]
	global_store_b128 v[4:5], v[0:3], off th:TH_STORE_NT
.LBB0_2883:                             ;   Parent Loop BB0_1755 Depth=1
                                        ; =>  This Inner Loop Header: Depth=2
	s_wait_loadcnt 0x0
	global_load_b128 v[4:7], v[8:9], off th:TH_LOAD_NT
	v_add_nc_u32_e32 v14, 1, v14
	s_mov_b32 s1, -1
	s_mov_b32 s14, -1
	s_mov_b32 s15, exec_lo
	s_wait_xcnt 0x0
	v_cmpx_eq_u32_e32 0xf4240, v14
	s_cbranch_execz .LBB0_2885
; %bb.2884:                             ;   in Loop: Header=BB0_2883 Depth=2
	s_wait_loadcnt 0x0
	s_wait_storecnt 0x0
	global_load_b32 v0, v2, s[10:11] scope:SCOPE_SYS
	s_wait_loadcnt 0x0
	global_inv scope:SCOPE_SYS
	v_mov_b32_e32 v14, 0
	v_cmp_eq_u32_e64 s0, 0, v0
	s_or_not1_b32 s14, s0, exec_lo
.LBB0_2885:                             ;   in Loop: Header=BB0_2883 Depth=2
	s_wait_xcnt 0x0
	s_or_b32 exec_lo, exec_lo, s15
	s_and_saveexec_b32 s15, s14
	s_cbranch_execz .LBB0_2887
; %bb.2886:                             ;   in Loop: Header=BB0_2883 Depth=2
	s_wait_loadcnt 0x0
	v_cmp_eq_u32_e64 s0, s6, v5
	v_cmp_eq_u32_e64 s1, s6, v7
	s_and_b32 s0, s0, s1
	s_delay_alu instid0(SALU_CYCLE_1)
	s_or_not1_b32 s1, s0, exec_lo
.LBB0_2887:                             ;   in Loop: Header=BB0_2883 Depth=2
	s_or_b32 exec_lo, exec_lo, s15
	s_delay_alu instid0(SALU_CYCLE_1) | instskip(NEXT) | instid1(SALU_CYCLE_1)
	s_and_b32 s0, exec_lo, s1
	s_or_b32 s13, s0, s13
	s_delay_alu instid0(SALU_CYCLE_1)
	s_and_not1_b32 exec_lo, exec_lo, s13
	s_cbranch_execnz .LBB0_2883
; %bb.2888:                             ;   in Loop: Header=BB0_2883 Depth=2
	s_or_b32 exec_lo, exec_lo, s13
	s_wait_loadcnt 0x0
	v_dual_mov_b32 v5, v6 :: v_dual_mov_b32 v14, 0
	s_mov_b32 s13, 0
	s_delay_alu instid0(VALU_DEP_1) | instskip(SKIP_1) | instid1(SALU_CYCLE_1)
	v_cmp_eq_u64_e64 s0, s[6:7], v[4:5]
	s_or_b32 s12, s0, s12
	s_and_not1_b32 exec_lo, exec_lo, s12
	s_cbranch_execnz .LBB0_2883
; %bb.2889:                             ;   in Loop: Header=BB0_1755 Depth=1
	s_or_b32 exec_lo, exec_lo, s12
	s_add_co_i32 s6, s4, 0xa2
	s_mov_b32 s1, s5
	s_bfe_u32 s0, s6, 0x100003
	v_dual_mov_b32 v0, s6 :: v_dual_mov_b32 v1, s6
	s_mulk_i32 s0, 0x20c5
	v_dual_mov_b32 v3, s6 :: v_dual_mov_b32 v14, 0
	s_lshr_b32 s0, s0, 20
	s_mov_b32 s7, s5
	s_mulk_i32 s0, 0x3e8
	s_mov_b32 s12, 0
	s_sub_co_i32 s0, s6, s0
	s_delay_alu instid0(SALU_CYCLE_1) | instskip(NEXT) | instid1(SALU_CYCLE_1)
	s_and_b32 s0, s0, 0xffff
	s_lshl_b32 s0, s0, 12
	s_delay_alu instid0(SALU_CYCLE_1)
	v_add_nc_u64_e32 v[4:5], s[0:1], v[10:11]
	v_add_nc_u64_e32 v[8:9], s[0:1], v[12:13]
	global_store_b128 v[4:5], v[0:3], off th:TH_STORE_NT
.LBB0_2890:                             ;   Parent Loop BB0_1755 Depth=1
                                        ; =>  This Inner Loop Header: Depth=2
	s_wait_loadcnt 0x0
	global_load_b128 v[4:7], v[8:9], off th:TH_LOAD_NT
	v_add_nc_u32_e32 v14, 1, v14
	s_mov_b32 s1, -1
	s_mov_b32 s14, -1
	s_mov_b32 s15, exec_lo
	s_wait_xcnt 0x0
	v_cmpx_eq_u32_e32 0xf4240, v14
	s_cbranch_execz .LBB0_2892
; %bb.2891:                             ;   in Loop: Header=BB0_2890 Depth=2
	s_wait_loadcnt 0x0
	s_wait_storecnt 0x0
	global_load_b32 v0, v2, s[10:11] scope:SCOPE_SYS
	s_wait_loadcnt 0x0
	global_inv scope:SCOPE_SYS
	v_mov_b32_e32 v14, 0
	v_cmp_eq_u32_e64 s0, 0, v0
	s_or_not1_b32 s14, s0, exec_lo
.LBB0_2892:                             ;   in Loop: Header=BB0_2890 Depth=2
	s_wait_xcnt 0x0
	s_or_b32 exec_lo, exec_lo, s15
	s_and_saveexec_b32 s15, s14
	s_cbranch_execz .LBB0_2894
; %bb.2893:                             ;   in Loop: Header=BB0_2890 Depth=2
	s_wait_loadcnt 0x0
	v_cmp_eq_u32_e64 s0, s6, v5
	v_cmp_eq_u32_e64 s1, s6, v7
	s_and_b32 s0, s0, s1
	s_delay_alu instid0(SALU_CYCLE_1)
	s_or_not1_b32 s1, s0, exec_lo
.LBB0_2894:                             ;   in Loop: Header=BB0_2890 Depth=2
	s_or_b32 exec_lo, exec_lo, s15
	s_delay_alu instid0(SALU_CYCLE_1) | instskip(NEXT) | instid1(SALU_CYCLE_1)
	s_and_b32 s0, exec_lo, s1
	s_or_b32 s13, s0, s13
	s_delay_alu instid0(SALU_CYCLE_1)
	s_and_not1_b32 exec_lo, exec_lo, s13
	s_cbranch_execnz .LBB0_2890
; %bb.2895:                             ;   in Loop: Header=BB0_2890 Depth=2
	s_or_b32 exec_lo, exec_lo, s13
	s_wait_loadcnt 0x0
	v_dual_mov_b32 v5, v6 :: v_dual_mov_b32 v14, 0
	s_mov_b32 s13, 0
	s_delay_alu instid0(VALU_DEP_1) | instskip(SKIP_1) | instid1(SALU_CYCLE_1)
	v_cmp_eq_u64_e64 s0, s[6:7], v[4:5]
	s_or_b32 s12, s0, s12
	s_and_not1_b32 exec_lo, exec_lo, s12
	s_cbranch_execnz .LBB0_2890
; %bb.2896:                             ;   in Loop: Header=BB0_1755 Depth=1
	s_or_b32 exec_lo, exec_lo, s12
	s_add_co_i32 s6, s4, 0xa3
	s_mov_b32 s1, s5
	s_bfe_u32 s0, s6, 0x100003
	v_dual_mov_b32 v0, s6 :: v_dual_mov_b32 v1, s6
	s_mulk_i32 s0, 0x20c5
	v_dual_mov_b32 v3, s6 :: v_dual_mov_b32 v14, 0
	s_lshr_b32 s0, s0, 20
	s_mov_b32 s7, s5
	s_mulk_i32 s0, 0x3e8
	s_mov_b32 s12, 0
	s_sub_co_i32 s0, s6, s0
	s_delay_alu instid0(SALU_CYCLE_1) | instskip(NEXT) | instid1(SALU_CYCLE_1)
	s_and_b32 s0, s0, 0xffff
	s_lshl_b32 s0, s0, 12
	s_delay_alu instid0(SALU_CYCLE_1)
	v_add_nc_u64_e32 v[4:5], s[0:1], v[10:11]
	v_add_nc_u64_e32 v[8:9], s[0:1], v[12:13]
	global_store_b128 v[4:5], v[0:3], off th:TH_STORE_NT
.LBB0_2897:                             ;   Parent Loop BB0_1755 Depth=1
                                        ; =>  This Inner Loop Header: Depth=2
	s_wait_loadcnt 0x0
	global_load_b128 v[4:7], v[8:9], off th:TH_LOAD_NT
	v_add_nc_u32_e32 v14, 1, v14
	s_mov_b32 s1, -1
	s_mov_b32 s14, -1
	s_mov_b32 s15, exec_lo
	s_wait_xcnt 0x0
	v_cmpx_eq_u32_e32 0xf4240, v14
	s_cbranch_execz .LBB0_2899
; %bb.2898:                             ;   in Loop: Header=BB0_2897 Depth=2
	s_wait_loadcnt 0x0
	s_wait_storecnt 0x0
	global_load_b32 v0, v2, s[10:11] scope:SCOPE_SYS
	s_wait_loadcnt 0x0
	global_inv scope:SCOPE_SYS
	v_mov_b32_e32 v14, 0
	v_cmp_eq_u32_e64 s0, 0, v0
	s_or_not1_b32 s14, s0, exec_lo
.LBB0_2899:                             ;   in Loop: Header=BB0_2897 Depth=2
	s_wait_xcnt 0x0
	s_or_b32 exec_lo, exec_lo, s15
	s_and_saveexec_b32 s15, s14
	s_cbranch_execz .LBB0_2901
; %bb.2900:                             ;   in Loop: Header=BB0_2897 Depth=2
	s_wait_loadcnt 0x0
	v_cmp_eq_u32_e64 s0, s6, v5
	v_cmp_eq_u32_e64 s1, s6, v7
	s_and_b32 s0, s0, s1
	s_delay_alu instid0(SALU_CYCLE_1)
	s_or_not1_b32 s1, s0, exec_lo
.LBB0_2901:                             ;   in Loop: Header=BB0_2897 Depth=2
	s_or_b32 exec_lo, exec_lo, s15
	s_delay_alu instid0(SALU_CYCLE_1) | instskip(NEXT) | instid1(SALU_CYCLE_1)
	s_and_b32 s0, exec_lo, s1
	s_or_b32 s13, s0, s13
	s_delay_alu instid0(SALU_CYCLE_1)
	s_and_not1_b32 exec_lo, exec_lo, s13
	s_cbranch_execnz .LBB0_2897
; %bb.2902:                             ;   in Loop: Header=BB0_2897 Depth=2
	s_or_b32 exec_lo, exec_lo, s13
	s_wait_loadcnt 0x0
	v_dual_mov_b32 v5, v6 :: v_dual_mov_b32 v14, 0
	s_mov_b32 s13, 0
	s_delay_alu instid0(VALU_DEP_1) | instskip(SKIP_1) | instid1(SALU_CYCLE_1)
	v_cmp_eq_u64_e64 s0, s[6:7], v[4:5]
	s_or_b32 s12, s0, s12
	s_and_not1_b32 exec_lo, exec_lo, s12
	s_cbranch_execnz .LBB0_2897
; %bb.2903:                             ;   in Loop: Header=BB0_1755 Depth=1
	s_or_b32 exec_lo, exec_lo, s12
	s_add_co_i32 s6, s4, 0xa4
	s_mov_b32 s1, s5
	s_bfe_u32 s0, s6, 0x100003
	v_dual_mov_b32 v0, s6 :: v_dual_mov_b32 v1, s6
	s_mulk_i32 s0, 0x20c5
	v_dual_mov_b32 v3, s6 :: v_dual_mov_b32 v14, 0
	s_lshr_b32 s0, s0, 20
	s_mov_b32 s7, s5
	s_mulk_i32 s0, 0x3e8
	s_mov_b32 s12, 0
	s_sub_co_i32 s0, s6, s0
	s_delay_alu instid0(SALU_CYCLE_1) | instskip(NEXT) | instid1(SALU_CYCLE_1)
	s_and_b32 s0, s0, 0xffff
	s_lshl_b32 s0, s0, 12
	s_delay_alu instid0(SALU_CYCLE_1)
	v_add_nc_u64_e32 v[4:5], s[0:1], v[10:11]
	v_add_nc_u64_e32 v[8:9], s[0:1], v[12:13]
	global_store_b128 v[4:5], v[0:3], off th:TH_STORE_NT
.LBB0_2904:                             ;   Parent Loop BB0_1755 Depth=1
                                        ; =>  This Inner Loop Header: Depth=2
	s_wait_loadcnt 0x0
	global_load_b128 v[4:7], v[8:9], off th:TH_LOAD_NT
	v_add_nc_u32_e32 v14, 1, v14
	s_mov_b32 s1, -1
	s_mov_b32 s14, -1
	s_mov_b32 s15, exec_lo
	s_wait_xcnt 0x0
	v_cmpx_eq_u32_e32 0xf4240, v14
	s_cbranch_execz .LBB0_2906
; %bb.2905:                             ;   in Loop: Header=BB0_2904 Depth=2
	s_wait_loadcnt 0x0
	s_wait_storecnt 0x0
	global_load_b32 v0, v2, s[10:11] scope:SCOPE_SYS
	s_wait_loadcnt 0x0
	global_inv scope:SCOPE_SYS
	v_mov_b32_e32 v14, 0
	v_cmp_eq_u32_e64 s0, 0, v0
	s_or_not1_b32 s14, s0, exec_lo
.LBB0_2906:                             ;   in Loop: Header=BB0_2904 Depth=2
	s_wait_xcnt 0x0
	s_or_b32 exec_lo, exec_lo, s15
	s_and_saveexec_b32 s15, s14
	s_cbranch_execz .LBB0_2908
; %bb.2907:                             ;   in Loop: Header=BB0_2904 Depth=2
	s_wait_loadcnt 0x0
	v_cmp_eq_u32_e64 s0, s6, v5
	v_cmp_eq_u32_e64 s1, s6, v7
	s_and_b32 s0, s0, s1
	s_delay_alu instid0(SALU_CYCLE_1)
	s_or_not1_b32 s1, s0, exec_lo
.LBB0_2908:                             ;   in Loop: Header=BB0_2904 Depth=2
	s_or_b32 exec_lo, exec_lo, s15
	s_delay_alu instid0(SALU_CYCLE_1) | instskip(NEXT) | instid1(SALU_CYCLE_1)
	s_and_b32 s0, exec_lo, s1
	s_or_b32 s13, s0, s13
	s_delay_alu instid0(SALU_CYCLE_1)
	s_and_not1_b32 exec_lo, exec_lo, s13
	s_cbranch_execnz .LBB0_2904
; %bb.2909:                             ;   in Loop: Header=BB0_2904 Depth=2
	s_or_b32 exec_lo, exec_lo, s13
	s_wait_loadcnt 0x0
	v_dual_mov_b32 v5, v6 :: v_dual_mov_b32 v14, 0
	s_mov_b32 s13, 0
	s_delay_alu instid0(VALU_DEP_1) | instskip(SKIP_1) | instid1(SALU_CYCLE_1)
	v_cmp_eq_u64_e64 s0, s[6:7], v[4:5]
	s_or_b32 s12, s0, s12
	s_and_not1_b32 exec_lo, exec_lo, s12
	s_cbranch_execnz .LBB0_2904
; %bb.2910:                             ;   in Loop: Header=BB0_1755 Depth=1
	s_or_b32 exec_lo, exec_lo, s12
	s_add_co_i32 s6, s4, 0xa5
	s_mov_b32 s1, s5
	s_bfe_u32 s0, s6, 0x100003
	v_dual_mov_b32 v0, s6 :: v_dual_mov_b32 v1, s6
	s_mulk_i32 s0, 0x20c5
	v_dual_mov_b32 v3, s6 :: v_dual_mov_b32 v14, 0
	s_lshr_b32 s0, s0, 20
	s_mov_b32 s7, s5
	s_mulk_i32 s0, 0x3e8
	s_mov_b32 s12, 0
	s_sub_co_i32 s0, s6, s0
	s_delay_alu instid0(SALU_CYCLE_1) | instskip(NEXT) | instid1(SALU_CYCLE_1)
	s_and_b32 s0, s0, 0xffff
	s_lshl_b32 s0, s0, 12
	s_delay_alu instid0(SALU_CYCLE_1)
	v_add_nc_u64_e32 v[4:5], s[0:1], v[10:11]
	v_add_nc_u64_e32 v[8:9], s[0:1], v[12:13]
	global_store_b128 v[4:5], v[0:3], off th:TH_STORE_NT
.LBB0_2911:                             ;   Parent Loop BB0_1755 Depth=1
                                        ; =>  This Inner Loop Header: Depth=2
	s_wait_loadcnt 0x0
	global_load_b128 v[4:7], v[8:9], off th:TH_LOAD_NT
	v_add_nc_u32_e32 v14, 1, v14
	s_mov_b32 s1, -1
	s_mov_b32 s14, -1
	s_mov_b32 s15, exec_lo
	s_wait_xcnt 0x0
	v_cmpx_eq_u32_e32 0xf4240, v14
	s_cbranch_execz .LBB0_2913
; %bb.2912:                             ;   in Loop: Header=BB0_2911 Depth=2
	s_wait_loadcnt 0x0
	s_wait_storecnt 0x0
	global_load_b32 v0, v2, s[10:11] scope:SCOPE_SYS
	s_wait_loadcnt 0x0
	global_inv scope:SCOPE_SYS
	v_mov_b32_e32 v14, 0
	v_cmp_eq_u32_e64 s0, 0, v0
	s_or_not1_b32 s14, s0, exec_lo
.LBB0_2913:                             ;   in Loop: Header=BB0_2911 Depth=2
	s_wait_xcnt 0x0
	s_or_b32 exec_lo, exec_lo, s15
	s_and_saveexec_b32 s15, s14
	s_cbranch_execz .LBB0_2915
; %bb.2914:                             ;   in Loop: Header=BB0_2911 Depth=2
	s_wait_loadcnt 0x0
	v_cmp_eq_u32_e64 s0, s6, v5
	v_cmp_eq_u32_e64 s1, s6, v7
	s_and_b32 s0, s0, s1
	s_delay_alu instid0(SALU_CYCLE_1)
	s_or_not1_b32 s1, s0, exec_lo
.LBB0_2915:                             ;   in Loop: Header=BB0_2911 Depth=2
	s_or_b32 exec_lo, exec_lo, s15
	s_delay_alu instid0(SALU_CYCLE_1) | instskip(NEXT) | instid1(SALU_CYCLE_1)
	s_and_b32 s0, exec_lo, s1
	s_or_b32 s13, s0, s13
	s_delay_alu instid0(SALU_CYCLE_1)
	s_and_not1_b32 exec_lo, exec_lo, s13
	s_cbranch_execnz .LBB0_2911
; %bb.2916:                             ;   in Loop: Header=BB0_2911 Depth=2
	s_or_b32 exec_lo, exec_lo, s13
	s_wait_loadcnt 0x0
	v_dual_mov_b32 v5, v6 :: v_dual_mov_b32 v14, 0
	s_mov_b32 s13, 0
	s_delay_alu instid0(VALU_DEP_1) | instskip(SKIP_1) | instid1(SALU_CYCLE_1)
	v_cmp_eq_u64_e64 s0, s[6:7], v[4:5]
	s_or_b32 s12, s0, s12
	s_and_not1_b32 exec_lo, exec_lo, s12
	s_cbranch_execnz .LBB0_2911
; %bb.2917:                             ;   in Loop: Header=BB0_1755 Depth=1
	s_or_b32 exec_lo, exec_lo, s12
	s_add_co_i32 s6, s4, 0xa6
	s_mov_b32 s1, s5
	s_bfe_u32 s0, s6, 0x100003
	v_dual_mov_b32 v0, s6 :: v_dual_mov_b32 v1, s6
	s_mulk_i32 s0, 0x20c5
	v_dual_mov_b32 v3, s6 :: v_dual_mov_b32 v14, 0
	s_lshr_b32 s0, s0, 20
	s_mov_b32 s7, s5
	s_mulk_i32 s0, 0x3e8
	s_mov_b32 s12, 0
	s_sub_co_i32 s0, s6, s0
	s_delay_alu instid0(SALU_CYCLE_1) | instskip(NEXT) | instid1(SALU_CYCLE_1)
	s_and_b32 s0, s0, 0xffff
	s_lshl_b32 s0, s0, 12
	s_delay_alu instid0(SALU_CYCLE_1)
	v_add_nc_u64_e32 v[4:5], s[0:1], v[10:11]
	v_add_nc_u64_e32 v[8:9], s[0:1], v[12:13]
	global_store_b128 v[4:5], v[0:3], off th:TH_STORE_NT
.LBB0_2918:                             ;   Parent Loop BB0_1755 Depth=1
                                        ; =>  This Inner Loop Header: Depth=2
	s_wait_loadcnt 0x0
	global_load_b128 v[4:7], v[8:9], off th:TH_LOAD_NT
	v_add_nc_u32_e32 v14, 1, v14
	s_mov_b32 s1, -1
	s_mov_b32 s14, -1
	s_mov_b32 s15, exec_lo
	s_wait_xcnt 0x0
	v_cmpx_eq_u32_e32 0xf4240, v14
	s_cbranch_execz .LBB0_2920
; %bb.2919:                             ;   in Loop: Header=BB0_2918 Depth=2
	s_wait_loadcnt 0x0
	s_wait_storecnt 0x0
	global_load_b32 v0, v2, s[10:11] scope:SCOPE_SYS
	s_wait_loadcnt 0x0
	global_inv scope:SCOPE_SYS
	v_mov_b32_e32 v14, 0
	v_cmp_eq_u32_e64 s0, 0, v0
	s_or_not1_b32 s14, s0, exec_lo
.LBB0_2920:                             ;   in Loop: Header=BB0_2918 Depth=2
	s_wait_xcnt 0x0
	s_or_b32 exec_lo, exec_lo, s15
	s_and_saveexec_b32 s15, s14
	s_cbranch_execz .LBB0_2922
; %bb.2921:                             ;   in Loop: Header=BB0_2918 Depth=2
	s_wait_loadcnt 0x0
	v_cmp_eq_u32_e64 s0, s6, v5
	v_cmp_eq_u32_e64 s1, s6, v7
	s_and_b32 s0, s0, s1
	s_delay_alu instid0(SALU_CYCLE_1)
	s_or_not1_b32 s1, s0, exec_lo
.LBB0_2922:                             ;   in Loop: Header=BB0_2918 Depth=2
	s_or_b32 exec_lo, exec_lo, s15
	s_delay_alu instid0(SALU_CYCLE_1) | instskip(NEXT) | instid1(SALU_CYCLE_1)
	s_and_b32 s0, exec_lo, s1
	s_or_b32 s13, s0, s13
	s_delay_alu instid0(SALU_CYCLE_1)
	s_and_not1_b32 exec_lo, exec_lo, s13
	s_cbranch_execnz .LBB0_2918
; %bb.2923:                             ;   in Loop: Header=BB0_2918 Depth=2
	s_or_b32 exec_lo, exec_lo, s13
	s_wait_loadcnt 0x0
	v_dual_mov_b32 v5, v6 :: v_dual_mov_b32 v14, 0
	s_mov_b32 s13, 0
	s_delay_alu instid0(VALU_DEP_1) | instskip(SKIP_1) | instid1(SALU_CYCLE_1)
	v_cmp_eq_u64_e64 s0, s[6:7], v[4:5]
	s_or_b32 s12, s0, s12
	s_and_not1_b32 exec_lo, exec_lo, s12
	s_cbranch_execnz .LBB0_2918
; %bb.2924:                             ;   in Loop: Header=BB0_1755 Depth=1
	s_or_b32 exec_lo, exec_lo, s12
	s_add_co_i32 s6, s4, 0xa7
	s_mov_b32 s1, s5
	s_bfe_u32 s0, s6, 0x100003
	v_dual_mov_b32 v0, s6 :: v_dual_mov_b32 v1, s6
	s_mulk_i32 s0, 0x20c5
	v_dual_mov_b32 v3, s6 :: v_dual_mov_b32 v14, 0
	s_lshr_b32 s0, s0, 20
	s_mov_b32 s7, s5
	s_mulk_i32 s0, 0x3e8
	s_mov_b32 s12, 0
	s_sub_co_i32 s0, s6, s0
	s_delay_alu instid0(SALU_CYCLE_1) | instskip(NEXT) | instid1(SALU_CYCLE_1)
	s_and_b32 s0, s0, 0xffff
	s_lshl_b32 s0, s0, 12
	s_delay_alu instid0(SALU_CYCLE_1)
	v_add_nc_u64_e32 v[4:5], s[0:1], v[10:11]
	v_add_nc_u64_e32 v[8:9], s[0:1], v[12:13]
	global_store_b128 v[4:5], v[0:3], off th:TH_STORE_NT
.LBB0_2925:                             ;   Parent Loop BB0_1755 Depth=1
                                        ; =>  This Inner Loop Header: Depth=2
	s_wait_loadcnt 0x0
	global_load_b128 v[4:7], v[8:9], off th:TH_LOAD_NT
	v_add_nc_u32_e32 v14, 1, v14
	s_mov_b32 s1, -1
	s_mov_b32 s14, -1
	s_mov_b32 s15, exec_lo
	s_wait_xcnt 0x0
	v_cmpx_eq_u32_e32 0xf4240, v14
	s_cbranch_execz .LBB0_2927
; %bb.2926:                             ;   in Loop: Header=BB0_2925 Depth=2
	s_wait_loadcnt 0x0
	s_wait_storecnt 0x0
	global_load_b32 v0, v2, s[10:11] scope:SCOPE_SYS
	s_wait_loadcnt 0x0
	global_inv scope:SCOPE_SYS
	v_mov_b32_e32 v14, 0
	v_cmp_eq_u32_e64 s0, 0, v0
	s_or_not1_b32 s14, s0, exec_lo
.LBB0_2927:                             ;   in Loop: Header=BB0_2925 Depth=2
	s_wait_xcnt 0x0
	s_or_b32 exec_lo, exec_lo, s15
	s_and_saveexec_b32 s15, s14
	s_cbranch_execz .LBB0_2929
; %bb.2928:                             ;   in Loop: Header=BB0_2925 Depth=2
	s_wait_loadcnt 0x0
	v_cmp_eq_u32_e64 s0, s6, v5
	v_cmp_eq_u32_e64 s1, s6, v7
	s_and_b32 s0, s0, s1
	s_delay_alu instid0(SALU_CYCLE_1)
	s_or_not1_b32 s1, s0, exec_lo
.LBB0_2929:                             ;   in Loop: Header=BB0_2925 Depth=2
	s_or_b32 exec_lo, exec_lo, s15
	s_delay_alu instid0(SALU_CYCLE_1) | instskip(NEXT) | instid1(SALU_CYCLE_1)
	s_and_b32 s0, exec_lo, s1
	s_or_b32 s13, s0, s13
	s_delay_alu instid0(SALU_CYCLE_1)
	s_and_not1_b32 exec_lo, exec_lo, s13
	s_cbranch_execnz .LBB0_2925
; %bb.2930:                             ;   in Loop: Header=BB0_2925 Depth=2
	s_or_b32 exec_lo, exec_lo, s13
	s_wait_loadcnt 0x0
	v_dual_mov_b32 v5, v6 :: v_dual_mov_b32 v14, 0
	s_mov_b32 s13, 0
	s_delay_alu instid0(VALU_DEP_1) | instskip(SKIP_1) | instid1(SALU_CYCLE_1)
	v_cmp_eq_u64_e64 s0, s[6:7], v[4:5]
	s_or_b32 s12, s0, s12
	s_and_not1_b32 exec_lo, exec_lo, s12
	s_cbranch_execnz .LBB0_2925
; %bb.2931:                             ;   in Loop: Header=BB0_1755 Depth=1
	s_or_b32 exec_lo, exec_lo, s12
	s_add_co_i32 s6, s4, 0xa8
	s_mov_b32 s1, s5
	s_bfe_u32 s0, s6, 0x100003
	v_dual_mov_b32 v0, s6 :: v_dual_mov_b32 v1, s6
	s_mulk_i32 s0, 0x20c5
	v_dual_mov_b32 v3, s6 :: v_dual_mov_b32 v14, 0
	s_lshr_b32 s0, s0, 20
	s_mov_b32 s7, s5
	s_mulk_i32 s0, 0x3e8
	s_mov_b32 s12, 0
	s_sub_co_i32 s0, s6, s0
	s_delay_alu instid0(SALU_CYCLE_1) | instskip(NEXT) | instid1(SALU_CYCLE_1)
	s_and_b32 s0, s0, 0xffff
	s_lshl_b32 s0, s0, 12
	s_delay_alu instid0(SALU_CYCLE_1)
	v_add_nc_u64_e32 v[4:5], s[0:1], v[10:11]
	v_add_nc_u64_e32 v[8:9], s[0:1], v[12:13]
	global_store_b128 v[4:5], v[0:3], off th:TH_STORE_NT
.LBB0_2932:                             ;   Parent Loop BB0_1755 Depth=1
                                        ; =>  This Inner Loop Header: Depth=2
	s_wait_loadcnt 0x0
	global_load_b128 v[4:7], v[8:9], off th:TH_LOAD_NT
	v_add_nc_u32_e32 v14, 1, v14
	s_mov_b32 s1, -1
	s_mov_b32 s14, -1
	s_mov_b32 s15, exec_lo
	s_wait_xcnt 0x0
	v_cmpx_eq_u32_e32 0xf4240, v14
	s_cbranch_execz .LBB0_2934
; %bb.2933:                             ;   in Loop: Header=BB0_2932 Depth=2
	s_wait_loadcnt 0x0
	s_wait_storecnt 0x0
	global_load_b32 v0, v2, s[10:11] scope:SCOPE_SYS
	s_wait_loadcnt 0x0
	global_inv scope:SCOPE_SYS
	v_mov_b32_e32 v14, 0
	v_cmp_eq_u32_e64 s0, 0, v0
	s_or_not1_b32 s14, s0, exec_lo
.LBB0_2934:                             ;   in Loop: Header=BB0_2932 Depth=2
	s_wait_xcnt 0x0
	s_or_b32 exec_lo, exec_lo, s15
	s_and_saveexec_b32 s15, s14
	s_cbranch_execz .LBB0_2936
; %bb.2935:                             ;   in Loop: Header=BB0_2932 Depth=2
	s_wait_loadcnt 0x0
	v_cmp_eq_u32_e64 s0, s6, v5
	v_cmp_eq_u32_e64 s1, s6, v7
	s_and_b32 s0, s0, s1
	s_delay_alu instid0(SALU_CYCLE_1)
	s_or_not1_b32 s1, s0, exec_lo
.LBB0_2936:                             ;   in Loop: Header=BB0_2932 Depth=2
	s_or_b32 exec_lo, exec_lo, s15
	s_delay_alu instid0(SALU_CYCLE_1) | instskip(NEXT) | instid1(SALU_CYCLE_1)
	s_and_b32 s0, exec_lo, s1
	s_or_b32 s13, s0, s13
	s_delay_alu instid0(SALU_CYCLE_1)
	s_and_not1_b32 exec_lo, exec_lo, s13
	s_cbranch_execnz .LBB0_2932
; %bb.2937:                             ;   in Loop: Header=BB0_2932 Depth=2
	s_or_b32 exec_lo, exec_lo, s13
	s_wait_loadcnt 0x0
	v_dual_mov_b32 v5, v6 :: v_dual_mov_b32 v14, 0
	s_mov_b32 s13, 0
	s_delay_alu instid0(VALU_DEP_1) | instskip(SKIP_1) | instid1(SALU_CYCLE_1)
	v_cmp_eq_u64_e64 s0, s[6:7], v[4:5]
	s_or_b32 s12, s0, s12
	s_and_not1_b32 exec_lo, exec_lo, s12
	s_cbranch_execnz .LBB0_2932
; %bb.2938:                             ;   in Loop: Header=BB0_1755 Depth=1
	s_or_b32 exec_lo, exec_lo, s12
	s_add_co_i32 s6, s4, 0xa9
	s_mov_b32 s1, s5
	s_bfe_u32 s0, s6, 0x100003
	v_dual_mov_b32 v0, s6 :: v_dual_mov_b32 v1, s6
	s_mulk_i32 s0, 0x20c5
	v_dual_mov_b32 v3, s6 :: v_dual_mov_b32 v14, 0
	s_lshr_b32 s0, s0, 20
	s_mov_b32 s7, s5
	s_mulk_i32 s0, 0x3e8
	s_mov_b32 s12, 0
	s_sub_co_i32 s0, s6, s0
	s_delay_alu instid0(SALU_CYCLE_1) | instskip(NEXT) | instid1(SALU_CYCLE_1)
	s_and_b32 s0, s0, 0xffff
	s_lshl_b32 s0, s0, 12
	s_delay_alu instid0(SALU_CYCLE_1)
	v_add_nc_u64_e32 v[4:5], s[0:1], v[10:11]
	v_add_nc_u64_e32 v[8:9], s[0:1], v[12:13]
	global_store_b128 v[4:5], v[0:3], off th:TH_STORE_NT
.LBB0_2939:                             ;   Parent Loop BB0_1755 Depth=1
                                        ; =>  This Inner Loop Header: Depth=2
	s_wait_loadcnt 0x0
	global_load_b128 v[4:7], v[8:9], off th:TH_LOAD_NT
	v_add_nc_u32_e32 v14, 1, v14
	s_mov_b32 s1, -1
	s_mov_b32 s14, -1
	s_mov_b32 s15, exec_lo
	s_wait_xcnt 0x0
	v_cmpx_eq_u32_e32 0xf4240, v14
	s_cbranch_execz .LBB0_2941
; %bb.2940:                             ;   in Loop: Header=BB0_2939 Depth=2
	s_wait_loadcnt 0x0
	s_wait_storecnt 0x0
	global_load_b32 v0, v2, s[10:11] scope:SCOPE_SYS
	s_wait_loadcnt 0x0
	global_inv scope:SCOPE_SYS
	v_mov_b32_e32 v14, 0
	v_cmp_eq_u32_e64 s0, 0, v0
	s_or_not1_b32 s14, s0, exec_lo
.LBB0_2941:                             ;   in Loop: Header=BB0_2939 Depth=2
	s_wait_xcnt 0x0
	s_or_b32 exec_lo, exec_lo, s15
	s_and_saveexec_b32 s15, s14
	s_cbranch_execz .LBB0_2943
; %bb.2942:                             ;   in Loop: Header=BB0_2939 Depth=2
	s_wait_loadcnt 0x0
	v_cmp_eq_u32_e64 s0, s6, v5
	v_cmp_eq_u32_e64 s1, s6, v7
	s_and_b32 s0, s0, s1
	s_delay_alu instid0(SALU_CYCLE_1)
	s_or_not1_b32 s1, s0, exec_lo
.LBB0_2943:                             ;   in Loop: Header=BB0_2939 Depth=2
	s_or_b32 exec_lo, exec_lo, s15
	s_delay_alu instid0(SALU_CYCLE_1) | instskip(NEXT) | instid1(SALU_CYCLE_1)
	s_and_b32 s0, exec_lo, s1
	s_or_b32 s13, s0, s13
	s_delay_alu instid0(SALU_CYCLE_1)
	s_and_not1_b32 exec_lo, exec_lo, s13
	s_cbranch_execnz .LBB0_2939
; %bb.2944:                             ;   in Loop: Header=BB0_2939 Depth=2
	s_or_b32 exec_lo, exec_lo, s13
	s_wait_loadcnt 0x0
	v_dual_mov_b32 v5, v6 :: v_dual_mov_b32 v14, 0
	s_mov_b32 s13, 0
	s_delay_alu instid0(VALU_DEP_1) | instskip(SKIP_1) | instid1(SALU_CYCLE_1)
	v_cmp_eq_u64_e64 s0, s[6:7], v[4:5]
	s_or_b32 s12, s0, s12
	s_and_not1_b32 exec_lo, exec_lo, s12
	s_cbranch_execnz .LBB0_2939
; %bb.2945:                             ;   in Loop: Header=BB0_1755 Depth=1
	s_or_b32 exec_lo, exec_lo, s12
	s_add_co_i32 s6, s4, 0xaa
	s_mov_b32 s1, s5
	s_bfe_u32 s0, s6, 0x100003
	v_dual_mov_b32 v0, s6 :: v_dual_mov_b32 v1, s6
	s_mulk_i32 s0, 0x20c5
	v_dual_mov_b32 v3, s6 :: v_dual_mov_b32 v14, 0
	s_lshr_b32 s0, s0, 20
	s_mov_b32 s7, s5
	s_mulk_i32 s0, 0x3e8
	s_mov_b32 s12, 0
	s_sub_co_i32 s0, s6, s0
	s_delay_alu instid0(SALU_CYCLE_1) | instskip(NEXT) | instid1(SALU_CYCLE_1)
	s_and_b32 s0, s0, 0xffff
	s_lshl_b32 s0, s0, 12
	s_delay_alu instid0(SALU_CYCLE_1)
	v_add_nc_u64_e32 v[4:5], s[0:1], v[10:11]
	v_add_nc_u64_e32 v[8:9], s[0:1], v[12:13]
	global_store_b128 v[4:5], v[0:3], off th:TH_STORE_NT
.LBB0_2946:                             ;   Parent Loop BB0_1755 Depth=1
                                        ; =>  This Inner Loop Header: Depth=2
	s_wait_loadcnt 0x0
	global_load_b128 v[4:7], v[8:9], off th:TH_LOAD_NT
	v_add_nc_u32_e32 v14, 1, v14
	s_mov_b32 s1, -1
	s_mov_b32 s14, -1
	s_mov_b32 s15, exec_lo
	s_wait_xcnt 0x0
	v_cmpx_eq_u32_e32 0xf4240, v14
	s_cbranch_execz .LBB0_2948
; %bb.2947:                             ;   in Loop: Header=BB0_2946 Depth=2
	s_wait_loadcnt 0x0
	s_wait_storecnt 0x0
	global_load_b32 v0, v2, s[10:11] scope:SCOPE_SYS
	s_wait_loadcnt 0x0
	global_inv scope:SCOPE_SYS
	v_mov_b32_e32 v14, 0
	v_cmp_eq_u32_e64 s0, 0, v0
	s_or_not1_b32 s14, s0, exec_lo
.LBB0_2948:                             ;   in Loop: Header=BB0_2946 Depth=2
	s_wait_xcnt 0x0
	s_or_b32 exec_lo, exec_lo, s15
	s_and_saveexec_b32 s15, s14
	s_cbranch_execz .LBB0_2950
; %bb.2949:                             ;   in Loop: Header=BB0_2946 Depth=2
	s_wait_loadcnt 0x0
	v_cmp_eq_u32_e64 s0, s6, v5
	v_cmp_eq_u32_e64 s1, s6, v7
	s_and_b32 s0, s0, s1
	s_delay_alu instid0(SALU_CYCLE_1)
	s_or_not1_b32 s1, s0, exec_lo
.LBB0_2950:                             ;   in Loop: Header=BB0_2946 Depth=2
	s_or_b32 exec_lo, exec_lo, s15
	s_delay_alu instid0(SALU_CYCLE_1) | instskip(NEXT) | instid1(SALU_CYCLE_1)
	s_and_b32 s0, exec_lo, s1
	s_or_b32 s13, s0, s13
	s_delay_alu instid0(SALU_CYCLE_1)
	s_and_not1_b32 exec_lo, exec_lo, s13
	s_cbranch_execnz .LBB0_2946
; %bb.2951:                             ;   in Loop: Header=BB0_2946 Depth=2
	s_or_b32 exec_lo, exec_lo, s13
	s_wait_loadcnt 0x0
	v_dual_mov_b32 v5, v6 :: v_dual_mov_b32 v14, 0
	s_mov_b32 s13, 0
	s_delay_alu instid0(VALU_DEP_1) | instskip(SKIP_1) | instid1(SALU_CYCLE_1)
	v_cmp_eq_u64_e64 s0, s[6:7], v[4:5]
	s_or_b32 s12, s0, s12
	s_and_not1_b32 exec_lo, exec_lo, s12
	s_cbranch_execnz .LBB0_2946
; %bb.2952:                             ;   in Loop: Header=BB0_1755 Depth=1
	s_or_b32 exec_lo, exec_lo, s12
	s_add_co_i32 s6, s4, 0xab
	s_mov_b32 s1, s5
	s_bfe_u32 s0, s6, 0x100003
	v_dual_mov_b32 v0, s6 :: v_dual_mov_b32 v1, s6
	s_mulk_i32 s0, 0x20c5
	v_dual_mov_b32 v3, s6 :: v_dual_mov_b32 v14, 0
	s_lshr_b32 s0, s0, 20
	s_mov_b32 s7, s5
	s_mulk_i32 s0, 0x3e8
	s_mov_b32 s12, 0
	s_sub_co_i32 s0, s6, s0
	s_delay_alu instid0(SALU_CYCLE_1) | instskip(NEXT) | instid1(SALU_CYCLE_1)
	s_and_b32 s0, s0, 0xffff
	s_lshl_b32 s0, s0, 12
	s_delay_alu instid0(SALU_CYCLE_1)
	v_add_nc_u64_e32 v[4:5], s[0:1], v[10:11]
	v_add_nc_u64_e32 v[8:9], s[0:1], v[12:13]
	global_store_b128 v[4:5], v[0:3], off th:TH_STORE_NT
.LBB0_2953:                             ;   Parent Loop BB0_1755 Depth=1
                                        ; =>  This Inner Loop Header: Depth=2
	s_wait_loadcnt 0x0
	global_load_b128 v[4:7], v[8:9], off th:TH_LOAD_NT
	v_add_nc_u32_e32 v14, 1, v14
	s_mov_b32 s1, -1
	s_mov_b32 s14, -1
	s_mov_b32 s15, exec_lo
	s_wait_xcnt 0x0
	v_cmpx_eq_u32_e32 0xf4240, v14
	s_cbranch_execz .LBB0_2955
; %bb.2954:                             ;   in Loop: Header=BB0_2953 Depth=2
	s_wait_loadcnt 0x0
	s_wait_storecnt 0x0
	global_load_b32 v0, v2, s[10:11] scope:SCOPE_SYS
	s_wait_loadcnt 0x0
	global_inv scope:SCOPE_SYS
	v_mov_b32_e32 v14, 0
	v_cmp_eq_u32_e64 s0, 0, v0
	s_or_not1_b32 s14, s0, exec_lo
.LBB0_2955:                             ;   in Loop: Header=BB0_2953 Depth=2
	s_wait_xcnt 0x0
	s_or_b32 exec_lo, exec_lo, s15
	s_and_saveexec_b32 s15, s14
	s_cbranch_execz .LBB0_2957
; %bb.2956:                             ;   in Loop: Header=BB0_2953 Depth=2
	s_wait_loadcnt 0x0
	v_cmp_eq_u32_e64 s0, s6, v5
	v_cmp_eq_u32_e64 s1, s6, v7
	s_and_b32 s0, s0, s1
	s_delay_alu instid0(SALU_CYCLE_1)
	s_or_not1_b32 s1, s0, exec_lo
.LBB0_2957:                             ;   in Loop: Header=BB0_2953 Depth=2
	s_or_b32 exec_lo, exec_lo, s15
	s_delay_alu instid0(SALU_CYCLE_1) | instskip(NEXT) | instid1(SALU_CYCLE_1)
	s_and_b32 s0, exec_lo, s1
	s_or_b32 s13, s0, s13
	s_delay_alu instid0(SALU_CYCLE_1)
	s_and_not1_b32 exec_lo, exec_lo, s13
	s_cbranch_execnz .LBB0_2953
; %bb.2958:                             ;   in Loop: Header=BB0_2953 Depth=2
	s_or_b32 exec_lo, exec_lo, s13
	s_wait_loadcnt 0x0
	v_dual_mov_b32 v5, v6 :: v_dual_mov_b32 v14, 0
	s_mov_b32 s13, 0
	s_delay_alu instid0(VALU_DEP_1) | instskip(SKIP_1) | instid1(SALU_CYCLE_1)
	v_cmp_eq_u64_e64 s0, s[6:7], v[4:5]
	s_or_b32 s12, s0, s12
	s_and_not1_b32 exec_lo, exec_lo, s12
	s_cbranch_execnz .LBB0_2953
; %bb.2959:                             ;   in Loop: Header=BB0_1755 Depth=1
	s_or_b32 exec_lo, exec_lo, s12
	s_add_co_i32 s6, s4, 0xac
	s_mov_b32 s1, s5
	s_bfe_u32 s0, s6, 0x100003
	v_dual_mov_b32 v0, s6 :: v_dual_mov_b32 v1, s6
	s_mulk_i32 s0, 0x20c5
	v_dual_mov_b32 v3, s6 :: v_dual_mov_b32 v14, 0
	s_lshr_b32 s0, s0, 20
	s_mov_b32 s7, s5
	s_mulk_i32 s0, 0x3e8
	s_mov_b32 s12, 0
	s_sub_co_i32 s0, s6, s0
	s_delay_alu instid0(SALU_CYCLE_1) | instskip(NEXT) | instid1(SALU_CYCLE_1)
	s_and_b32 s0, s0, 0xffff
	s_lshl_b32 s0, s0, 12
	s_delay_alu instid0(SALU_CYCLE_1)
	v_add_nc_u64_e32 v[4:5], s[0:1], v[10:11]
	v_add_nc_u64_e32 v[8:9], s[0:1], v[12:13]
	global_store_b128 v[4:5], v[0:3], off th:TH_STORE_NT
.LBB0_2960:                             ;   Parent Loop BB0_1755 Depth=1
                                        ; =>  This Inner Loop Header: Depth=2
	s_wait_loadcnt 0x0
	global_load_b128 v[4:7], v[8:9], off th:TH_LOAD_NT
	v_add_nc_u32_e32 v14, 1, v14
	s_mov_b32 s1, -1
	s_mov_b32 s14, -1
	s_mov_b32 s15, exec_lo
	s_wait_xcnt 0x0
	v_cmpx_eq_u32_e32 0xf4240, v14
	s_cbranch_execz .LBB0_2962
; %bb.2961:                             ;   in Loop: Header=BB0_2960 Depth=2
	s_wait_loadcnt 0x0
	s_wait_storecnt 0x0
	global_load_b32 v0, v2, s[10:11] scope:SCOPE_SYS
	s_wait_loadcnt 0x0
	global_inv scope:SCOPE_SYS
	v_mov_b32_e32 v14, 0
	v_cmp_eq_u32_e64 s0, 0, v0
	s_or_not1_b32 s14, s0, exec_lo
.LBB0_2962:                             ;   in Loop: Header=BB0_2960 Depth=2
	s_wait_xcnt 0x0
	s_or_b32 exec_lo, exec_lo, s15
	s_and_saveexec_b32 s15, s14
	s_cbranch_execz .LBB0_2964
; %bb.2963:                             ;   in Loop: Header=BB0_2960 Depth=2
	s_wait_loadcnt 0x0
	v_cmp_eq_u32_e64 s0, s6, v5
	v_cmp_eq_u32_e64 s1, s6, v7
	s_and_b32 s0, s0, s1
	s_delay_alu instid0(SALU_CYCLE_1)
	s_or_not1_b32 s1, s0, exec_lo
.LBB0_2964:                             ;   in Loop: Header=BB0_2960 Depth=2
	s_or_b32 exec_lo, exec_lo, s15
	s_delay_alu instid0(SALU_CYCLE_1) | instskip(NEXT) | instid1(SALU_CYCLE_1)
	s_and_b32 s0, exec_lo, s1
	s_or_b32 s13, s0, s13
	s_delay_alu instid0(SALU_CYCLE_1)
	s_and_not1_b32 exec_lo, exec_lo, s13
	s_cbranch_execnz .LBB0_2960
; %bb.2965:                             ;   in Loop: Header=BB0_2960 Depth=2
	s_or_b32 exec_lo, exec_lo, s13
	s_wait_loadcnt 0x0
	v_dual_mov_b32 v5, v6 :: v_dual_mov_b32 v14, 0
	s_mov_b32 s13, 0
	s_delay_alu instid0(VALU_DEP_1) | instskip(SKIP_1) | instid1(SALU_CYCLE_1)
	v_cmp_eq_u64_e64 s0, s[6:7], v[4:5]
	s_or_b32 s12, s0, s12
	s_and_not1_b32 exec_lo, exec_lo, s12
	s_cbranch_execnz .LBB0_2960
; %bb.2966:                             ;   in Loop: Header=BB0_1755 Depth=1
	s_or_b32 exec_lo, exec_lo, s12
	s_add_co_i32 s6, s4, 0xad
	s_mov_b32 s1, s5
	s_bfe_u32 s0, s6, 0x100003
	v_dual_mov_b32 v0, s6 :: v_dual_mov_b32 v1, s6
	s_mulk_i32 s0, 0x20c5
	v_dual_mov_b32 v3, s6 :: v_dual_mov_b32 v14, 0
	s_lshr_b32 s0, s0, 20
	s_mov_b32 s7, s5
	s_mulk_i32 s0, 0x3e8
	s_mov_b32 s12, 0
	s_sub_co_i32 s0, s6, s0
	s_delay_alu instid0(SALU_CYCLE_1) | instskip(NEXT) | instid1(SALU_CYCLE_1)
	s_and_b32 s0, s0, 0xffff
	s_lshl_b32 s0, s0, 12
	s_delay_alu instid0(SALU_CYCLE_1)
	v_add_nc_u64_e32 v[4:5], s[0:1], v[10:11]
	v_add_nc_u64_e32 v[8:9], s[0:1], v[12:13]
	global_store_b128 v[4:5], v[0:3], off th:TH_STORE_NT
.LBB0_2967:                             ;   Parent Loop BB0_1755 Depth=1
                                        ; =>  This Inner Loop Header: Depth=2
	s_wait_loadcnt 0x0
	global_load_b128 v[4:7], v[8:9], off th:TH_LOAD_NT
	v_add_nc_u32_e32 v14, 1, v14
	s_mov_b32 s1, -1
	s_mov_b32 s14, -1
	s_mov_b32 s15, exec_lo
	s_wait_xcnt 0x0
	v_cmpx_eq_u32_e32 0xf4240, v14
	s_cbranch_execz .LBB0_2969
; %bb.2968:                             ;   in Loop: Header=BB0_2967 Depth=2
	s_wait_loadcnt 0x0
	s_wait_storecnt 0x0
	global_load_b32 v0, v2, s[10:11] scope:SCOPE_SYS
	s_wait_loadcnt 0x0
	global_inv scope:SCOPE_SYS
	v_mov_b32_e32 v14, 0
	v_cmp_eq_u32_e64 s0, 0, v0
	s_or_not1_b32 s14, s0, exec_lo
.LBB0_2969:                             ;   in Loop: Header=BB0_2967 Depth=2
	s_wait_xcnt 0x0
	s_or_b32 exec_lo, exec_lo, s15
	s_and_saveexec_b32 s15, s14
	s_cbranch_execz .LBB0_2971
; %bb.2970:                             ;   in Loop: Header=BB0_2967 Depth=2
	s_wait_loadcnt 0x0
	v_cmp_eq_u32_e64 s0, s6, v5
	v_cmp_eq_u32_e64 s1, s6, v7
	s_and_b32 s0, s0, s1
	s_delay_alu instid0(SALU_CYCLE_1)
	s_or_not1_b32 s1, s0, exec_lo
.LBB0_2971:                             ;   in Loop: Header=BB0_2967 Depth=2
	s_or_b32 exec_lo, exec_lo, s15
	s_delay_alu instid0(SALU_CYCLE_1) | instskip(NEXT) | instid1(SALU_CYCLE_1)
	s_and_b32 s0, exec_lo, s1
	s_or_b32 s13, s0, s13
	s_delay_alu instid0(SALU_CYCLE_1)
	s_and_not1_b32 exec_lo, exec_lo, s13
	s_cbranch_execnz .LBB0_2967
; %bb.2972:                             ;   in Loop: Header=BB0_2967 Depth=2
	s_or_b32 exec_lo, exec_lo, s13
	s_wait_loadcnt 0x0
	v_dual_mov_b32 v5, v6 :: v_dual_mov_b32 v14, 0
	s_mov_b32 s13, 0
	s_delay_alu instid0(VALU_DEP_1) | instskip(SKIP_1) | instid1(SALU_CYCLE_1)
	v_cmp_eq_u64_e64 s0, s[6:7], v[4:5]
	s_or_b32 s12, s0, s12
	s_and_not1_b32 exec_lo, exec_lo, s12
	s_cbranch_execnz .LBB0_2967
; %bb.2973:                             ;   in Loop: Header=BB0_1755 Depth=1
	s_or_b32 exec_lo, exec_lo, s12
	s_add_co_i32 s6, s4, 0xae
	s_mov_b32 s1, s5
	s_bfe_u32 s0, s6, 0x100003
	v_dual_mov_b32 v0, s6 :: v_dual_mov_b32 v1, s6
	s_mulk_i32 s0, 0x20c5
	v_dual_mov_b32 v3, s6 :: v_dual_mov_b32 v14, 0
	s_lshr_b32 s0, s0, 20
	s_mov_b32 s7, s5
	s_mulk_i32 s0, 0x3e8
	s_mov_b32 s12, 0
	s_sub_co_i32 s0, s6, s0
	s_delay_alu instid0(SALU_CYCLE_1) | instskip(NEXT) | instid1(SALU_CYCLE_1)
	s_and_b32 s0, s0, 0xffff
	s_lshl_b32 s0, s0, 12
	s_delay_alu instid0(SALU_CYCLE_1)
	v_add_nc_u64_e32 v[4:5], s[0:1], v[10:11]
	v_add_nc_u64_e32 v[8:9], s[0:1], v[12:13]
	global_store_b128 v[4:5], v[0:3], off th:TH_STORE_NT
.LBB0_2974:                             ;   Parent Loop BB0_1755 Depth=1
                                        ; =>  This Inner Loop Header: Depth=2
	s_wait_loadcnt 0x0
	global_load_b128 v[4:7], v[8:9], off th:TH_LOAD_NT
	v_add_nc_u32_e32 v14, 1, v14
	s_mov_b32 s1, -1
	s_mov_b32 s14, -1
	s_mov_b32 s15, exec_lo
	s_wait_xcnt 0x0
	v_cmpx_eq_u32_e32 0xf4240, v14
	s_cbranch_execz .LBB0_2976
; %bb.2975:                             ;   in Loop: Header=BB0_2974 Depth=2
	s_wait_loadcnt 0x0
	s_wait_storecnt 0x0
	global_load_b32 v0, v2, s[10:11] scope:SCOPE_SYS
	s_wait_loadcnt 0x0
	global_inv scope:SCOPE_SYS
	v_mov_b32_e32 v14, 0
	v_cmp_eq_u32_e64 s0, 0, v0
	s_or_not1_b32 s14, s0, exec_lo
.LBB0_2976:                             ;   in Loop: Header=BB0_2974 Depth=2
	s_wait_xcnt 0x0
	s_or_b32 exec_lo, exec_lo, s15
	s_and_saveexec_b32 s15, s14
	s_cbranch_execz .LBB0_2978
; %bb.2977:                             ;   in Loop: Header=BB0_2974 Depth=2
	s_wait_loadcnt 0x0
	v_cmp_eq_u32_e64 s0, s6, v5
	v_cmp_eq_u32_e64 s1, s6, v7
	s_and_b32 s0, s0, s1
	s_delay_alu instid0(SALU_CYCLE_1)
	s_or_not1_b32 s1, s0, exec_lo
.LBB0_2978:                             ;   in Loop: Header=BB0_2974 Depth=2
	s_or_b32 exec_lo, exec_lo, s15
	s_delay_alu instid0(SALU_CYCLE_1) | instskip(NEXT) | instid1(SALU_CYCLE_1)
	s_and_b32 s0, exec_lo, s1
	s_or_b32 s13, s0, s13
	s_delay_alu instid0(SALU_CYCLE_1)
	s_and_not1_b32 exec_lo, exec_lo, s13
	s_cbranch_execnz .LBB0_2974
; %bb.2979:                             ;   in Loop: Header=BB0_2974 Depth=2
	s_or_b32 exec_lo, exec_lo, s13
	s_wait_loadcnt 0x0
	v_dual_mov_b32 v5, v6 :: v_dual_mov_b32 v14, 0
	s_mov_b32 s13, 0
	s_delay_alu instid0(VALU_DEP_1) | instskip(SKIP_1) | instid1(SALU_CYCLE_1)
	v_cmp_eq_u64_e64 s0, s[6:7], v[4:5]
	s_or_b32 s12, s0, s12
	s_and_not1_b32 exec_lo, exec_lo, s12
	s_cbranch_execnz .LBB0_2974
; %bb.2980:                             ;   in Loop: Header=BB0_1755 Depth=1
	s_or_b32 exec_lo, exec_lo, s12
	s_add_co_i32 s6, s4, 0xaf
	s_mov_b32 s1, s5
	s_bfe_u32 s0, s6, 0x100003
	v_dual_mov_b32 v0, s6 :: v_dual_mov_b32 v1, s6
	s_mulk_i32 s0, 0x20c5
	v_dual_mov_b32 v3, s6 :: v_dual_mov_b32 v14, 0
	s_lshr_b32 s0, s0, 20
	s_mov_b32 s7, s5
	s_mulk_i32 s0, 0x3e8
	s_mov_b32 s12, 0
	s_sub_co_i32 s0, s6, s0
	s_delay_alu instid0(SALU_CYCLE_1) | instskip(NEXT) | instid1(SALU_CYCLE_1)
	s_and_b32 s0, s0, 0xffff
	s_lshl_b32 s0, s0, 12
	s_delay_alu instid0(SALU_CYCLE_1)
	v_add_nc_u64_e32 v[4:5], s[0:1], v[10:11]
	v_add_nc_u64_e32 v[8:9], s[0:1], v[12:13]
	global_store_b128 v[4:5], v[0:3], off th:TH_STORE_NT
.LBB0_2981:                             ;   Parent Loop BB0_1755 Depth=1
                                        ; =>  This Inner Loop Header: Depth=2
	s_wait_loadcnt 0x0
	global_load_b128 v[4:7], v[8:9], off th:TH_LOAD_NT
	v_add_nc_u32_e32 v14, 1, v14
	s_mov_b32 s1, -1
	s_mov_b32 s14, -1
	s_mov_b32 s15, exec_lo
	s_wait_xcnt 0x0
	v_cmpx_eq_u32_e32 0xf4240, v14
	s_cbranch_execz .LBB0_2983
; %bb.2982:                             ;   in Loop: Header=BB0_2981 Depth=2
	s_wait_loadcnt 0x0
	s_wait_storecnt 0x0
	global_load_b32 v0, v2, s[10:11] scope:SCOPE_SYS
	s_wait_loadcnt 0x0
	global_inv scope:SCOPE_SYS
	v_mov_b32_e32 v14, 0
	v_cmp_eq_u32_e64 s0, 0, v0
	s_or_not1_b32 s14, s0, exec_lo
.LBB0_2983:                             ;   in Loop: Header=BB0_2981 Depth=2
	s_wait_xcnt 0x0
	s_or_b32 exec_lo, exec_lo, s15
	s_and_saveexec_b32 s15, s14
	s_cbranch_execz .LBB0_2985
; %bb.2984:                             ;   in Loop: Header=BB0_2981 Depth=2
	s_wait_loadcnt 0x0
	v_cmp_eq_u32_e64 s0, s6, v5
	v_cmp_eq_u32_e64 s1, s6, v7
	s_and_b32 s0, s0, s1
	s_delay_alu instid0(SALU_CYCLE_1)
	s_or_not1_b32 s1, s0, exec_lo
.LBB0_2985:                             ;   in Loop: Header=BB0_2981 Depth=2
	s_or_b32 exec_lo, exec_lo, s15
	s_delay_alu instid0(SALU_CYCLE_1) | instskip(NEXT) | instid1(SALU_CYCLE_1)
	s_and_b32 s0, exec_lo, s1
	s_or_b32 s13, s0, s13
	s_delay_alu instid0(SALU_CYCLE_1)
	s_and_not1_b32 exec_lo, exec_lo, s13
	s_cbranch_execnz .LBB0_2981
; %bb.2986:                             ;   in Loop: Header=BB0_2981 Depth=2
	s_or_b32 exec_lo, exec_lo, s13
	s_wait_loadcnt 0x0
	v_dual_mov_b32 v5, v6 :: v_dual_mov_b32 v14, 0
	s_mov_b32 s13, 0
	s_delay_alu instid0(VALU_DEP_1) | instskip(SKIP_1) | instid1(SALU_CYCLE_1)
	v_cmp_eq_u64_e64 s0, s[6:7], v[4:5]
	s_or_b32 s12, s0, s12
	s_and_not1_b32 exec_lo, exec_lo, s12
	s_cbranch_execnz .LBB0_2981
; %bb.2987:                             ;   in Loop: Header=BB0_1755 Depth=1
	s_or_b32 exec_lo, exec_lo, s12
	s_add_co_i32 s6, s4, 0xb0
	s_mov_b32 s1, s5
	s_bfe_u32 s0, s6, 0x100003
	v_dual_mov_b32 v0, s6 :: v_dual_mov_b32 v1, s6
	s_mulk_i32 s0, 0x20c5
	v_dual_mov_b32 v3, s6 :: v_dual_mov_b32 v14, 0
	s_lshr_b32 s0, s0, 20
	s_mov_b32 s7, s5
	s_mulk_i32 s0, 0x3e8
	s_mov_b32 s12, 0
	s_sub_co_i32 s0, s6, s0
	s_delay_alu instid0(SALU_CYCLE_1) | instskip(NEXT) | instid1(SALU_CYCLE_1)
	s_and_b32 s0, s0, 0xffff
	s_lshl_b32 s0, s0, 12
	s_delay_alu instid0(SALU_CYCLE_1)
	v_add_nc_u64_e32 v[4:5], s[0:1], v[10:11]
	v_add_nc_u64_e32 v[8:9], s[0:1], v[12:13]
	global_store_b128 v[4:5], v[0:3], off th:TH_STORE_NT
.LBB0_2988:                             ;   Parent Loop BB0_1755 Depth=1
                                        ; =>  This Inner Loop Header: Depth=2
	s_wait_loadcnt 0x0
	global_load_b128 v[4:7], v[8:9], off th:TH_LOAD_NT
	v_add_nc_u32_e32 v14, 1, v14
	s_mov_b32 s1, -1
	s_mov_b32 s14, -1
	s_mov_b32 s15, exec_lo
	s_wait_xcnt 0x0
	v_cmpx_eq_u32_e32 0xf4240, v14
	s_cbranch_execz .LBB0_2990
; %bb.2989:                             ;   in Loop: Header=BB0_2988 Depth=2
	s_wait_loadcnt 0x0
	s_wait_storecnt 0x0
	global_load_b32 v0, v2, s[10:11] scope:SCOPE_SYS
	s_wait_loadcnt 0x0
	global_inv scope:SCOPE_SYS
	v_mov_b32_e32 v14, 0
	v_cmp_eq_u32_e64 s0, 0, v0
	s_or_not1_b32 s14, s0, exec_lo
.LBB0_2990:                             ;   in Loop: Header=BB0_2988 Depth=2
	s_wait_xcnt 0x0
	s_or_b32 exec_lo, exec_lo, s15
	s_and_saveexec_b32 s15, s14
	s_cbranch_execz .LBB0_2992
; %bb.2991:                             ;   in Loop: Header=BB0_2988 Depth=2
	s_wait_loadcnt 0x0
	v_cmp_eq_u32_e64 s0, s6, v5
	v_cmp_eq_u32_e64 s1, s6, v7
	s_and_b32 s0, s0, s1
	s_delay_alu instid0(SALU_CYCLE_1)
	s_or_not1_b32 s1, s0, exec_lo
.LBB0_2992:                             ;   in Loop: Header=BB0_2988 Depth=2
	s_or_b32 exec_lo, exec_lo, s15
	s_delay_alu instid0(SALU_CYCLE_1) | instskip(NEXT) | instid1(SALU_CYCLE_1)
	s_and_b32 s0, exec_lo, s1
	s_or_b32 s13, s0, s13
	s_delay_alu instid0(SALU_CYCLE_1)
	s_and_not1_b32 exec_lo, exec_lo, s13
	s_cbranch_execnz .LBB0_2988
; %bb.2993:                             ;   in Loop: Header=BB0_2988 Depth=2
	s_or_b32 exec_lo, exec_lo, s13
	s_wait_loadcnt 0x0
	v_dual_mov_b32 v5, v6 :: v_dual_mov_b32 v14, 0
	s_mov_b32 s13, 0
	s_delay_alu instid0(VALU_DEP_1) | instskip(SKIP_1) | instid1(SALU_CYCLE_1)
	v_cmp_eq_u64_e64 s0, s[6:7], v[4:5]
	s_or_b32 s12, s0, s12
	s_and_not1_b32 exec_lo, exec_lo, s12
	s_cbranch_execnz .LBB0_2988
; %bb.2994:                             ;   in Loop: Header=BB0_1755 Depth=1
	s_or_b32 exec_lo, exec_lo, s12
	s_add_co_i32 s6, s4, 0xb1
	s_mov_b32 s1, s5
	s_bfe_u32 s0, s6, 0x100003
	v_dual_mov_b32 v0, s6 :: v_dual_mov_b32 v1, s6
	s_mulk_i32 s0, 0x20c5
	v_dual_mov_b32 v3, s6 :: v_dual_mov_b32 v14, 0
	s_lshr_b32 s0, s0, 20
	s_mov_b32 s7, s5
	s_mulk_i32 s0, 0x3e8
	s_mov_b32 s12, 0
	s_sub_co_i32 s0, s6, s0
	s_delay_alu instid0(SALU_CYCLE_1) | instskip(NEXT) | instid1(SALU_CYCLE_1)
	s_and_b32 s0, s0, 0xffff
	s_lshl_b32 s0, s0, 12
	s_delay_alu instid0(SALU_CYCLE_1)
	v_add_nc_u64_e32 v[4:5], s[0:1], v[10:11]
	v_add_nc_u64_e32 v[8:9], s[0:1], v[12:13]
	global_store_b128 v[4:5], v[0:3], off th:TH_STORE_NT
.LBB0_2995:                             ;   Parent Loop BB0_1755 Depth=1
                                        ; =>  This Inner Loop Header: Depth=2
	s_wait_loadcnt 0x0
	global_load_b128 v[4:7], v[8:9], off th:TH_LOAD_NT
	v_add_nc_u32_e32 v14, 1, v14
	s_mov_b32 s1, -1
	s_mov_b32 s14, -1
	s_mov_b32 s15, exec_lo
	s_wait_xcnt 0x0
	v_cmpx_eq_u32_e32 0xf4240, v14
	s_cbranch_execz .LBB0_2997
; %bb.2996:                             ;   in Loop: Header=BB0_2995 Depth=2
	s_wait_loadcnt 0x0
	s_wait_storecnt 0x0
	global_load_b32 v0, v2, s[10:11] scope:SCOPE_SYS
	s_wait_loadcnt 0x0
	global_inv scope:SCOPE_SYS
	v_mov_b32_e32 v14, 0
	v_cmp_eq_u32_e64 s0, 0, v0
	s_or_not1_b32 s14, s0, exec_lo
.LBB0_2997:                             ;   in Loop: Header=BB0_2995 Depth=2
	s_wait_xcnt 0x0
	s_or_b32 exec_lo, exec_lo, s15
	s_and_saveexec_b32 s15, s14
	s_cbranch_execz .LBB0_2999
; %bb.2998:                             ;   in Loop: Header=BB0_2995 Depth=2
	s_wait_loadcnt 0x0
	v_cmp_eq_u32_e64 s0, s6, v5
	v_cmp_eq_u32_e64 s1, s6, v7
	s_and_b32 s0, s0, s1
	s_delay_alu instid0(SALU_CYCLE_1)
	s_or_not1_b32 s1, s0, exec_lo
.LBB0_2999:                             ;   in Loop: Header=BB0_2995 Depth=2
	s_or_b32 exec_lo, exec_lo, s15
	s_delay_alu instid0(SALU_CYCLE_1) | instskip(NEXT) | instid1(SALU_CYCLE_1)
	s_and_b32 s0, exec_lo, s1
	s_or_b32 s13, s0, s13
	s_delay_alu instid0(SALU_CYCLE_1)
	s_and_not1_b32 exec_lo, exec_lo, s13
	s_cbranch_execnz .LBB0_2995
; %bb.3000:                             ;   in Loop: Header=BB0_2995 Depth=2
	s_or_b32 exec_lo, exec_lo, s13
	s_wait_loadcnt 0x0
	v_dual_mov_b32 v5, v6 :: v_dual_mov_b32 v14, 0
	s_mov_b32 s13, 0
	s_delay_alu instid0(VALU_DEP_1) | instskip(SKIP_1) | instid1(SALU_CYCLE_1)
	v_cmp_eq_u64_e64 s0, s[6:7], v[4:5]
	s_or_b32 s12, s0, s12
	s_and_not1_b32 exec_lo, exec_lo, s12
	s_cbranch_execnz .LBB0_2995
; %bb.3001:                             ;   in Loop: Header=BB0_1755 Depth=1
	s_or_b32 exec_lo, exec_lo, s12
	s_add_co_i32 s6, s4, 0xb2
	s_mov_b32 s1, s5
	s_bfe_u32 s0, s6, 0x100003
	v_dual_mov_b32 v0, s6 :: v_dual_mov_b32 v1, s6
	s_mulk_i32 s0, 0x20c5
	v_dual_mov_b32 v3, s6 :: v_dual_mov_b32 v14, 0
	s_lshr_b32 s0, s0, 20
	s_mov_b32 s7, s5
	s_mulk_i32 s0, 0x3e8
	s_mov_b32 s12, 0
	s_sub_co_i32 s0, s6, s0
	s_delay_alu instid0(SALU_CYCLE_1) | instskip(NEXT) | instid1(SALU_CYCLE_1)
	s_and_b32 s0, s0, 0xffff
	s_lshl_b32 s0, s0, 12
	s_delay_alu instid0(SALU_CYCLE_1)
	v_add_nc_u64_e32 v[4:5], s[0:1], v[10:11]
	v_add_nc_u64_e32 v[8:9], s[0:1], v[12:13]
	global_store_b128 v[4:5], v[0:3], off th:TH_STORE_NT
.LBB0_3002:                             ;   Parent Loop BB0_1755 Depth=1
                                        ; =>  This Inner Loop Header: Depth=2
	s_wait_loadcnt 0x0
	global_load_b128 v[4:7], v[8:9], off th:TH_LOAD_NT
	v_add_nc_u32_e32 v14, 1, v14
	s_mov_b32 s1, -1
	s_mov_b32 s14, -1
	s_mov_b32 s15, exec_lo
	s_wait_xcnt 0x0
	v_cmpx_eq_u32_e32 0xf4240, v14
	s_cbranch_execz .LBB0_3004
; %bb.3003:                             ;   in Loop: Header=BB0_3002 Depth=2
	s_wait_loadcnt 0x0
	s_wait_storecnt 0x0
	global_load_b32 v0, v2, s[10:11] scope:SCOPE_SYS
	s_wait_loadcnt 0x0
	global_inv scope:SCOPE_SYS
	v_mov_b32_e32 v14, 0
	v_cmp_eq_u32_e64 s0, 0, v0
	s_or_not1_b32 s14, s0, exec_lo
.LBB0_3004:                             ;   in Loop: Header=BB0_3002 Depth=2
	s_wait_xcnt 0x0
	s_or_b32 exec_lo, exec_lo, s15
	s_and_saveexec_b32 s15, s14
	s_cbranch_execz .LBB0_3006
; %bb.3005:                             ;   in Loop: Header=BB0_3002 Depth=2
	s_wait_loadcnt 0x0
	v_cmp_eq_u32_e64 s0, s6, v5
	v_cmp_eq_u32_e64 s1, s6, v7
	s_and_b32 s0, s0, s1
	s_delay_alu instid0(SALU_CYCLE_1)
	s_or_not1_b32 s1, s0, exec_lo
.LBB0_3006:                             ;   in Loop: Header=BB0_3002 Depth=2
	s_or_b32 exec_lo, exec_lo, s15
	s_delay_alu instid0(SALU_CYCLE_1) | instskip(NEXT) | instid1(SALU_CYCLE_1)
	s_and_b32 s0, exec_lo, s1
	s_or_b32 s13, s0, s13
	s_delay_alu instid0(SALU_CYCLE_1)
	s_and_not1_b32 exec_lo, exec_lo, s13
	s_cbranch_execnz .LBB0_3002
; %bb.3007:                             ;   in Loop: Header=BB0_3002 Depth=2
	s_or_b32 exec_lo, exec_lo, s13
	s_wait_loadcnt 0x0
	v_dual_mov_b32 v5, v6 :: v_dual_mov_b32 v14, 0
	s_mov_b32 s13, 0
	s_delay_alu instid0(VALU_DEP_1) | instskip(SKIP_1) | instid1(SALU_CYCLE_1)
	v_cmp_eq_u64_e64 s0, s[6:7], v[4:5]
	s_or_b32 s12, s0, s12
	s_and_not1_b32 exec_lo, exec_lo, s12
	s_cbranch_execnz .LBB0_3002
; %bb.3008:                             ;   in Loop: Header=BB0_1755 Depth=1
	s_or_b32 exec_lo, exec_lo, s12
	s_add_co_i32 s6, s4, 0xb3
	s_mov_b32 s1, s5
	s_bfe_u32 s0, s6, 0x100003
	v_dual_mov_b32 v0, s6 :: v_dual_mov_b32 v1, s6
	s_mulk_i32 s0, 0x20c5
	v_dual_mov_b32 v3, s6 :: v_dual_mov_b32 v14, 0
	s_lshr_b32 s0, s0, 20
	s_mov_b32 s7, s5
	s_mulk_i32 s0, 0x3e8
	s_mov_b32 s12, 0
	s_sub_co_i32 s0, s6, s0
	s_delay_alu instid0(SALU_CYCLE_1) | instskip(NEXT) | instid1(SALU_CYCLE_1)
	s_and_b32 s0, s0, 0xffff
	s_lshl_b32 s0, s0, 12
	s_delay_alu instid0(SALU_CYCLE_1)
	v_add_nc_u64_e32 v[4:5], s[0:1], v[10:11]
	v_add_nc_u64_e32 v[8:9], s[0:1], v[12:13]
	global_store_b128 v[4:5], v[0:3], off th:TH_STORE_NT
.LBB0_3009:                             ;   Parent Loop BB0_1755 Depth=1
                                        ; =>  This Inner Loop Header: Depth=2
	s_wait_loadcnt 0x0
	global_load_b128 v[4:7], v[8:9], off th:TH_LOAD_NT
	v_add_nc_u32_e32 v14, 1, v14
	s_mov_b32 s1, -1
	s_mov_b32 s14, -1
	s_mov_b32 s15, exec_lo
	s_wait_xcnt 0x0
	v_cmpx_eq_u32_e32 0xf4240, v14
	s_cbranch_execz .LBB0_3011
; %bb.3010:                             ;   in Loop: Header=BB0_3009 Depth=2
	s_wait_loadcnt 0x0
	s_wait_storecnt 0x0
	global_load_b32 v0, v2, s[10:11] scope:SCOPE_SYS
	s_wait_loadcnt 0x0
	global_inv scope:SCOPE_SYS
	v_mov_b32_e32 v14, 0
	v_cmp_eq_u32_e64 s0, 0, v0
	s_or_not1_b32 s14, s0, exec_lo
.LBB0_3011:                             ;   in Loop: Header=BB0_3009 Depth=2
	s_wait_xcnt 0x0
	s_or_b32 exec_lo, exec_lo, s15
	s_and_saveexec_b32 s15, s14
	s_cbranch_execz .LBB0_3013
; %bb.3012:                             ;   in Loop: Header=BB0_3009 Depth=2
	s_wait_loadcnt 0x0
	v_cmp_eq_u32_e64 s0, s6, v5
	v_cmp_eq_u32_e64 s1, s6, v7
	s_and_b32 s0, s0, s1
	s_delay_alu instid0(SALU_CYCLE_1)
	s_or_not1_b32 s1, s0, exec_lo
.LBB0_3013:                             ;   in Loop: Header=BB0_3009 Depth=2
	s_or_b32 exec_lo, exec_lo, s15
	s_delay_alu instid0(SALU_CYCLE_1) | instskip(NEXT) | instid1(SALU_CYCLE_1)
	s_and_b32 s0, exec_lo, s1
	s_or_b32 s13, s0, s13
	s_delay_alu instid0(SALU_CYCLE_1)
	s_and_not1_b32 exec_lo, exec_lo, s13
	s_cbranch_execnz .LBB0_3009
; %bb.3014:                             ;   in Loop: Header=BB0_3009 Depth=2
	s_or_b32 exec_lo, exec_lo, s13
	s_wait_loadcnt 0x0
	v_dual_mov_b32 v5, v6 :: v_dual_mov_b32 v14, 0
	s_mov_b32 s13, 0
	s_delay_alu instid0(VALU_DEP_1) | instskip(SKIP_1) | instid1(SALU_CYCLE_1)
	v_cmp_eq_u64_e64 s0, s[6:7], v[4:5]
	s_or_b32 s12, s0, s12
	s_and_not1_b32 exec_lo, exec_lo, s12
	s_cbranch_execnz .LBB0_3009
; %bb.3015:                             ;   in Loop: Header=BB0_1755 Depth=1
	s_or_b32 exec_lo, exec_lo, s12
	s_add_co_i32 s6, s4, 0xb4
	s_mov_b32 s1, s5
	s_bfe_u32 s0, s6, 0x100003
	v_dual_mov_b32 v0, s6 :: v_dual_mov_b32 v1, s6
	s_mulk_i32 s0, 0x20c5
	v_dual_mov_b32 v3, s6 :: v_dual_mov_b32 v14, 0
	s_lshr_b32 s0, s0, 20
	s_mov_b32 s7, s5
	s_mulk_i32 s0, 0x3e8
	s_mov_b32 s12, 0
	s_sub_co_i32 s0, s6, s0
	s_delay_alu instid0(SALU_CYCLE_1) | instskip(NEXT) | instid1(SALU_CYCLE_1)
	s_and_b32 s0, s0, 0xffff
	s_lshl_b32 s0, s0, 12
	s_delay_alu instid0(SALU_CYCLE_1)
	v_add_nc_u64_e32 v[4:5], s[0:1], v[10:11]
	v_add_nc_u64_e32 v[8:9], s[0:1], v[12:13]
	global_store_b128 v[4:5], v[0:3], off th:TH_STORE_NT
.LBB0_3016:                             ;   Parent Loop BB0_1755 Depth=1
                                        ; =>  This Inner Loop Header: Depth=2
	s_wait_loadcnt 0x0
	global_load_b128 v[4:7], v[8:9], off th:TH_LOAD_NT
	v_add_nc_u32_e32 v14, 1, v14
	s_mov_b32 s1, -1
	s_mov_b32 s14, -1
	s_mov_b32 s15, exec_lo
	s_wait_xcnt 0x0
	v_cmpx_eq_u32_e32 0xf4240, v14
	s_cbranch_execz .LBB0_3018
; %bb.3017:                             ;   in Loop: Header=BB0_3016 Depth=2
	s_wait_loadcnt 0x0
	s_wait_storecnt 0x0
	global_load_b32 v0, v2, s[10:11] scope:SCOPE_SYS
	s_wait_loadcnt 0x0
	global_inv scope:SCOPE_SYS
	v_mov_b32_e32 v14, 0
	v_cmp_eq_u32_e64 s0, 0, v0
	s_or_not1_b32 s14, s0, exec_lo
.LBB0_3018:                             ;   in Loop: Header=BB0_3016 Depth=2
	s_wait_xcnt 0x0
	s_or_b32 exec_lo, exec_lo, s15
	s_and_saveexec_b32 s15, s14
	s_cbranch_execz .LBB0_3020
; %bb.3019:                             ;   in Loop: Header=BB0_3016 Depth=2
	s_wait_loadcnt 0x0
	v_cmp_eq_u32_e64 s0, s6, v5
	v_cmp_eq_u32_e64 s1, s6, v7
	s_and_b32 s0, s0, s1
	s_delay_alu instid0(SALU_CYCLE_1)
	s_or_not1_b32 s1, s0, exec_lo
.LBB0_3020:                             ;   in Loop: Header=BB0_3016 Depth=2
	s_or_b32 exec_lo, exec_lo, s15
	s_delay_alu instid0(SALU_CYCLE_1) | instskip(NEXT) | instid1(SALU_CYCLE_1)
	s_and_b32 s0, exec_lo, s1
	s_or_b32 s13, s0, s13
	s_delay_alu instid0(SALU_CYCLE_1)
	s_and_not1_b32 exec_lo, exec_lo, s13
	s_cbranch_execnz .LBB0_3016
; %bb.3021:                             ;   in Loop: Header=BB0_3016 Depth=2
	s_or_b32 exec_lo, exec_lo, s13
	s_wait_loadcnt 0x0
	v_dual_mov_b32 v5, v6 :: v_dual_mov_b32 v14, 0
	s_mov_b32 s13, 0
	s_delay_alu instid0(VALU_DEP_1) | instskip(SKIP_1) | instid1(SALU_CYCLE_1)
	v_cmp_eq_u64_e64 s0, s[6:7], v[4:5]
	s_or_b32 s12, s0, s12
	s_and_not1_b32 exec_lo, exec_lo, s12
	s_cbranch_execnz .LBB0_3016
; %bb.3022:                             ;   in Loop: Header=BB0_1755 Depth=1
	s_or_b32 exec_lo, exec_lo, s12
	s_add_co_i32 s6, s4, 0xb5
	s_mov_b32 s1, s5
	s_bfe_u32 s0, s6, 0x100003
	v_dual_mov_b32 v0, s6 :: v_dual_mov_b32 v1, s6
	s_mulk_i32 s0, 0x20c5
	v_dual_mov_b32 v3, s6 :: v_dual_mov_b32 v14, 0
	s_lshr_b32 s0, s0, 20
	s_mov_b32 s7, s5
	s_mulk_i32 s0, 0x3e8
	s_mov_b32 s12, 0
	s_sub_co_i32 s0, s6, s0
	s_delay_alu instid0(SALU_CYCLE_1) | instskip(NEXT) | instid1(SALU_CYCLE_1)
	s_and_b32 s0, s0, 0xffff
	s_lshl_b32 s0, s0, 12
	s_delay_alu instid0(SALU_CYCLE_1)
	v_add_nc_u64_e32 v[4:5], s[0:1], v[10:11]
	v_add_nc_u64_e32 v[8:9], s[0:1], v[12:13]
	global_store_b128 v[4:5], v[0:3], off th:TH_STORE_NT
.LBB0_3023:                             ;   Parent Loop BB0_1755 Depth=1
                                        ; =>  This Inner Loop Header: Depth=2
	s_wait_loadcnt 0x0
	global_load_b128 v[4:7], v[8:9], off th:TH_LOAD_NT
	v_add_nc_u32_e32 v14, 1, v14
	s_mov_b32 s1, -1
	s_mov_b32 s14, -1
	s_mov_b32 s15, exec_lo
	s_wait_xcnt 0x0
	v_cmpx_eq_u32_e32 0xf4240, v14
	s_cbranch_execz .LBB0_3025
; %bb.3024:                             ;   in Loop: Header=BB0_3023 Depth=2
	s_wait_loadcnt 0x0
	s_wait_storecnt 0x0
	global_load_b32 v0, v2, s[10:11] scope:SCOPE_SYS
	s_wait_loadcnt 0x0
	global_inv scope:SCOPE_SYS
	v_mov_b32_e32 v14, 0
	v_cmp_eq_u32_e64 s0, 0, v0
	s_or_not1_b32 s14, s0, exec_lo
.LBB0_3025:                             ;   in Loop: Header=BB0_3023 Depth=2
	s_wait_xcnt 0x0
	s_or_b32 exec_lo, exec_lo, s15
	s_and_saveexec_b32 s15, s14
	s_cbranch_execz .LBB0_3027
; %bb.3026:                             ;   in Loop: Header=BB0_3023 Depth=2
	s_wait_loadcnt 0x0
	v_cmp_eq_u32_e64 s0, s6, v5
	v_cmp_eq_u32_e64 s1, s6, v7
	s_and_b32 s0, s0, s1
	s_delay_alu instid0(SALU_CYCLE_1)
	s_or_not1_b32 s1, s0, exec_lo
.LBB0_3027:                             ;   in Loop: Header=BB0_3023 Depth=2
	s_or_b32 exec_lo, exec_lo, s15
	s_delay_alu instid0(SALU_CYCLE_1) | instskip(NEXT) | instid1(SALU_CYCLE_1)
	s_and_b32 s0, exec_lo, s1
	s_or_b32 s13, s0, s13
	s_delay_alu instid0(SALU_CYCLE_1)
	s_and_not1_b32 exec_lo, exec_lo, s13
	s_cbranch_execnz .LBB0_3023
; %bb.3028:                             ;   in Loop: Header=BB0_3023 Depth=2
	s_or_b32 exec_lo, exec_lo, s13
	s_wait_loadcnt 0x0
	v_dual_mov_b32 v5, v6 :: v_dual_mov_b32 v14, 0
	s_mov_b32 s13, 0
	s_delay_alu instid0(VALU_DEP_1) | instskip(SKIP_1) | instid1(SALU_CYCLE_1)
	v_cmp_eq_u64_e64 s0, s[6:7], v[4:5]
	s_or_b32 s12, s0, s12
	s_and_not1_b32 exec_lo, exec_lo, s12
	s_cbranch_execnz .LBB0_3023
; %bb.3029:                             ;   in Loop: Header=BB0_1755 Depth=1
	s_or_b32 exec_lo, exec_lo, s12
	s_add_co_i32 s6, s4, 0xb6
	s_mov_b32 s1, s5
	s_bfe_u32 s0, s6, 0x100003
	v_dual_mov_b32 v0, s6 :: v_dual_mov_b32 v1, s6
	s_mulk_i32 s0, 0x20c5
	v_dual_mov_b32 v3, s6 :: v_dual_mov_b32 v14, 0
	s_lshr_b32 s0, s0, 20
	s_mov_b32 s7, s5
	s_mulk_i32 s0, 0x3e8
	s_mov_b32 s12, 0
	s_sub_co_i32 s0, s6, s0
	s_delay_alu instid0(SALU_CYCLE_1) | instskip(NEXT) | instid1(SALU_CYCLE_1)
	s_and_b32 s0, s0, 0xffff
	s_lshl_b32 s0, s0, 12
	s_delay_alu instid0(SALU_CYCLE_1)
	v_add_nc_u64_e32 v[4:5], s[0:1], v[10:11]
	v_add_nc_u64_e32 v[8:9], s[0:1], v[12:13]
	global_store_b128 v[4:5], v[0:3], off th:TH_STORE_NT
.LBB0_3030:                             ;   Parent Loop BB0_1755 Depth=1
                                        ; =>  This Inner Loop Header: Depth=2
	s_wait_loadcnt 0x0
	global_load_b128 v[4:7], v[8:9], off th:TH_LOAD_NT
	v_add_nc_u32_e32 v14, 1, v14
	s_mov_b32 s1, -1
	s_mov_b32 s14, -1
	s_mov_b32 s15, exec_lo
	s_wait_xcnt 0x0
	v_cmpx_eq_u32_e32 0xf4240, v14
	s_cbranch_execz .LBB0_3032
; %bb.3031:                             ;   in Loop: Header=BB0_3030 Depth=2
	s_wait_loadcnt 0x0
	s_wait_storecnt 0x0
	global_load_b32 v0, v2, s[10:11] scope:SCOPE_SYS
	s_wait_loadcnt 0x0
	global_inv scope:SCOPE_SYS
	v_mov_b32_e32 v14, 0
	v_cmp_eq_u32_e64 s0, 0, v0
	s_or_not1_b32 s14, s0, exec_lo
.LBB0_3032:                             ;   in Loop: Header=BB0_3030 Depth=2
	s_wait_xcnt 0x0
	s_or_b32 exec_lo, exec_lo, s15
	s_and_saveexec_b32 s15, s14
	s_cbranch_execz .LBB0_3034
; %bb.3033:                             ;   in Loop: Header=BB0_3030 Depth=2
	s_wait_loadcnt 0x0
	v_cmp_eq_u32_e64 s0, s6, v5
	v_cmp_eq_u32_e64 s1, s6, v7
	s_and_b32 s0, s0, s1
	s_delay_alu instid0(SALU_CYCLE_1)
	s_or_not1_b32 s1, s0, exec_lo
.LBB0_3034:                             ;   in Loop: Header=BB0_3030 Depth=2
	s_or_b32 exec_lo, exec_lo, s15
	s_delay_alu instid0(SALU_CYCLE_1) | instskip(NEXT) | instid1(SALU_CYCLE_1)
	s_and_b32 s0, exec_lo, s1
	s_or_b32 s13, s0, s13
	s_delay_alu instid0(SALU_CYCLE_1)
	s_and_not1_b32 exec_lo, exec_lo, s13
	s_cbranch_execnz .LBB0_3030
; %bb.3035:                             ;   in Loop: Header=BB0_3030 Depth=2
	s_or_b32 exec_lo, exec_lo, s13
	s_wait_loadcnt 0x0
	v_dual_mov_b32 v5, v6 :: v_dual_mov_b32 v14, 0
	s_mov_b32 s13, 0
	s_delay_alu instid0(VALU_DEP_1) | instskip(SKIP_1) | instid1(SALU_CYCLE_1)
	v_cmp_eq_u64_e64 s0, s[6:7], v[4:5]
	s_or_b32 s12, s0, s12
	s_and_not1_b32 exec_lo, exec_lo, s12
	s_cbranch_execnz .LBB0_3030
; %bb.3036:                             ;   in Loop: Header=BB0_1755 Depth=1
	s_or_b32 exec_lo, exec_lo, s12
	s_add_co_i32 s6, s4, 0xb7
	s_mov_b32 s1, s5
	s_bfe_u32 s0, s6, 0x100003
	v_dual_mov_b32 v0, s6 :: v_dual_mov_b32 v1, s6
	s_mulk_i32 s0, 0x20c5
	v_dual_mov_b32 v3, s6 :: v_dual_mov_b32 v14, 0
	s_lshr_b32 s0, s0, 20
	s_mov_b32 s7, s5
	s_mulk_i32 s0, 0x3e8
	s_mov_b32 s12, 0
	s_sub_co_i32 s0, s6, s0
	s_delay_alu instid0(SALU_CYCLE_1) | instskip(NEXT) | instid1(SALU_CYCLE_1)
	s_and_b32 s0, s0, 0xffff
	s_lshl_b32 s0, s0, 12
	s_delay_alu instid0(SALU_CYCLE_1)
	v_add_nc_u64_e32 v[4:5], s[0:1], v[10:11]
	v_add_nc_u64_e32 v[8:9], s[0:1], v[12:13]
	global_store_b128 v[4:5], v[0:3], off th:TH_STORE_NT
.LBB0_3037:                             ;   Parent Loop BB0_1755 Depth=1
                                        ; =>  This Inner Loop Header: Depth=2
	s_wait_loadcnt 0x0
	global_load_b128 v[4:7], v[8:9], off th:TH_LOAD_NT
	v_add_nc_u32_e32 v14, 1, v14
	s_mov_b32 s1, -1
	s_mov_b32 s14, -1
	s_mov_b32 s15, exec_lo
	s_wait_xcnt 0x0
	v_cmpx_eq_u32_e32 0xf4240, v14
	s_cbranch_execz .LBB0_3039
; %bb.3038:                             ;   in Loop: Header=BB0_3037 Depth=2
	s_wait_loadcnt 0x0
	s_wait_storecnt 0x0
	global_load_b32 v0, v2, s[10:11] scope:SCOPE_SYS
	s_wait_loadcnt 0x0
	global_inv scope:SCOPE_SYS
	v_mov_b32_e32 v14, 0
	v_cmp_eq_u32_e64 s0, 0, v0
	s_or_not1_b32 s14, s0, exec_lo
.LBB0_3039:                             ;   in Loop: Header=BB0_3037 Depth=2
	s_wait_xcnt 0x0
	s_or_b32 exec_lo, exec_lo, s15
	s_and_saveexec_b32 s15, s14
	s_cbranch_execz .LBB0_3041
; %bb.3040:                             ;   in Loop: Header=BB0_3037 Depth=2
	s_wait_loadcnt 0x0
	v_cmp_eq_u32_e64 s0, s6, v5
	v_cmp_eq_u32_e64 s1, s6, v7
	s_and_b32 s0, s0, s1
	s_delay_alu instid0(SALU_CYCLE_1)
	s_or_not1_b32 s1, s0, exec_lo
.LBB0_3041:                             ;   in Loop: Header=BB0_3037 Depth=2
	s_or_b32 exec_lo, exec_lo, s15
	s_delay_alu instid0(SALU_CYCLE_1) | instskip(NEXT) | instid1(SALU_CYCLE_1)
	s_and_b32 s0, exec_lo, s1
	s_or_b32 s13, s0, s13
	s_delay_alu instid0(SALU_CYCLE_1)
	s_and_not1_b32 exec_lo, exec_lo, s13
	s_cbranch_execnz .LBB0_3037
; %bb.3042:                             ;   in Loop: Header=BB0_3037 Depth=2
	s_or_b32 exec_lo, exec_lo, s13
	s_wait_loadcnt 0x0
	v_dual_mov_b32 v5, v6 :: v_dual_mov_b32 v14, 0
	s_mov_b32 s13, 0
	s_delay_alu instid0(VALU_DEP_1) | instskip(SKIP_1) | instid1(SALU_CYCLE_1)
	v_cmp_eq_u64_e64 s0, s[6:7], v[4:5]
	s_or_b32 s12, s0, s12
	s_and_not1_b32 exec_lo, exec_lo, s12
	s_cbranch_execnz .LBB0_3037
; %bb.3043:                             ;   in Loop: Header=BB0_1755 Depth=1
	s_or_b32 exec_lo, exec_lo, s12
	s_add_co_i32 s6, s4, 0xb8
	s_mov_b32 s1, s5
	s_bfe_u32 s0, s6, 0x100003
	v_dual_mov_b32 v0, s6 :: v_dual_mov_b32 v1, s6
	s_mulk_i32 s0, 0x20c5
	v_dual_mov_b32 v3, s6 :: v_dual_mov_b32 v14, 0
	s_lshr_b32 s0, s0, 20
	s_mov_b32 s7, s5
	s_mulk_i32 s0, 0x3e8
	s_mov_b32 s12, 0
	s_sub_co_i32 s0, s6, s0
	s_delay_alu instid0(SALU_CYCLE_1) | instskip(NEXT) | instid1(SALU_CYCLE_1)
	s_and_b32 s0, s0, 0xffff
	s_lshl_b32 s0, s0, 12
	s_delay_alu instid0(SALU_CYCLE_1)
	v_add_nc_u64_e32 v[4:5], s[0:1], v[10:11]
	v_add_nc_u64_e32 v[8:9], s[0:1], v[12:13]
	global_store_b128 v[4:5], v[0:3], off th:TH_STORE_NT
.LBB0_3044:                             ;   Parent Loop BB0_1755 Depth=1
                                        ; =>  This Inner Loop Header: Depth=2
	s_wait_loadcnt 0x0
	global_load_b128 v[4:7], v[8:9], off th:TH_LOAD_NT
	v_add_nc_u32_e32 v14, 1, v14
	s_mov_b32 s1, -1
	s_mov_b32 s14, -1
	s_mov_b32 s15, exec_lo
	s_wait_xcnt 0x0
	v_cmpx_eq_u32_e32 0xf4240, v14
	s_cbranch_execz .LBB0_3046
; %bb.3045:                             ;   in Loop: Header=BB0_3044 Depth=2
	s_wait_loadcnt 0x0
	s_wait_storecnt 0x0
	global_load_b32 v0, v2, s[10:11] scope:SCOPE_SYS
	s_wait_loadcnt 0x0
	global_inv scope:SCOPE_SYS
	v_mov_b32_e32 v14, 0
	v_cmp_eq_u32_e64 s0, 0, v0
	s_or_not1_b32 s14, s0, exec_lo
.LBB0_3046:                             ;   in Loop: Header=BB0_3044 Depth=2
	s_wait_xcnt 0x0
	s_or_b32 exec_lo, exec_lo, s15
	s_and_saveexec_b32 s15, s14
	s_cbranch_execz .LBB0_3048
; %bb.3047:                             ;   in Loop: Header=BB0_3044 Depth=2
	s_wait_loadcnt 0x0
	v_cmp_eq_u32_e64 s0, s6, v5
	v_cmp_eq_u32_e64 s1, s6, v7
	s_and_b32 s0, s0, s1
	s_delay_alu instid0(SALU_CYCLE_1)
	s_or_not1_b32 s1, s0, exec_lo
.LBB0_3048:                             ;   in Loop: Header=BB0_3044 Depth=2
	s_or_b32 exec_lo, exec_lo, s15
	s_delay_alu instid0(SALU_CYCLE_1) | instskip(NEXT) | instid1(SALU_CYCLE_1)
	s_and_b32 s0, exec_lo, s1
	s_or_b32 s13, s0, s13
	s_delay_alu instid0(SALU_CYCLE_1)
	s_and_not1_b32 exec_lo, exec_lo, s13
	s_cbranch_execnz .LBB0_3044
; %bb.3049:                             ;   in Loop: Header=BB0_3044 Depth=2
	s_or_b32 exec_lo, exec_lo, s13
	s_wait_loadcnt 0x0
	v_dual_mov_b32 v5, v6 :: v_dual_mov_b32 v14, 0
	s_mov_b32 s13, 0
	s_delay_alu instid0(VALU_DEP_1) | instskip(SKIP_1) | instid1(SALU_CYCLE_1)
	v_cmp_eq_u64_e64 s0, s[6:7], v[4:5]
	s_or_b32 s12, s0, s12
	s_and_not1_b32 exec_lo, exec_lo, s12
	s_cbranch_execnz .LBB0_3044
; %bb.3050:                             ;   in Loop: Header=BB0_1755 Depth=1
	s_or_b32 exec_lo, exec_lo, s12
	s_add_co_i32 s6, s4, 0xb9
	s_mov_b32 s1, s5
	s_bfe_u32 s0, s6, 0x100003
	v_dual_mov_b32 v0, s6 :: v_dual_mov_b32 v1, s6
	s_mulk_i32 s0, 0x20c5
	v_dual_mov_b32 v3, s6 :: v_dual_mov_b32 v14, 0
	s_lshr_b32 s0, s0, 20
	s_mov_b32 s7, s5
	s_mulk_i32 s0, 0x3e8
	s_mov_b32 s12, 0
	s_sub_co_i32 s0, s6, s0
	s_delay_alu instid0(SALU_CYCLE_1) | instskip(NEXT) | instid1(SALU_CYCLE_1)
	s_and_b32 s0, s0, 0xffff
	s_lshl_b32 s0, s0, 12
	s_delay_alu instid0(SALU_CYCLE_1)
	v_add_nc_u64_e32 v[4:5], s[0:1], v[10:11]
	v_add_nc_u64_e32 v[8:9], s[0:1], v[12:13]
	global_store_b128 v[4:5], v[0:3], off th:TH_STORE_NT
.LBB0_3051:                             ;   Parent Loop BB0_1755 Depth=1
                                        ; =>  This Inner Loop Header: Depth=2
	s_wait_loadcnt 0x0
	global_load_b128 v[4:7], v[8:9], off th:TH_LOAD_NT
	v_add_nc_u32_e32 v14, 1, v14
	s_mov_b32 s1, -1
	s_mov_b32 s14, -1
	s_mov_b32 s15, exec_lo
	s_wait_xcnt 0x0
	v_cmpx_eq_u32_e32 0xf4240, v14
	s_cbranch_execz .LBB0_3053
; %bb.3052:                             ;   in Loop: Header=BB0_3051 Depth=2
	s_wait_loadcnt 0x0
	s_wait_storecnt 0x0
	global_load_b32 v0, v2, s[10:11] scope:SCOPE_SYS
	s_wait_loadcnt 0x0
	global_inv scope:SCOPE_SYS
	v_mov_b32_e32 v14, 0
	v_cmp_eq_u32_e64 s0, 0, v0
	s_or_not1_b32 s14, s0, exec_lo
.LBB0_3053:                             ;   in Loop: Header=BB0_3051 Depth=2
	s_wait_xcnt 0x0
	s_or_b32 exec_lo, exec_lo, s15
	s_and_saveexec_b32 s15, s14
	s_cbranch_execz .LBB0_3055
; %bb.3054:                             ;   in Loop: Header=BB0_3051 Depth=2
	s_wait_loadcnt 0x0
	v_cmp_eq_u32_e64 s0, s6, v5
	v_cmp_eq_u32_e64 s1, s6, v7
	s_and_b32 s0, s0, s1
	s_delay_alu instid0(SALU_CYCLE_1)
	s_or_not1_b32 s1, s0, exec_lo
.LBB0_3055:                             ;   in Loop: Header=BB0_3051 Depth=2
	s_or_b32 exec_lo, exec_lo, s15
	s_delay_alu instid0(SALU_CYCLE_1) | instskip(NEXT) | instid1(SALU_CYCLE_1)
	s_and_b32 s0, exec_lo, s1
	s_or_b32 s13, s0, s13
	s_delay_alu instid0(SALU_CYCLE_1)
	s_and_not1_b32 exec_lo, exec_lo, s13
	s_cbranch_execnz .LBB0_3051
; %bb.3056:                             ;   in Loop: Header=BB0_3051 Depth=2
	s_or_b32 exec_lo, exec_lo, s13
	s_wait_loadcnt 0x0
	v_dual_mov_b32 v5, v6 :: v_dual_mov_b32 v14, 0
	s_mov_b32 s13, 0
	s_delay_alu instid0(VALU_DEP_1) | instskip(SKIP_1) | instid1(SALU_CYCLE_1)
	v_cmp_eq_u64_e64 s0, s[6:7], v[4:5]
	s_or_b32 s12, s0, s12
	s_and_not1_b32 exec_lo, exec_lo, s12
	s_cbranch_execnz .LBB0_3051
; %bb.3057:                             ;   in Loop: Header=BB0_1755 Depth=1
	s_or_b32 exec_lo, exec_lo, s12
	s_add_co_i32 s6, s4, 0xba
	s_mov_b32 s1, s5
	s_bfe_u32 s0, s6, 0x100003
	v_dual_mov_b32 v0, s6 :: v_dual_mov_b32 v1, s6
	s_mulk_i32 s0, 0x20c5
	v_dual_mov_b32 v3, s6 :: v_dual_mov_b32 v14, 0
	s_lshr_b32 s0, s0, 20
	s_mov_b32 s7, s5
	s_mulk_i32 s0, 0x3e8
	s_mov_b32 s12, 0
	s_sub_co_i32 s0, s6, s0
	s_delay_alu instid0(SALU_CYCLE_1) | instskip(NEXT) | instid1(SALU_CYCLE_1)
	s_and_b32 s0, s0, 0xffff
	s_lshl_b32 s0, s0, 12
	s_delay_alu instid0(SALU_CYCLE_1)
	v_add_nc_u64_e32 v[4:5], s[0:1], v[10:11]
	v_add_nc_u64_e32 v[8:9], s[0:1], v[12:13]
	global_store_b128 v[4:5], v[0:3], off th:TH_STORE_NT
.LBB0_3058:                             ;   Parent Loop BB0_1755 Depth=1
                                        ; =>  This Inner Loop Header: Depth=2
	s_wait_loadcnt 0x0
	global_load_b128 v[4:7], v[8:9], off th:TH_LOAD_NT
	v_add_nc_u32_e32 v14, 1, v14
	s_mov_b32 s1, -1
	s_mov_b32 s14, -1
	s_mov_b32 s15, exec_lo
	s_wait_xcnt 0x0
	v_cmpx_eq_u32_e32 0xf4240, v14
	s_cbranch_execz .LBB0_3060
; %bb.3059:                             ;   in Loop: Header=BB0_3058 Depth=2
	s_wait_loadcnt 0x0
	s_wait_storecnt 0x0
	global_load_b32 v0, v2, s[10:11] scope:SCOPE_SYS
	s_wait_loadcnt 0x0
	global_inv scope:SCOPE_SYS
	v_mov_b32_e32 v14, 0
	v_cmp_eq_u32_e64 s0, 0, v0
	s_or_not1_b32 s14, s0, exec_lo
.LBB0_3060:                             ;   in Loop: Header=BB0_3058 Depth=2
	s_wait_xcnt 0x0
	s_or_b32 exec_lo, exec_lo, s15
	s_and_saveexec_b32 s15, s14
	s_cbranch_execz .LBB0_3062
; %bb.3061:                             ;   in Loop: Header=BB0_3058 Depth=2
	s_wait_loadcnt 0x0
	v_cmp_eq_u32_e64 s0, s6, v5
	v_cmp_eq_u32_e64 s1, s6, v7
	s_and_b32 s0, s0, s1
	s_delay_alu instid0(SALU_CYCLE_1)
	s_or_not1_b32 s1, s0, exec_lo
.LBB0_3062:                             ;   in Loop: Header=BB0_3058 Depth=2
	s_or_b32 exec_lo, exec_lo, s15
	s_delay_alu instid0(SALU_CYCLE_1) | instskip(NEXT) | instid1(SALU_CYCLE_1)
	s_and_b32 s0, exec_lo, s1
	s_or_b32 s13, s0, s13
	s_delay_alu instid0(SALU_CYCLE_1)
	s_and_not1_b32 exec_lo, exec_lo, s13
	s_cbranch_execnz .LBB0_3058
; %bb.3063:                             ;   in Loop: Header=BB0_3058 Depth=2
	s_or_b32 exec_lo, exec_lo, s13
	s_wait_loadcnt 0x0
	v_dual_mov_b32 v5, v6 :: v_dual_mov_b32 v14, 0
	s_mov_b32 s13, 0
	s_delay_alu instid0(VALU_DEP_1) | instskip(SKIP_1) | instid1(SALU_CYCLE_1)
	v_cmp_eq_u64_e64 s0, s[6:7], v[4:5]
	s_or_b32 s12, s0, s12
	s_and_not1_b32 exec_lo, exec_lo, s12
	s_cbranch_execnz .LBB0_3058
; %bb.3064:                             ;   in Loop: Header=BB0_1755 Depth=1
	s_or_b32 exec_lo, exec_lo, s12
	s_add_co_i32 s6, s4, 0xbb
	s_mov_b32 s1, s5
	s_bfe_u32 s0, s6, 0x100003
	v_dual_mov_b32 v0, s6 :: v_dual_mov_b32 v1, s6
	s_mulk_i32 s0, 0x20c5
	v_dual_mov_b32 v3, s6 :: v_dual_mov_b32 v14, 0
	s_lshr_b32 s0, s0, 20
	s_mov_b32 s7, s5
	s_mulk_i32 s0, 0x3e8
	s_mov_b32 s12, 0
	s_sub_co_i32 s0, s6, s0
	s_delay_alu instid0(SALU_CYCLE_1) | instskip(NEXT) | instid1(SALU_CYCLE_1)
	s_and_b32 s0, s0, 0xffff
	s_lshl_b32 s0, s0, 12
	s_delay_alu instid0(SALU_CYCLE_1)
	v_add_nc_u64_e32 v[4:5], s[0:1], v[10:11]
	v_add_nc_u64_e32 v[8:9], s[0:1], v[12:13]
	global_store_b128 v[4:5], v[0:3], off th:TH_STORE_NT
.LBB0_3065:                             ;   Parent Loop BB0_1755 Depth=1
                                        ; =>  This Inner Loop Header: Depth=2
	s_wait_loadcnt 0x0
	global_load_b128 v[4:7], v[8:9], off th:TH_LOAD_NT
	v_add_nc_u32_e32 v14, 1, v14
	s_mov_b32 s1, -1
	s_mov_b32 s14, -1
	s_mov_b32 s15, exec_lo
	s_wait_xcnt 0x0
	v_cmpx_eq_u32_e32 0xf4240, v14
	s_cbranch_execz .LBB0_3067
; %bb.3066:                             ;   in Loop: Header=BB0_3065 Depth=2
	s_wait_loadcnt 0x0
	s_wait_storecnt 0x0
	global_load_b32 v0, v2, s[10:11] scope:SCOPE_SYS
	s_wait_loadcnt 0x0
	global_inv scope:SCOPE_SYS
	v_mov_b32_e32 v14, 0
	v_cmp_eq_u32_e64 s0, 0, v0
	s_or_not1_b32 s14, s0, exec_lo
.LBB0_3067:                             ;   in Loop: Header=BB0_3065 Depth=2
	s_wait_xcnt 0x0
	s_or_b32 exec_lo, exec_lo, s15
	s_and_saveexec_b32 s15, s14
	s_cbranch_execz .LBB0_3069
; %bb.3068:                             ;   in Loop: Header=BB0_3065 Depth=2
	s_wait_loadcnt 0x0
	v_cmp_eq_u32_e64 s0, s6, v5
	v_cmp_eq_u32_e64 s1, s6, v7
	s_and_b32 s0, s0, s1
	s_delay_alu instid0(SALU_CYCLE_1)
	s_or_not1_b32 s1, s0, exec_lo
.LBB0_3069:                             ;   in Loop: Header=BB0_3065 Depth=2
	s_or_b32 exec_lo, exec_lo, s15
	s_delay_alu instid0(SALU_CYCLE_1) | instskip(NEXT) | instid1(SALU_CYCLE_1)
	s_and_b32 s0, exec_lo, s1
	s_or_b32 s13, s0, s13
	s_delay_alu instid0(SALU_CYCLE_1)
	s_and_not1_b32 exec_lo, exec_lo, s13
	s_cbranch_execnz .LBB0_3065
; %bb.3070:                             ;   in Loop: Header=BB0_3065 Depth=2
	s_or_b32 exec_lo, exec_lo, s13
	s_wait_loadcnt 0x0
	v_dual_mov_b32 v5, v6 :: v_dual_mov_b32 v14, 0
	s_mov_b32 s13, 0
	s_delay_alu instid0(VALU_DEP_1) | instskip(SKIP_1) | instid1(SALU_CYCLE_1)
	v_cmp_eq_u64_e64 s0, s[6:7], v[4:5]
	s_or_b32 s12, s0, s12
	s_and_not1_b32 exec_lo, exec_lo, s12
	s_cbranch_execnz .LBB0_3065
; %bb.3071:                             ;   in Loop: Header=BB0_1755 Depth=1
	s_or_b32 exec_lo, exec_lo, s12
	s_add_co_i32 s6, s4, 0xbc
	s_mov_b32 s1, s5
	s_bfe_u32 s0, s6, 0x100003
	v_dual_mov_b32 v0, s6 :: v_dual_mov_b32 v1, s6
	s_mulk_i32 s0, 0x20c5
	v_dual_mov_b32 v3, s6 :: v_dual_mov_b32 v14, 0
	s_lshr_b32 s0, s0, 20
	s_mov_b32 s7, s5
	s_mulk_i32 s0, 0x3e8
	s_mov_b32 s12, 0
	s_sub_co_i32 s0, s6, s0
	s_delay_alu instid0(SALU_CYCLE_1) | instskip(NEXT) | instid1(SALU_CYCLE_1)
	s_and_b32 s0, s0, 0xffff
	s_lshl_b32 s0, s0, 12
	s_delay_alu instid0(SALU_CYCLE_1)
	v_add_nc_u64_e32 v[4:5], s[0:1], v[10:11]
	v_add_nc_u64_e32 v[8:9], s[0:1], v[12:13]
	global_store_b128 v[4:5], v[0:3], off th:TH_STORE_NT
.LBB0_3072:                             ;   Parent Loop BB0_1755 Depth=1
                                        ; =>  This Inner Loop Header: Depth=2
	s_wait_loadcnt 0x0
	global_load_b128 v[4:7], v[8:9], off th:TH_LOAD_NT
	v_add_nc_u32_e32 v14, 1, v14
	s_mov_b32 s1, -1
	s_mov_b32 s14, -1
	s_mov_b32 s15, exec_lo
	s_wait_xcnt 0x0
	v_cmpx_eq_u32_e32 0xf4240, v14
	s_cbranch_execz .LBB0_3074
; %bb.3073:                             ;   in Loop: Header=BB0_3072 Depth=2
	s_wait_loadcnt 0x0
	s_wait_storecnt 0x0
	global_load_b32 v0, v2, s[10:11] scope:SCOPE_SYS
	s_wait_loadcnt 0x0
	global_inv scope:SCOPE_SYS
	v_mov_b32_e32 v14, 0
	v_cmp_eq_u32_e64 s0, 0, v0
	s_or_not1_b32 s14, s0, exec_lo
.LBB0_3074:                             ;   in Loop: Header=BB0_3072 Depth=2
	s_wait_xcnt 0x0
	s_or_b32 exec_lo, exec_lo, s15
	s_and_saveexec_b32 s15, s14
	s_cbranch_execz .LBB0_3076
; %bb.3075:                             ;   in Loop: Header=BB0_3072 Depth=2
	s_wait_loadcnt 0x0
	v_cmp_eq_u32_e64 s0, s6, v5
	v_cmp_eq_u32_e64 s1, s6, v7
	s_and_b32 s0, s0, s1
	s_delay_alu instid0(SALU_CYCLE_1)
	s_or_not1_b32 s1, s0, exec_lo
.LBB0_3076:                             ;   in Loop: Header=BB0_3072 Depth=2
	s_or_b32 exec_lo, exec_lo, s15
	s_delay_alu instid0(SALU_CYCLE_1) | instskip(NEXT) | instid1(SALU_CYCLE_1)
	s_and_b32 s0, exec_lo, s1
	s_or_b32 s13, s0, s13
	s_delay_alu instid0(SALU_CYCLE_1)
	s_and_not1_b32 exec_lo, exec_lo, s13
	s_cbranch_execnz .LBB0_3072
; %bb.3077:                             ;   in Loop: Header=BB0_3072 Depth=2
	s_or_b32 exec_lo, exec_lo, s13
	s_wait_loadcnt 0x0
	v_dual_mov_b32 v5, v6 :: v_dual_mov_b32 v14, 0
	s_mov_b32 s13, 0
	s_delay_alu instid0(VALU_DEP_1) | instskip(SKIP_1) | instid1(SALU_CYCLE_1)
	v_cmp_eq_u64_e64 s0, s[6:7], v[4:5]
	s_or_b32 s12, s0, s12
	s_and_not1_b32 exec_lo, exec_lo, s12
	s_cbranch_execnz .LBB0_3072
; %bb.3078:                             ;   in Loop: Header=BB0_1755 Depth=1
	s_or_b32 exec_lo, exec_lo, s12
	s_add_co_i32 s6, s4, 0xbd
	s_mov_b32 s1, s5
	s_bfe_u32 s0, s6, 0x100003
	v_dual_mov_b32 v0, s6 :: v_dual_mov_b32 v1, s6
	s_mulk_i32 s0, 0x20c5
	v_dual_mov_b32 v3, s6 :: v_dual_mov_b32 v14, 0
	s_lshr_b32 s0, s0, 20
	s_mov_b32 s7, s5
	s_mulk_i32 s0, 0x3e8
	s_mov_b32 s12, 0
	s_sub_co_i32 s0, s6, s0
	s_delay_alu instid0(SALU_CYCLE_1) | instskip(NEXT) | instid1(SALU_CYCLE_1)
	s_and_b32 s0, s0, 0xffff
	s_lshl_b32 s0, s0, 12
	s_delay_alu instid0(SALU_CYCLE_1)
	v_add_nc_u64_e32 v[4:5], s[0:1], v[10:11]
	v_add_nc_u64_e32 v[8:9], s[0:1], v[12:13]
	global_store_b128 v[4:5], v[0:3], off th:TH_STORE_NT
.LBB0_3079:                             ;   Parent Loop BB0_1755 Depth=1
                                        ; =>  This Inner Loop Header: Depth=2
	s_wait_loadcnt 0x0
	global_load_b128 v[4:7], v[8:9], off th:TH_LOAD_NT
	v_add_nc_u32_e32 v14, 1, v14
	s_mov_b32 s1, -1
	s_mov_b32 s14, -1
	s_mov_b32 s15, exec_lo
	s_wait_xcnt 0x0
	v_cmpx_eq_u32_e32 0xf4240, v14
	s_cbranch_execz .LBB0_3081
; %bb.3080:                             ;   in Loop: Header=BB0_3079 Depth=2
	s_wait_loadcnt 0x0
	s_wait_storecnt 0x0
	global_load_b32 v0, v2, s[10:11] scope:SCOPE_SYS
	s_wait_loadcnt 0x0
	global_inv scope:SCOPE_SYS
	v_mov_b32_e32 v14, 0
	v_cmp_eq_u32_e64 s0, 0, v0
	s_or_not1_b32 s14, s0, exec_lo
.LBB0_3081:                             ;   in Loop: Header=BB0_3079 Depth=2
	s_wait_xcnt 0x0
	s_or_b32 exec_lo, exec_lo, s15
	s_and_saveexec_b32 s15, s14
	s_cbranch_execz .LBB0_3083
; %bb.3082:                             ;   in Loop: Header=BB0_3079 Depth=2
	s_wait_loadcnt 0x0
	v_cmp_eq_u32_e64 s0, s6, v5
	v_cmp_eq_u32_e64 s1, s6, v7
	s_and_b32 s0, s0, s1
	s_delay_alu instid0(SALU_CYCLE_1)
	s_or_not1_b32 s1, s0, exec_lo
.LBB0_3083:                             ;   in Loop: Header=BB0_3079 Depth=2
	s_or_b32 exec_lo, exec_lo, s15
	s_delay_alu instid0(SALU_CYCLE_1) | instskip(NEXT) | instid1(SALU_CYCLE_1)
	s_and_b32 s0, exec_lo, s1
	s_or_b32 s13, s0, s13
	s_delay_alu instid0(SALU_CYCLE_1)
	s_and_not1_b32 exec_lo, exec_lo, s13
	s_cbranch_execnz .LBB0_3079
; %bb.3084:                             ;   in Loop: Header=BB0_3079 Depth=2
	s_or_b32 exec_lo, exec_lo, s13
	s_wait_loadcnt 0x0
	v_dual_mov_b32 v5, v6 :: v_dual_mov_b32 v14, 0
	s_mov_b32 s13, 0
	s_delay_alu instid0(VALU_DEP_1) | instskip(SKIP_1) | instid1(SALU_CYCLE_1)
	v_cmp_eq_u64_e64 s0, s[6:7], v[4:5]
	s_or_b32 s12, s0, s12
	s_and_not1_b32 exec_lo, exec_lo, s12
	s_cbranch_execnz .LBB0_3079
; %bb.3085:                             ;   in Loop: Header=BB0_1755 Depth=1
	s_or_b32 exec_lo, exec_lo, s12
	s_add_co_i32 s6, s4, 0xbe
	s_mov_b32 s1, s5
	s_bfe_u32 s0, s6, 0x100003
	v_dual_mov_b32 v0, s6 :: v_dual_mov_b32 v1, s6
	s_mulk_i32 s0, 0x20c5
	v_dual_mov_b32 v3, s6 :: v_dual_mov_b32 v14, 0
	s_lshr_b32 s0, s0, 20
	s_mov_b32 s7, s5
	s_mulk_i32 s0, 0x3e8
	s_mov_b32 s12, 0
	s_sub_co_i32 s0, s6, s0
	s_delay_alu instid0(SALU_CYCLE_1) | instskip(NEXT) | instid1(SALU_CYCLE_1)
	s_and_b32 s0, s0, 0xffff
	s_lshl_b32 s0, s0, 12
	s_delay_alu instid0(SALU_CYCLE_1)
	v_add_nc_u64_e32 v[4:5], s[0:1], v[10:11]
	v_add_nc_u64_e32 v[8:9], s[0:1], v[12:13]
	global_store_b128 v[4:5], v[0:3], off th:TH_STORE_NT
.LBB0_3086:                             ;   Parent Loop BB0_1755 Depth=1
                                        ; =>  This Inner Loop Header: Depth=2
	s_wait_loadcnt 0x0
	global_load_b128 v[4:7], v[8:9], off th:TH_LOAD_NT
	v_add_nc_u32_e32 v14, 1, v14
	s_mov_b32 s1, -1
	s_mov_b32 s14, -1
	s_mov_b32 s15, exec_lo
	s_wait_xcnt 0x0
	v_cmpx_eq_u32_e32 0xf4240, v14
	s_cbranch_execz .LBB0_3088
; %bb.3087:                             ;   in Loop: Header=BB0_3086 Depth=2
	s_wait_loadcnt 0x0
	s_wait_storecnt 0x0
	global_load_b32 v0, v2, s[10:11] scope:SCOPE_SYS
	s_wait_loadcnt 0x0
	global_inv scope:SCOPE_SYS
	v_mov_b32_e32 v14, 0
	v_cmp_eq_u32_e64 s0, 0, v0
	s_or_not1_b32 s14, s0, exec_lo
.LBB0_3088:                             ;   in Loop: Header=BB0_3086 Depth=2
	s_wait_xcnt 0x0
	s_or_b32 exec_lo, exec_lo, s15
	s_and_saveexec_b32 s15, s14
	s_cbranch_execz .LBB0_3090
; %bb.3089:                             ;   in Loop: Header=BB0_3086 Depth=2
	s_wait_loadcnt 0x0
	v_cmp_eq_u32_e64 s0, s6, v5
	v_cmp_eq_u32_e64 s1, s6, v7
	s_and_b32 s0, s0, s1
	s_delay_alu instid0(SALU_CYCLE_1)
	s_or_not1_b32 s1, s0, exec_lo
.LBB0_3090:                             ;   in Loop: Header=BB0_3086 Depth=2
	s_or_b32 exec_lo, exec_lo, s15
	s_delay_alu instid0(SALU_CYCLE_1) | instskip(NEXT) | instid1(SALU_CYCLE_1)
	s_and_b32 s0, exec_lo, s1
	s_or_b32 s13, s0, s13
	s_delay_alu instid0(SALU_CYCLE_1)
	s_and_not1_b32 exec_lo, exec_lo, s13
	s_cbranch_execnz .LBB0_3086
; %bb.3091:                             ;   in Loop: Header=BB0_3086 Depth=2
	s_or_b32 exec_lo, exec_lo, s13
	s_wait_loadcnt 0x0
	v_dual_mov_b32 v5, v6 :: v_dual_mov_b32 v14, 0
	s_mov_b32 s13, 0
	s_delay_alu instid0(VALU_DEP_1) | instskip(SKIP_1) | instid1(SALU_CYCLE_1)
	v_cmp_eq_u64_e64 s0, s[6:7], v[4:5]
	s_or_b32 s12, s0, s12
	s_and_not1_b32 exec_lo, exec_lo, s12
	s_cbranch_execnz .LBB0_3086
; %bb.3092:                             ;   in Loop: Header=BB0_1755 Depth=1
	s_or_b32 exec_lo, exec_lo, s12
	s_add_co_i32 s6, s4, 0xbf
	s_mov_b32 s1, s5
	s_bfe_u32 s0, s6, 0x100003
	v_dual_mov_b32 v0, s6 :: v_dual_mov_b32 v1, s6
	s_mulk_i32 s0, 0x20c5
	v_dual_mov_b32 v3, s6 :: v_dual_mov_b32 v14, 0
	s_lshr_b32 s0, s0, 20
	s_mov_b32 s7, s5
	s_mulk_i32 s0, 0x3e8
	s_mov_b32 s12, 0
	s_sub_co_i32 s0, s6, s0
	s_delay_alu instid0(SALU_CYCLE_1) | instskip(NEXT) | instid1(SALU_CYCLE_1)
	s_and_b32 s0, s0, 0xffff
	s_lshl_b32 s0, s0, 12
	s_delay_alu instid0(SALU_CYCLE_1)
	v_add_nc_u64_e32 v[4:5], s[0:1], v[10:11]
	v_add_nc_u64_e32 v[8:9], s[0:1], v[12:13]
	global_store_b128 v[4:5], v[0:3], off th:TH_STORE_NT
.LBB0_3093:                             ;   Parent Loop BB0_1755 Depth=1
                                        ; =>  This Inner Loop Header: Depth=2
	s_wait_loadcnt 0x0
	global_load_b128 v[4:7], v[8:9], off th:TH_LOAD_NT
	v_add_nc_u32_e32 v14, 1, v14
	s_mov_b32 s1, -1
	s_mov_b32 s14, -1
	s_mov_b32 s15, exec_lo
	s_wait_xcnt 0x0
	v_cmpx_eq_u32_e32 0xf4240, v14
	s_cbranch_execz .LBB0_3095
; %bb.3094:                             ;   in Loop: Header=BB0_3093 Depth=2
	s_wait_loadcnt 0x0
	s_wait_storecnt 0x0
	global_load_b32 v0, v2, s[10:11] scope:SCOPE_SYS
	s_wait_loadcnt 0x0
	global_inv scope:SCOPE_SYS
	v_mov_b32_e32 v14, 0
	v_cmp_eq_u32_e64 s0, 0, v0
	s_or_not1_b32 s14, s0, exec_lo
.LBB0_3095:                             ;   in Loop: Header=BB0_3093 Depth=2
	s_wait_xcnt 0x0
	s_or_b32 exec_lo, exec_lo, s15
	s_and_saveexec_b32 s15, s14
	s_cbranch_execz .LBB0_3097
; %bb.3096:                             ;   in Loop: Header=BB0_3093 Depth=2
	s_wait_loadcnt 0x0
	v_cmp_eq_u32_e64 s0, s6, v5
	v_cmp_eq_u32_e64 s1, s6, v7
	s_and_b32 s0, s0, s1
	s_delay_alu instid0(SALU_CYCLE_1)
	s_or_not1_b32 s1, s0, exec_lo
.LBB0_3097:                             ;   in Loop: Header=BB0_3093 Depth=2
	s_or_b32 exec_lo, exec_lo, s15
	s_delay_alu instid0(SALU_CYCLE_1) | instskip(NEXT) | instid1(SALU_CYCLE_1)
	s_and_b32 s0, exec_lo, s1
	s_or_b32 s13, s0, s13
	s_delay_alu instid0(SALU_CYCLE_1)
	s_and_not1_b32 exec_lo, exec_lo, s13
	s_cbranch_execnz .LBB0_3093
; %bb.3098:                             ;   in Loop: Header=BB0_3093 Depth=2
	s_or_b32 exec_lo, exec_lo, s13
	s_wait_loadcnt 0x0
	v_dual_mov_b32 v5, v6 :: v_dual_mov_b32 v14, 0
	s_mov_b32 s13, 0
	s_delay_alu instid0(VALU_DEP_1) | instskip(SKIP_1) | instid1(SALU_CYCLE_1)
	v_cmp_eq_u64_e64 s0, s[6:7], v[4:5]
	s_or_b32 s12, s0, s12
	s_and_not1_b32 exec_lo, exec_lo, s12
	s_cbranch_execnz .LBB0_3093
; %bb.3099:                             ;   in Loop: Header=BB0_1755 Depth=1
	s_or_b32 exec_lo, exec_lo, s12
	s_add_co_i32 s6, s4, 0xc0
	s_mov_b32 s1, s5
	s_bfe_u32 s0, s6, 0x100003
	v_dual_mov_b32 v0, s6 :: v_dual_mov_b32 v1, s6
	s_mulk_i32 s0, 0x20c5
	v_dual_mov_b32 v3, s6 :: v_dual_mov_b32 v14, 0
	s_lshr_b32 s0, s0, 20
	s_mov_b32 s7, s5
	s_mulk_i32 s0, 0x3e8
	s_mov_b32 s12, 0
	s_sub_co_i32 s0, s6, s0
	s_delay_alu instid0(SALU_CYCLE_1) | instskip(NEXT) | instid1(SALU_CYCLE_1)
	s_and_b32 s0, s0, 0xffff
	s_lshl_b32 s0, s0, 12
	s_delay_alu instid0(SALU_CYCLE_1)
	v_add_nc_u64_e32 v[4:5], s[0:1], v[10:11]
	v_add_nc_u64_e32 v[8:9], s[0:1], v[12:13]
	global_store_b128 v[4:5], v[0:3], off th:TH_STORE_NT
.LBB0_3100:                             ;   Parent Loop BB0_1755 Depth=1
                                        ; =>  This Inner Loop Header: Depth=2
	s_wait_loadcnt 0x0
	global_load_b128 v[4:7], v[8:9], off th:TH_LOAD_NT
	v_add_nc_u32_e32 v14, 1, v14
	s_mov_b32 s1, -1
	s_mov_b32 s14, -1
	s_mov_b32 s15, exec_lo
	s_wait_xcnt 0x0
	v_cmpx_eq_u32_e32 0xf4240, v14
	s_cbranch_execz .LBB0_3102
; %bb.3101:                             ;   in Loop: Header=BB0_3100 Depth=2
	s_wait_loadcnt 0x0
	s_wait_storecnt 0x0
	global_load_b32 v0, v2, s[10:11] scope:SCOPE_SYS
	s_wait_loadcnt 0x0
	global_inv scope:SCOPE_SYS
	v_mov_b32_e32 v14, 0
	v_cmp_eq_u32_e64 s0, 0, v0
	s_or_not1_b32 s14, s0, exec_lo
.LBB0_3102:                             ;   in Loop: Header=BB0_3100 Depth=2
	s_wait_xcnt 0x0
	s_or_b32 exec_lo, exec_lo, s15
	s_and_saveexec_b32 s15, s14
	s_cbranch_execz .LBB0_3104
; %bb.3103:                             ;   in Loop: Header=BB0_3100 Depth=2
	s_wait_loadcnt 0x0
	v_cmp_eq_u32_e64 s0, s6, v5
	v_cmp_eq_u32_e64 s1, s6, v7
	s_and_b32 s0, s0, s1
	s_delay_alu instid0(SALU_CYCLE_1)
	s_or_not1_b32 s1, s0, exec_lo
.LBB0_3104:                             ;   in Loop: Header=BB0_3100 Depth=2
	s_or_b32 exec_lo, exec_lo, s15
	s_delay_alu instid0(SALU_CYCLE_1) | instskip(NEXT) | instid1(SALU_CYCLE_1)
	s_and_b32 s0, exec_lo, s1
	s_or_b32 s13, s0, s13
	s_delay_alu instid0(SALU_CYCLE_1)
	s_and_not1_b32 exec_lo, exec_lo, s13
	s_cbranch_execnz .LBB0_3100
; %bb.3105:                             ;   in Loop: Header=BB0_3100 Depth=2
	s_or_b32 exec_lo, exec_lo, s13
	s_wait_loadcnt 0x0
	v_dual_mov_b32 v5, v6 :: v_dual_mov_b32 v14, 0
	s_mov_b32 s13, 0
	s_delay_alu instid0(VALU_DEP_1) | instskip(SKIP_1) | instid1(SALU_CYCLE_1)
	v_cmp_eq_u64_e64 s0, s[6:7], v[4:5]
	s_or_b32 s12, s0, s12
	s_and_not1_b32 exec_lo, exec_lo, s12
	s_cbranch_execnz .LBB0_3100
; %bb.3106:                             ;   in Loop: Header=BB0_1755 Depth=1
	s_or_b32 exec_lo, exec_lo, s12
	s_add_co_i32 s6, s4, 0xc1
	s_mov_b32 s1, s5
	s_bfe_u32 s0, s6, 0x100003
	v_dual_mov_b32 v0, s6 :: v_dual_mov_b32 v1, s6
	s_mulk_i32 s0, 0x20c5
	v_dual_mov_b32 v3, s6 :: v_dual_mov_b32 v14, 0
	s_lshr_b32 s0, s0, 20
	s_mov_b32 s7, s5
	s_mulk_i32 s0, 0x3e8
	s_mov_b32 s12, 0
	s_sub_co_i32 s0, s6, s0
	s_delay_alu instid0(SALU_CYCLE_1) | instskip(NEXT) | instid1(SALU_CYCLE_1)
	s_and_b32 s0, s0, 0xffff
	s_lshl_b32 s0, s0, 12
	s_delay_alu instid0(SALU_CYCLE_1)
	v_add_nc_u64_e32 v[4:5], s[0:1], v[10:11]
	v_add_nc_u64_e32 v[8:9], s[0:1], v[12:13]
	global_store_b128 v[4:5], v[0:3], off th:TH_STORE_NT
.LBB0_3107:                             ;   Parent Loop BB0_1755 Depth=1
                                        ; =>  This Inner Loop Header: Depth=2
	s_wait_loadcnt 0x0
	global_load_b128 v[4:7], v[8:9], off th:TH_LOAD_NT
	v_add_nc_u32_e32 v14, 1, v14
	s_mov_b32 s1, -1
	s_mov_b32 s14, -1
	s_mov_b32 s15, exec_lo
	s_wait_xcnt 0x0
	v_cmpx_eq_u32_e32 0xf4240, v14
	s_cbranch_execz .LBB0_3109
; %bb.3108:                             ;   in Loop: Header=BB0_3107 Depth=2
	s_wait_loadcnt 0x0
	s_wait_storecnt 0x0
	global_load_b32 v0, v2, s[10:11] scope:SCOPE_SYS
	s_wait_loadcnt 0x0
	global_inv scope:SCOPE_SYS
	v_mov_b32_e32 v14, 0
	v_cmp_eq_u32_e64 s0, 0, v0
	s_or_not1_b32 s14, s0, exec_lo
.LBB0_3109:                             ;   in Loop: Header=BB0_3107 Depth=2
	s_wait_xcnt 0x0
	s_or_b32 exec_lo, exec_lo, s15
	s_and_saveexec_b32 s15, s14
	s_cbranch_execz .LBB0_3111
; %bb.3110:                             ;   in Loop: Header=BB0_3107 Depth=2
	s_wait_loadcnt 0x0
	v_cmp_eq_u32_e64 s0, s6, v5
	v_cmp_eq_u32_e64 s1, s6, v7
	s_and_b32 s0, s0, s1
	s_delay_alu instid0(SALU_CYCLE_1)
	s_or_not1_b32 s1, s0, exec_lo
.LBB0_3111:                             ;   in Loop: Header=BB0_3107 Depth=2
	s_or_b32 exec_lo, exec_lo, s15
	s_delay_alu instid0(SALU_CYCLE_1) | instskip(NEXT) | instid1(SALU_CYCLE_1)
	s_and_b32 s0, exec_lo, s1
	s_or_b32 s13, s0, s13
	s_delay_alu instid0(SALU_CYCLE_1)
	s_and_not1_b32 exec_lo, exec_lo, s13
	s_cbranch_execnz .LBB0_3107
; %bb.3112:                             ;   in Loop: Header=BB0_3107 Depth=2
	s_or_b32 exec_lo, exec_lo, s13
	s_wait_loadcnt 0x0
	v_dual_mov_b32 v5, v6 :: v_dual_mov_b32 v14, 0
	s_mov_b32 s13, 0
	s_delay_alu instid0(VALU_DEP_1) | instskip(SKIP_1) | instid1(SALU_CYCLE_1)
	v_cmp_eq_u64_e64 s0, s[6:7], v[4:5]
	s_or_b32 s12, s0, s12
	s_and_not1_b32 exec_lo, exec_lo, s12
	s_cbranch_execnz .LBB0_3107
; %bb.3113:                             ;   in Loop: Header=BB0_1755 Depth=1
	s_or_b32 exec_lo, exec_lo, s12
	s_add_co_i32 s6, s4, 0xc2
	s_mov_b32 s1, s5
	s_bfe_u32 s0, s6, 0x100003
	v_dual_mov_b32 v0, s6 :: v_dual_mov_b32 v1, s6
	s_mulk_i32 s0, 0x20c5
	v_dual_mov_b32 v3, s6 :: v_dual_mov_b32 v14, 0
	s_lshr_b32 s0, s0, 20
	s_mov_b32 s7, s5
	s_mulk_i32 s0, 0x3e8
	s_mov_b32 s12, 0
	s_sub_co_i32 s0, s6, s0
	s_delay_alu instid0(SALU_CYCLE_1) | instskip(NEXT) | instid1(SALU_CYCLE_1)
	s_and_b32 s0, s0, 0xffff
	s_lshl_b32 s0, s0, 12
	s_delay_alu instid0(SALU_CYCLE_1)
	v_add_nc_u64_e32 v[4:5], s[0:1], v[10:11]
	v_add_nc_u64_e32 v[8:9], s[0:1], v[12:13]
	global_store_b128 v[4:5], v[0:3], off th:TH_STORE_NT
.LBB0_3114:                             ;   Parent Loop BB0_1755 Depth=1
                                        ; =>  This Inner Loop Header: Depth=2
	s_wait_loadcnt 0x0
	global_load_b128 v[4:7], v[8:9], off th:TH_LOAD_NT
	v_add_nc_u32_e32 v14, 1, v14
	s_mov_b32 s1, -1
	s_mov_b32 s14, -1
	s_mov_b32 s15, exec_lo
	s_wait_xcnt 0x0
	v_cmpx_eq_u32_e32 0xf4240, v14
	s_cbranch_execz .LBB0_3116
; %bb.3115:                             ;   in Loop: Header=BB0_3114 Depth=2
	s_wait_loadcnt 0x0
	s_wait_storecnt 0x0
	global_load_b32 v0, v2, s[10:11] scope:SCOPE_SYS
	s_wait_loadcnt 0x0
	global_inv scope:SCOPE_SYS
	v_mov_b32_e32 v14, 0
	v_cmp_eq_u32_e64 s0, 0, v0
	s_or_not1_b32 s14, s0, exec_lo
.LBB0_3116:                             ;   in Loop: Header=BB0_3114 Depth=2
	s_wait_xcnt 0x0
	s_or_b32 exec_lo, exec_lo, s15
	s_and_saveexec_b32 s15, s14
	s_cbranch_execz .LBB0_3118
; %bb.3117:                             ;   in Loop: Header=BB0_3114 Depth=2
	s_wait_loadcnt 0x0
	v_cmp_eq_u32_e64 s0, s6, v5
	v_cmp_eq_u32_e64 s1, s6, v7
	s_and_b32 s0, s0, s1
	s_delay_alu instid0(SALU_CYCLE_1)
	s_or_not1_b32 s1, s0, exec_lo
.LBB0_3118:                             ;   in Loop: Header=BB0_3114 Depth=2
	s_or_b32 exec_lo, exec_lo, s15
	s_delay_alu instid0(SALU_CYCLE_1) | instskip(NEXT) | instid1(SALU_CYCLE_1)
	s_and_b32 s0, exec_lo, s1
	s_or_b32 s13, s0, s13
	s_delay_alu instid0(SALU_CYCLE_1)
	s_and_not1_b32 exec_lo, exec_lo, s13
	s_cbranch_execnz .LBB0_3114
; %bb.3119:                             ;   in Loop: Header=BB0_3114 Depth=2
	s_or_b32 exec_lo, exec_lo, s13
	s_wait_loadcnt 0x0
	v_dual_mov_b32 v5, v6 :: v_dual_mov_b32 v14, 0
	s_mov_b32 s13, 0
	s_delay_alu instid0(VALU_DEP_1) | instskip(SKIP_1) | instid1(SALU_CYCLE_1)
	v_cmp_eq_u64_e64 s0, s[6:7], v[4:5]
	s_or_b32 s12, s0, s12
	s_and_not1_b32 exec_lo, exec_lo, s12
	s_cbranch_execnz .LBB0_3114
; %bb.3120:                             ;   in Loop: Header=BB0_1755 Depth=1
	s_or_b32 exec_lo, exec_lo, s12
	s_add_co_i32 s6, s4, 0xc3
	s_mov_b32 s1, s5
	s_bfe_u32 s0, s6, 0x100003
	v_dual_mov_b32 v0, s6 :: v_dual_mov_b32 v1, s6
	s_mulk_i32 s0, 0x20c5
	v_dual_mov_b32 v3, s6 :: v_dual_mov_b32 v14, 0
	s_lshr_b32 s0, s0, 20
	s_mov_b32 s7, s5
	s_mulk_i32 s0, 0x3e8
	s_mov_b32 s12, 0
	s_sub_co_i32 s0, s6, s0
	s_delay_alu instid0(SALU_CYCLE_1) | instskip(NEXT) | instid1(SALU_CYCLE_1)
	s_and_b32 s0, s0, 0xffff
	s_lshl_b32 s0, s0, 12
	s_delay_alu instid0(SALU_CYCLE_1)
	v_add_nc_u64_e32 v[4:5], s[0:1], v[10:11]
	v_add_nc_u64_e32 v[8:9], s[0:1], v[12:13]
	global_store_b128 v[4:5], v[0:3], off th:TH_STORE_NT
.LBB0_3121:                             ;   Parent Loop BB0_1755 Depth=1
                                        ; =>  This Inner Loop Header: Depth=2
	s_wait_loadcnt 0x0
	global_load_b128 v[4:7], v[8:9], off th:TH_LOAD_NT
	v_add_nc_u32_e32 v14, 1, v14
	s_mov_b32 s1, -1
	s_mov_b32 s14, -1
	s_mov_b32 s15, exec_lo
	s_wait_xcnt 0x0
	v_cmpx_eq_u32_e32 0xf4240, v14
	s_cbranch_execz .LBB0_3123
; %bb.3122:                             ;   in Loop: Header=BB0_3121 Depth=2
	s_wait_loadcnt 0x0
	s_wait_storecnt 0x0
	global_load_b32 v0, v2, s[10:11] scope:SCOPE_SYS
	s_wait_loadcnt 0x0
	global_inv scope:SCOPE_SYS
	v_mov_b32_e32 v14, 0
	v_cmp_eq_u32_e64 s0, 0, v0
	s_or_not1_b32 s14, s0, exec_lo
.LBB0_3123:                             ;   in Loop: Header=BB0_3121 Depth=2
	s_wait_xcnt 0x0
	s_or_b32 exec_lo, exec_lo, s15
	s_and_saveexec_b32 s15, s14
	s_cbranch_execz .LBB0_3125
; %bb.3124:                             ;   in Loop: Header=BB0_3121 Depth=2
	s_wait_loadcnt 0x0
	v_cmp_eq_u32_e64 s0, s6, v5
	v_cmp_eq_u32_e64 s1, s6, v7
	s_and_b32 s0, s0, s1
	s_delay_alu instid0(SALU_CYCLE_1)
	s_or_not1_b32 s1, s0, exec_lo
.LBB0_3125:                             ;   in Loop: Header=BB0_3121 Depth=2
	s_or_b32 exec_lo, exec_lo, s15
	s_delay_alu instid0(SALU_CYCLE_1) | instskip(NEXT) | instid1(SALU_CYCLE_1)
	s_and_b32 s0, exec_lo, s1
	s_or_b32 s13, s0, s13
	s_delay_alu instid0(SALU_CYCLE_1)
	s_and_not1_b32 exec_lo, exec_lo, s13
	s_cbranch_execnz .LBB0_3121
; %bb.3126:                             ;   in Loop: Header=BB0_3121 Depth=2
	s_or_b32 exec_lo, exec_lo, s13
	s_wait_loadcnt 0x0
	v_dual_mov_b32 v5, v6 :: v_dual_mov_b32 v14, 0
	s_mov_b32 s13, 0
	s_delay_alu instid0(VALU_DEP_1) | instskip(SKIP_1) | instid1(SALU_CYCLE_1)
	v_cmp_eq_u64_e64 s0, s[6:7], v[4:5]
	s_or_b32 s12, s0, s12
	s_and_not1_b32 exec_lo, exec_lo, s12
	s_cbranch_execnz .LBB0_3121
; %bb.3127:                             ;   in Loop: Header=BB0_1755 Depth=1
	s_or_b32 exec_lo, exec_lo, s12
	s_add_co_i32 s6, s4, 0xc4
	s_mov_b32 s1, s5
	s_bfe_u32 s0, s6, 0x100003
	v_dual_mov_b32 v0, s6 :: v_dual_mov_b32 v1, s6
	s_mulk_i32 s0, 0x20c5
	v_dual_mov_b32 v3, s6 :: v_dual_mov_b32 v14, 0
	s_lshr_b32 s0, s0, 20
	s_mov_b32 s7, s5
	s_mulk_i32 s0, 0x3e8
	s_mov_b32 s12, 0
	s_sub_co_i32 s0, s6, s0
	s_delay_alu instid0(SALU_CYCLE_1) | instskip(NEXT) | instid1(SALU_CYCLE_1)
	s_and_b32 s0, s0, 0xffff
	s_lshl_b32 s0, s0, 12
	s_delay_alu instid0(SALU_CYCLE_1)
	v_add_nc_u64_e32 v[4:5], s[0:1], v[10:11]
	v_add_nc_u64_e32 v[8:9], s[0:1], v[12:13]
	global_store_b128 v[4:5], v[0:3], off th:TH_STORE_NT
.LBB0_3128:                             ;   Parent Loop BB0_1755 Depth=1
                                        ; =>  This Inner Loop Header: Depth=2
	s_wait_loadcnt 0x0
	global_load_b128 v[4:7], v[8:9], off th:TH_LOAD_NT
	v_add_nc_u32_e32 v14, 1, v14
	s_mov_b32 s1, -1
	s_mov_b32 s14, -1
	s_mov_b32 s15, exec_lo
	s_wait_xcnt 0x0
	v_cmpx_eq_u32_e32 0xf4240, v14
	s_cbranch_execz .LBB0_3130
; %bb.3129:                             ;   in Loop: Header=BB0_3128 Depth=2
	s_wait_loadcnt 0x0
	s_wait_storecnt 0x0
	global_load_b32 v0, v2, s[10:11] scope:SCOPE_SYS
	s_wait_loadcnt 0x0
	global_inv scope:SCOPE_SYS
	v_mov_b32_e32 v14, 0
	v_cmp_eq_u32_e64 s0, 0, v0
	s_or_not1_b32 s14, s0, exec_lo
.LBB0_3130:                             ;   in Loop: Header=BB0_3128 Depth=2
	s_wait_xcnt 0x0
	s_or_b32 exec_lo, exec_lo, s15
	s_and_saveexec_b32 s15, s14
	s_cbranch_execz .LBB0_3132
; %bb.3131:                             ;   in Loop: Header=BB0_3128 Depth=2
	s_wait_loadcnt 0x0
	v_cmp_eq_u32_e64 s0, s6, v5
	v_cmp_eq_u32_e64 s1, s6, v7
	s_and_b32 s0, s0, s1
	s_delay_alu instid0(SALU_CYCLE_1)
	s_or_not1_b32 s1, s0, exec_lo
.LBB0_3132:                             ;   in Loop: Header=BB0_3128 Depth=2
	s_or_b32 exec_lo, exec_lo, s15
	s_delay_alu instid0(SALU_CYCLE_1) | instskip(NEXT) | instid1(SALU_CYCLE_1)
	s_and_b32 s0, exec_lo, s1
	s_or_b32 s13, s0, s13
	s_delay_alu instid0(SALU_CYCLE_1)
	s_and_not1_b32 exec_lo, exec_lo, s13
	s_cbranch_execnz .LBB0_3128
; %bb.3133:                             ;   in Loop: Header=BB0_3128 Depth=2
	s_or_b32 exec_lo, exec_lo, s13
	s_wait_loadcnt 0x0
	v_dual_mov_b32 v5, v6 :: v_dual_mov_b32 v14, 0
	s_mov_b32 s13, 0
	s_delay_alu instid0(VALU_DEP_1) | instskip(SKIP_1) | instid1(SALU_CYCLE_1)
	v_cmp_eq_u64_e64 s0, s[6:7], v[4:5]
	s_or_b32 s12, s0, s12
	s_and_not1_b32 exec_lo, exec_lo, s12
	s_cbranch_execnz .LBB0_3128
; %bb.3134:                             ;   in Loop: Header=BB0_1755 Depth=1
	s_or_b32 exec_lo, exec_lo, s12
	s_add_co_i32 s6, s4, 0xc5
	s_mov_b32 s1, s5
	s_bfe_u32 s0, s6, 0x100003
	v_dual_mov_b32 v0, s6 :: v_dual_mov_b32 v1, s6
	s_mulk_i32 s0, 0x20c5
	v_dual_mov_b32 v3, s6 :: v_dual_mov_b32 v14, 0
	s_lshr_b32 s0, s0, 20
	s_mov_b32 s7, s5
	s_mulk_i32 s0, 0x3e8
	s_mov_b32 s12, 0
	s_sub_co_i32 s0, s6, s0
	s_delay_alu instid0(SALU_CYCLE_1) | instskip(NEXT) | instid1(SALU_CYCLE_1)
	s_and_b32 s0, s0, 0xffff
	s_lshl_b32 s0, s0, 12
	s_delay_alu instid0(SALU_CYCLE_1)
	v_add_nc_u64_e32 v[4:5], s[0:1], v[10:11]
	v_add_nc_u64_e32 v[8:9], s[0:1], v[12:13]
	global_store_b128 v[4:5], v[0:3], off th:TH_STORE_NT
.LBB0_3135:                             ;   Parent Loop BB0_1755 Depth=1
                                        ; =>  This Inner Loop Header: Depth=2
	s_wait_loadcnt 0x0
	global_load_b128 v[4:7], v[8:9], off th:TH_LOAD_NT
	v_add_nc_u32_e32 v14, 1, v14
	s_mov_b32 s1, -1
	s_mov_b32 s14, -1
	s_mov_b32 s15, exec_lo
	s_wait_xcnt 0x0
	v_cmpx_eq_u32_e32 0xf4240, v14
	s_cbranch_execz .LBB0_3137
; %bb.3136:                             ;   in Loop: Header=BB0_3135 Depth=2
	s_wait_loadcnt 0x0
	s_wait_storecnt 0x0
	global_load_b32 v0, v2, s[10:11] scope:SCOPE_SYS
	s_wait_loadcnt 0x0
	global_inv scope:SCOPE_SYS
	v_mov_b32_e32 v14, 0
	v_cmp_eq_u32_e64 s0, 0, v0
	s_or_not1_b32 s14, s0, exec_lo
.LBB0_3137:                             ;   in Loop: Header=BB0_3135 Depth=2
	s_wait_xcnt 0x0
	s_or_b32 exec_lo, exec_lo, s15
	s_and_saveexec_b32 s15, s14
	s_cbranch_execz .LBB0_3139
; %bb.3138:                             ;   in Loop: Header=BB0_3135 Depth=2
	s_wait_loadcnt 0x0
	v_cmp_eq_u32_e64 s0, s6, v5
	v_cmp_eq_u32_e64 s1, s6, v7
	s_and_b32 s0, s0, s1
	s_delay_alu instid0(SALU_CYCLE_1)
	s_or_not1_b32 s1, s0, exec_lo
.LBB0_3139:                             ;   in Loop: Header=BB0_3135 Depth=2
	s_or_b32 exec_lo, exec_lo, s15
	s_delay_alu instid0(SALU_CYCLE_1) | instskip(NEXT) | instid1(SALU_CYCLE_1)
	s_and_b32 s0, exec_lo, s1
	s_or_b32 s13, s0, s13
	s_delay_alu instid0(SALU_CYCLE_1)
	s_and_not1_b32 exec_lo, exec_lo, s13
	s_cbranch_execnz .LBB0_3135
; %bb.3140:                             ;   in Loop: Header=BB0_3135 Depth=2
	s_or_b32 exec_lo, exec_lo, s13
	s_wait_loadcnt 0x0
	v_dual_mov_b32 v5, v6 :: v_dual_mov_b32 v14, 0
	s_mov_b32 s13, 0
	s_delay_alu instid0(VALU_DEP_1) | instskip(SKIP_1) | instid1(SALU_CYCLE_1)
	v_cmp_eq_u64_e64 s0, s[6:7], v[4:5]
	s_or_b32 s12, s0, s12
	s_and_not1_b32 exec_lo, exec_lo, s12
	s_cbranch_execnz .LBB0_3135
; %bb.3141:                             ;   in Loop: Header=BB0_1755 Depth=1
	s_or_b32 exec_lo, exec_lo, s12
	s_add_co_i32 s6, s4, 0xc6
	s_mov_b32 s1, s5
	s_bfe_u32 s0, s6, 0x100003
	v_dual_mov_b32 v0, s6 :: v_dual_mov_b32 v1, s6
	s_mulk_i32 s0, 0x20c5
	v_dual_mov_b32 v3, s6 :: v_dual_mov_b32 v14, 0
	s_lshr_b32 s0, s0, 20
	s_mov_b32 s7, s5
	s_mulk_i32 s0, 0x3e8
	s_mov_b32 s12, 0
	s_sub_co_i32 s0, s6, s0
	s_delay_alu instid0(SALU_CYCLE_1) | instskip(NEXT) | instid1(SALU_CYCLE_1)
	s_and_b32 s0, s0, 0xffff
	s_lshl_b32 s0, s0, 12
	s_delay_alu instid0(SALU_CYCLE_1)
	v_add_nc_u64_e32 v[4:5], s[0:1], v[10:11]
	v_add_nc_u64_e32 v[8:9], s[0:1], v[12:13]
	global_store_b128 v[4:5], v[0:3], off th:TH_STORE_NT
.LBB0_3142:                             ;   Parent Loop BB0_1755 Depth=1
                                        ; =>  This Inner Loop Header: Depth=2
	s_wait_loadcnt 0x0
	global_load_b128 v[4:7], v[8:9], off th:TH_LOAD_NT
	v_add_nc_u32_e32 v14, 1, v14
	s_mov_b32 s1, -1
	s_mov_b32 s14, -1
	s_mov_b32 s15, exec_lo
	s_wait_xcnt 0x0
	v_cmpx_eq_u32_e32 0xf4240, v14
	s_cbranch_execz .LBB0_3144
; %bb.3143:                             ;   in Loop: Header=BB0_3142 Depth=2
	s_wait_loadcnt 0x0
	s_wait_storecnt 0x0
	global_load_b32 v0, v2, s[10:11] scope:SCOPE_SYS
	s_wait_loadcnt 0x0
	global_inv scope:SCOPE_SYS
	v_mov_b32_e32 v14, 0
	v_cmp_eq_u32_e64 s0, 0, v0
	s_or_not1_b32 s14, s0, exec_lo
.LBB0_3144:                             ;   in Loop: Header=BB0_3142 Depth=2
	s_wait_xcnt 0x0
	s_or_b32 exec_lo, exec_lo, s15
	s_and_saveexec_b32 s15, s14
	s_cbranch_execz .LBB0_3146
; %bb.3145:                             ;   in Loop: Header=BB0_3142 Depth=2
	s_wait_loadcnt 0x0
	v_cmp_eq_u32_e64 s0, s6, v5
	v_cmp_eq_u32_e64 s1, s6, v7
	s_and_b32 s0, s0, s1
	s_delay_alu instid0(SALU_CYCLE_1)
	s_or_not1_b32 s1, s0, exec_lo
.LBB0_3146:                             ;   in Loop: Header=BB0_3142 Depth=2
	s_or_b32 exec_lo, exec_lo, s15
	s_delay_alu instid0(SALU_CYCLE_1) | instskip(NEXT) | instid1(SALU_CYCLE_1)
	s_and_b32 s0, exec_lo, s1
	s_or_b32 s13, s0, s13
	s_delay_alu instid0(SALU_CYCLE_1)
	s_and_not1_b32 exec_lo, exec_lo, s13
	s_cbranch_execnz .LBB0_3142
; %bb.3147:                             ;   in Loop: Header=BB0_3142 Depth=2
	s_or_b32 exec_lo, exec_lo, s13
	s_wait_loadcnt 0x0
	v_dual_mov_b32 v5, v6 :: v_dual_mov_b32 v14, 0
	s_mov_b32 s13, 0
	s_delay_alu instid0(VALU_DEP_1) | instskip(SKIP_1) | instid1(SALU_CYCLE_1)
	v_cmp_eq_u64_e64 s0, s[6:7], v[4:5]
	s_or_b32 s12, s0, s12
	s_and_not1_b32 exec_lo, exec_lo, s12
	s_cbranch_execnz .LBB0_3142
; %bb.3148:                             ;   in Loop: Header=BB0_1755 Depth=1
	s_or_b32 exec_lo, exec_lo, s12
	s_add_co_i32 s6, s4, 0xc7
	s_mov_b32 s1, s5
	s_bfe_u32 s0, s6, 0x100003
	v_dual_mov_b32 v0, s6 :: v_dual_mov_b32 v1, s6
	s_mulk_i32 s0, 0x20c5
	v_dual_mov_b32 v3, s6 :: v_dual_mov_b32 v14, 0
	s_lshr_b32 s0, s0, 20
	s_mov_b32 s7, s5
	s_mulk_i32 s0, 0x3e8
	s_mov_b32 s12, 0
	s_sub_co_i32 s0, s6, s0
	s_delay_alu instid0(SALU_CYCLE_1) | instskip(NEXT) | instid1(SALU_CYCLE_1)
	s_and_b32 s0, s0, 0xffff
	s_lshl_b32 s0, s0, 12
	s_delay_alu instid0(SALU_CYCLE_1)
	v_add_nc_u64_e32 v[4:5], s[0:1], v[10:11]
	v_add_nc_u64_e32 v[8:9], s[0:1], v[12:13]
	global_store_b128 v[4:5], v[0:3], off th:TH_STORE_NT
.LBB0_3149:                             ;   Parent Loop BB0_1755 Depth=1
                                        ; =>  This Inner Loop Header: Depth=2
	s_wait_loadcnt 0x0
	global_load_b128 v[4:7], v[8:9], off th:TH_LOAD_NT
	v_add_nc_u32_e32 v14, 1, v14
	s_mov_b32 s1, -1
	s_mov_b32 s14, -1
	s_mov_b32 s15, exec_lo
	s_wait_xcnt 0x0
	v_cmpx_eq_u32_e32 0xf4240, v14
	s_cbranch_execz .LBB0_3151
; %bb.3150:                             ;   in Loop: Header=BB0_3149 Depth=2
	s_wait_loadcnt 0x0
	s_wait_storecnt 0x0
	global_load_b32 v0, v2, s[10:11] scope:SCOPE_SYS
	s_wait_loadcnt 0x0
	global_inv scope:SCOPE_SYS
	v_mov_b32_e32 v14, 0
	v_cmp_eq_u32_e64 s0, 0, v0
	s_or_not1_b32 s14, s0, exec_lo
.LBB0_3151:                             ;   in Loop: Header=BB0_3149 Depth=2
	s_wait_xcnt 0x0
	s_or_b32 exec_lo, exec_lo, s15
	s_and_saveexec_b32 s15, s14
	s_cbranch_execz .LBB0_3153
; %bb.3152:                             ;   in Loop: Header=BB0_3149 Depth=2
	s_wait_loadcnt 0x0
	v_cmp_eq_u32_e64 s0, s6, v5
	v_cmp_eq_u32_e64 s1, s6, v7
	s_and_b32 s0, s0, s1
	s_delay_alu instid0(SALU_CYCLE_1)
	s_or_not1_b32 s1, s0, exec_lo
.LBB0_3153:                             ;   in Loop: Header=BB0_3149 Depth=2
	s_or_b32 exec_lo, exec_lo, s15
	s_delay_alu instid0(SALU_CYCLE_1) | instskip(NEXT) | instid1(SALU_CYCLE_1)
	s_and_b32 s0, exec_lo, s1
	s_or_b32 s13, s0, s13
	s_delay_alu instid0(SALU_CYCLE_1)
	s_and_not1_b32 exec_lo, exec_lo, s13
	s_cbranch_execnz .LBB0_3149
; %bb.3154:                             ;   in Loop: Header=BB0_3149 Depth=2
	s_or_b32 exec_lo, exec_lo, s13
	s_wait_loadcnt 0x0
	v_dual_mov_b32 v5, v6 :: v_dual_mov_b32 v14, 0
	s_mov_b32 s13, 0
	s_delay_alu instid0(VALU_DEP_1) | instskip(SKIP_1) | instid1(SALU_CYCLE_1)
	v_cmp_eq_u64_e64 s0, s[6:7], v[4:5]
	s_or_b32 s12, s0, s12
	s_and_not1_b32 exec_lo, exec_lo, s12
	s_cbranch_execnz .LBB0_3149
; %bb.3155:                             ;   in Loop: Header=BB0_1755 Depth=1
	s_or_b32 exec_lo, exec_lo, s12
	s_add_co_i32 s6, s4, 0xc8
	s_mov_b32 s1, s5
	s_bfe_u32 s0, s6, 0x100003
	v_dual_mov_b32 v0, s6 :: v_dual_mov_b32 v1, s6
	s_mulk_i32 s0, 0x20c5
	v_dual_mov_b32 v3, s6 :: v_dual_mov_b32 v14, 0
	s_lshr_b32 s0, s0, 20
	s_mov_b32 s7, s5
	s_mulk_i32 s0, 0x3e8
	s_mov_b32 s12, 0
	s_sub_co_i32 s0, s6, s0
	s_delay_alu instid0(SALU_CYCLE_1) | instskip(NEXT) | instid1(SALU_CYCLE_1)
	s_and_b32 s0, s0, 0xffff
	s_lshl_b32 s0, s0, 12
	s_delay_alu instid0(SALU_CYCLE_1)
	v_add_nc_u64_e32 v[4:5], s[0:1], v[10:11]
	v_add_nc_u64_e32 v[8:9], s[0:1], v[12:13]
	global_store_b128 v[4:5], v[0:3], off th:TH_STORE_NT
.LBB0_3156:                             ;   Parent Loop BB0_1755 Depth=1
                                        ; =>  This Inner Loop Header: Depth=2
	s_wait_loadcnt 0x0
	global_load_b128 v[4:7], v[8:9], off th:TH_LOAD_NT
	v_add_nc_u32_e32 v14, 1, v14
	s_mov_b32 s1, -1
	s_mov_b32 s14, -1
	s_mov_b32 s15, exec_lo
	s_wait_xcnt 0x0
	v_cmpx_eq_u32_e32 0xf4240, v14
	s_cbranch_execz .LBB0_3158
; %bb.3157:                             ;   in Loop: Header=BB0_3156 Depth=2
	s_wait_loadcnt 0x0
	s_wait_storecnt 0x0
	global_load_b32 v0, v2, s[10:11] scope:SCOPE_SYS
	s_wait_loadcnt 0x0
	global_inv scope:SCOPE_SYS
	v_mov_b32_e32 v14, 0
	v_cmp_eq_u32_e64 s0, 0, v0
	s_or_not1_b32 s14, s0, exec_lo
.LBB0_3158:                             ;   in Loop: Header=BB0_3156 Depth=2
	s_wait_xcnt 0x0
	s_or_b32 exec_lo, exec_lo, s15
	s_and_saveexec_b32 s15, s14
	s_cbranch_execz .LBB0_3160
; %bb.3159:                             ;   in Loop: Header=BB0_3156 Depth=2
	s_wait_loadcnt 0x0
	v_cmp_eq_u32_e64 s0, s6, v5
	v_cmp_eq_u32_e64 s1, s6, v7
	s_and_b32 s0, s0, s1
	s_delay_alu instid0(SALU_CYCLE_1)
	s_or_not1_b32 s1, s0, exec_lo
.LBB0_3160:                             ;   in Loop: Header=BB0_3156 Depth=2
	s_or_b32 exec_lo, exec_lo, s15
	s_delay_alu instid0(SALU_CYCLE_1) | instskip(NEXT) | instid1(SALU_CYCLE_1)
	s_and_b32 s0, exec_lo, s1
	s_or_b32 s13, s0, s13
	s_delay_alu instid0(SALU_CYCLE_1)
	s_and_not1_b32 exec_lo, exec_lo, s13
	s_cbranch_execnz .LBB0_3156
; %bb.3161:                             ;   in Loop: Header=BB0_3156 Depth=2
	s_or_b32 exec_lo, exec_lo, s13
	s_wait_loadcnt 0x0
	v_dual_mov_b32 v5, v6 :: v_dual_mov_b32 v14, 0
	s_mov_b32 s13, 0
	s_delay_alu instid0(VALU_DEP_1) | instskip(SKIP_1) | instid1(SALU_CYCLE_1)
	v_cmp_eq_u64_e64 s0, s[6:7], v[4:5]
	s_or_b32 s12, s0, s12
	s_and_not1_b32 exec_lo, exec_lo, s12
	s_cbranch_execnz .LBB0_3156
; %bb.3162:                             ;   in Loop: Header=BB0_1755 Depth=1
	s_or_b32 exec_lo, exec_lo, s12
	s_add_co_i32 s6, s4, 0xc9
	s_mov_b32 s1, s5
	s_bfe_u32 s0, s6, 0x100003
	v_dual_mov_b32 v0, s6 :: v_dual_mov_b32 v1, s6
	s_mulk_i32 s0, 0x20c5
	v_dual_mov_b32 v3, s6 :: v_dual_mov_b32 v14, 0
	s_lshr_b32 s0, s0, 20
	s_mov_b32 s7, s5
	s_mulk_i32 s0, 0x3e8
	s_mov_b32 s12, 0
	s_sub_co_i32 s0, s6, s0
	s_delay_alu instid0(SALU_CYCLE_1) | instskip(NEXT) | instid1(SALU_CYCLE_1)
	s_and_b32 s0, s0, 0xffff
	s_lshl_b32 s0, s0, 12
	s_delay_alu instid0(SALU_CYCLE_1)
	v_add_nc_u64_e32 v[4:5], s[0:1], v[10:11]
	v_add_nc_u64_e32 v[8:9], s[0:1], v[12:13]
	global_store_b128 v[4:5], v[0:3], off th:TH_STORE_NT
.LBB0_3163:                             ;   Parent Loop BB0_1755 Depth=1
                                        ; =>  This Inner Loop Header: Depth=2
	s_wait_loadcnt 0x0
	global_load_b128 v[4:7], v[8:9], off th:TH_LOAD_NT
	v_add_nc_u32_e32 v14, 1, v14
	s_mov_b32 s1, -1
	s_mov_b32 s14, -1
	s_mov_b32 s15, exec_lo
	s_wait_xcnt 0x0
	v_cmpx_eq_u32_e32 0xf4240, v14
	s_cbranch_execz .LBB0_3165
; %bb.3164:                             ;   in Loop: Header=BB0_3163 Depth=2
	s_wait_loadcnt 0x0
	s_wait_storecnt 0x0
	global_load_b32 v0, v2, s[10:11] scope:SCOPE_SYS
	s_wait_loadcnt 0x0
	global_inv scope:SCOPE_SYS
	v_mov_b32_e32 v14, 0
	v_cmp_eq_u32_e64 s0, 0, v0
	s_or_not1_b32 s14, s0, exec_lo
.LBB0_3165:                             ;   in Loop: Header=BB0_3163 Depth=2
	s_wait_xcnt 0x0
	s_or_b32 exec_lo, exec_lo, s15
	s_and_saveexec_b32 s15, s14
	s_cbranch_execz .LBB0_3167
; %bb.3166:                             ;   in Loop: Header=BB0_3163 Depth=2
	s_wait_loadcnt 0x0
	v_cmp_eq_u32_e64 s0, s6, v5
	v_cmp_eq_u32_e64 s1, s6, v7
	s_and_b32 s0, s0, s1
	s_delay_alu instid0(SALU_CYCLE_1)
	s_or_not1_b32 s1, s0, exec_lo
.LBB0_3167:                             ;   in Loop: Header=BB0_3163 Depth=2
	s_or_b32 exec_lo, exec_lo, s15
	s_delay_alu instid0(SALU_CYCLE_1) | instskip(NEXT) | instid1(SALU_CYCLE_1)
	s_and_b32 s0, exec_lo, s1
	s_or_b32 s13, s0, s13
	s_delay_alu instid0(SALU_CYCLE_1)
	s_and_not1_b32 exec_lo, exec_lo, s13
	s_cbranch_execnz .LBB0_3163
; %bb.3168:                             ;   in Loop: Header=BB0_3163 Depth=2
	s_or_b32 exec_lo, exec_lo, s13
	s_wait_loadcnt 0x0
	v_dual_mov_b32 v5, v6 :: v_dual_mov_b32 v14, 0
	s_mov_b32 s13, 0
	s_delay_alu instid0(VALU_DEP_1) | instskip(SKIP_1) | instid1(SALU_CYCLE_1)
	v_cmp_eq_u64_e64 s0, s[6:7], v[4:5]
	s_or_b32 s12, s0, s12
	s_and_not1_b32 exec_lo, exec_lo, s12
	s_cbranch_execnz .LBB0_3163
; %bb.3169:                             ;   in Loop: Header=BB0_1755 Depth=1
	s_or_b32 exec_lo, exec_lo, s12
	s_add_co_i32 s6, s4, 0xca
	s_mov_b32 s1, s5
	s_bfe_u32 s0, s6, 0x100003
	v_dual_mov_b32 v0, s6 :: v_dual_mov_b32 v1, s6
	s_mulk_i32 s0, 0x20c5
	v_dual_mov_b32 v3, s6 :: v_dual_mov_b32 v14, 0
	s_lshr_b32 s0, s0, 20
	s_mov_b32 s7, s5
	s_mulk_i32 s0, 0x3e8
	s_mov_b32 s12, 0
	s_sub_co_i32 s0, s6, s0
	s_delay_alu instid0(SALU_CYCLE_1) | instskip(NEXT) | instid1(SALU_CYCLE_1)
	s_and_b32 s0, s0, 0xffff
	s_lshl_b32 s0, s0, 12
	s_delay_alu instid0(SALU_CYCLE_1)
	v_add_nc_u64_e32 v[4:5], s[0:1], v[10:11]
	v_add_nc_u64_e32 v[8:9], s[0:1], v[12:13]
	global_store_b128 v[4:5], v[0:3], off th:TH_STORE_NT
.LBB0_3170:                             ;   Parent Loop BB0_1755 Depth=1
                                        ; =>  This Inner Loop Header: Depth=2
	s_wait_loadcnt 0x0
	global_load_b128 v[4:7], v[8:9], off th:TH_LOAD_NT
	v_add_nc_u32_e32 v14, 1, v14
	s_mov_b32 s1, -1
	s_mov_b32 s14, -1
	s_mov_b32 s15, exec_lo
	s_wait_xcnt 0x0
	v_cmpx_eq_u32_e32 0xf4240, v14
	s_cbranch_execz .LBB0_3172
; %bb.3171:                             ;   in Loop: Header=BB0_3170 Depth=2
	s_wait_loadcnt 0x0
	s_wait_storecnt 0x0
	global_load_b32 v0, v2, s[10:11] scope:SCOPE_SYS
	s_wait_loadcnt 0x0
	global_inv scope:SCOPE_SYS
	v_mov_b32_e32 v14, 0
	v_cmp_eq_u32_e64 s0, 0, v0
	s_or_not1_b32 s14, s0, exec_lo
.LBB0_3172:                             ;   in Loop: Header=BB0_3170 Depth=2
	s_wait_xcnt 0x0
	s_or_b32 exec_lo, exec_lo, s15
	s_and_saveexec_b32 s15, s14
	s_cbranch_execz .LBB0_3174
; %bb.3173:                             ;   in Loop: Header=BB0_3170 Depth=2
	s_wait_loadcnt 0x0
	v_cmp_eq_u32_e64 s0, s6, v5
	v_cmp_eq_u32_e64 s1, s6, v7
	s_and_b32 s0, s0, s1
	s_delay_alu instid0(SALU_CYCLE_1)
	s_or_not1_b32 s1, s0, exec_lo
.LBB0_3174:                             ;   in Loop: Header=BB0_3170 Depth=2
	s_or_b32 exec_lo, exec_lo, s15
	s_delay_alu instid0(SALU_CYCLE_1) | instskip(NEXT) | instid1(SALU_CYCLE_1)
	s_and_b32 s0, exec_lo, s1
	s_or_b32 s13, s0, s13
	s_delay_alu instid0(SALU_CYCLE_1)
	s_and_not1_b32 exec_lo, exec_lo, s13
	s_cbranch_execnz .LBB0_3170
; %bb.3175:                             ;   in Loop: Header=BB0_3170 Depth=2
	s_or_b32 exec_lo, exec_lo, s13
	s_wait_loadcnt 0x0
	v_dual_mov_b32 v5, v6 :: v_dual_mov_b32 v14, 0
	s_mov_b32 s13, 0
	s_delay_alu instid0(VALU_DEP_1) | instskip(SKIP_1) | instid1(SALU_CYCLE_1)
	v_cmp_eq_u64_e64 s0, s[6:7], v[4:5]
	s_or_b32 s12, s0, s12
	s_and_not1_b32 exec_lo, exec_lo, s12
	s_cbranch_execnz .LBB0_3170
; %bb.3176:                             ;   in Loop: Header=BB0_1755 Depth=1
	s_or_b32 exec_lo, exec_lo, s12
	s_add_co_i32 s6, s4, 0xcb
	s_mov_b32 s1, s5
	s_bfe_u32 s0, s6, 0x100003
	v_dual_mov_b32 v0, s6 :: v_dual_mov_b32 v1, s6
	s_mulk_i32 s0, 0x20c5
	v_dual_mov_b32 v3, s6 :: v_dual_mov_b32 v14, 0
	s_lshr_b32 s0, s0, 20
	s_mov_b32 s7, s5
	s_mulk_i32 s0, 0x3e8
	s_mov_b32 s12, 0
	s_sub_co_i32 s0, s6, s0
	s_delay_alu instid0(SALU_CYCLE_1) | instskip(NEXT) | instid1(SALU_CYCLE_1)
	s_and_b32 s0, s0, 0xffff
	s_lshl_b32 s0, s0, 12
	s_delay_alu instid0(SALU_CYCLE_1)
	v_add_nc_u64_e32 v[4:5], s[0:1], v[10:11]
	v_add_nc_u64_e32 v[8:9], s[0:1], v[12:13]
	global_store_b128 v[4:5], v[0:3], off th:TH_STORE_NT
.LBB0_3177:                             ;   Parent Loop BB0_1755 Depth=1
                                        ; =>  This Inner Loop Header: Depth=2
	s_wait_loadcnt 0x0
	global_load_b128 v[4:7], v[8:9], off th:TH_LOAD_NT
	v_add_nc_u32_e32 v14, 1, v14
	s_mov_b32 s1, -1
	s_mov_b32 s14, -1
	s_mov_b32 s15, exec_lo
	s_wait_xcnt 0x0
	v_cmpx_eq_u32_e32 0xf4240, v14
	s_cbranch_execz .LBB0_3179
; %bb.3178:                             ;   in Loop: Header=BB0_3177 Depth=2
	s_wait_loadcnt 0x0
	s_wait_storecnt 0x0
	global_load_b32 v0, v2, s[10:11] scope:SCOPE_SYS
	s_wait_loadcnt 0x0
	global_inv scope:SCOPE_SYS
	v_mov_b32_e32 v14, 0
	v_cmp_eq_u32_e64 s0, 0, v0
	s_or_not1_b32 s14, s0, exec_lo
.LBB0_3179:                             ;   in Loop: Header=BB0_3177 Depth=2
	s_wait_xcnt 0x0
	s_or_b32 exec_lo, exec_lo, s15
	s_and_saveexec_b32 s15, s14
	s_cbranch_execz .LBB0_3181
; %bb.3180:                             ;   in Loop: Header=BB0_3177 Depth=2
	s_wait_loadcnt 0x0
	v_cmp_eq_u32_e64 s0, s6, v5
	v_cmp_eq_u32_e64 s1, s6, v7
	s_and_b32 s0, s0, s1
	s_delay_alu instid0(SALU_CYCLE_1)
	s_or_not1_b32 s1, s0, exec_lo
.LBB0_3181:                             ;   in Loop: Header=BB0_3177 Depth=2
	s_or_b32 exec_lo, exec_lo, s15
	s_delay_alu instid0(SALU_CYCLE_1) | instskip(NEXT) | instid1(SALU_CYCLE_1)
	s_and_b32 s0, exec_lo, s1
	s_or_b32 s13, s0, s13
	s_delay_alu instid0(SALU_CYCLE_1)
	s_and_not1_b32 exec_lo, exec_lo, s13
	s_cbranch_execnz .LBB0_3177
; %bb.3182:                             ;   in Loop: Header=BB0_3177 Depth=2
	s_or_b32 exec_lo, exec_lo, s13
	s_wait_loadcnt 0x0
	v_dual_mov_b32 v5, v6 :: v_dual_mov_b32 v14, 0
	s_mov_b32 s13, 0
	s_delay_alu instid0(VALU_DEP_1) | instskip(SKIP_1) | instid1(SALU_CYCLE_1)
	v_cmp_eq_u64_e64 s0, s[6:7], v[4:5]
	s_or_b32 s12, s0, s12
	s_and_not1_b32 exec_lo, exec_lo, s12
	s_cbranch_execnz .LBB0_3177
; %bb.3183:                             ;   in Loop: Header=BB0_1755 Depth=1
	s_or_b32 exec_lo, exec_lo, s12
	s_add_co_i32 s6, s4, 0xcc
	s_mov_b32 s1, s5
	s_bfe_u32 s0, s6, 0x100003
	v_dual_mov_b32 v0, s6 :: v_dual_mov_b32 v1, s6
	s_mulk_i32 s0, 0x20c5
	v_dual_mov_b32 v3, s6 :: v_dual_mov_b32 v14, 0
	s_lshr_b32 s0, s0, 20
	s_mov_b32 s7, s5
	s_mulk_i32 s0, 0x3e8
	s_mov_b32 s12, 0
	s_sub_co_i32 s0, s6, s0
	s_delay_alu instid0(SALU_CYCLE_1) | instskip(NEXT) | instid1(SALU_CYCLE_1)
	s_and_b32 s0, s0, 0xffff
	s_lshl_b32 s0, s0, 12
	s_delay_alu instid0(SALU_CYCLE_1)
	v_add_nc_u64_e32 v[4:5], s[0:1], v[10:11]
	v_add_nc_u64_e32 v[8:9], s[0:1], v[12:13]
	global_store_b128 v[4:5], v[0:3], off th:TH_STORE_NT
.LBB0_3184:                             ;   Parent Loop BB0_1755 Depth=1
                                        ; =>  This Inner Loop Header: Depth=2
	s_wait_loadcnt 0x0
	global_load_b128 v[4:7], v[8:9], off th:TH_LOAD_NT
	v_add_nc_u32_e32 v14, 1, v14
	s_mov_b32 s1, -1
	s_mov_b32 s14, -1
	s_mov_b32 s15, exec_lo
	s_wait_xcnt 0x0
	v_cmpx_eq_u32_e32 0xf4240, v14
	s_cbranch_execz .LBB0_3186
; %bb.3185:                             ;   in Loop: Header=BB0_3184 Depth=2
	s_wait_loadcnt 0x0
	s_wait_storecnt 0x0
	global_load_b32 v0, v2, s[10:11] scope:SCOPE_SYS
	s_wait_loadcnt 0x0
	global_inv scope:SCOPE_SYS
	v_mov_b32_e32 v14, 0
	v_cmp_eq_u32_e64 s0, 0, v0
	s_or_not1_b32 s14, s0, exec_lo
.LBB0_3186:                             ;   in Loop: Header=BB0_3184 Depth=2
	s_wait_xcnt 0x0
	s_or_b32 exec_lo, exec_lo, s15
	s_and_saveexec_b32 s15, s14
	s_cbranch_execz .LBB0_3188
; %bb.3187:                             ;   in Loop: Header=BB0_3184 Depth=2
	s_wait_loadcnt 0x0
	v_cmp_eq_u32_e64 s0, s6, v5
	v_cmp_eq_u32_e64 s1, s6, v7
	s_and_b32 s0, s0, s1
	s_delay_alu instid0(SALU_CYCLE_1)
	s_or_not1_b32 s1, s0, exec_lo
.LBB0_3188:                             ;   in Loop: Header=BB0_3184 Depth=2
	s_or_b32 exec_lo, exec_lo, s15
	s_delay_alu instid0(SALU_CYCLE_1) | instskip(NEXT) | instid1(SALU_CYCLE_1)
	s_and_b32 s0, exec_lo, s1
	s_or_b32 s13, s0, s13
	s_delay_alu instid0(SALU_CYCLE_1)
	s_and_not1_b32 exec_lo, exec_lo, s13
	s_cbranch_execnz .LBB0_3184
; %bb.3189:                             ;   in Loop: Header=BB0_3184 Depth=2
	s_or_b32 exec_lo, exec_lo, s13
	s_wait_loadcnt 0x0
	v_dual_mov_b32 v5, v6 :: v_dual_mov_b32 v14, 0
	s_mov_b32 s13, 0
	s_delay_alu instid0(VALU_DEP_1) | instskip(SKIP_1) | instid1(SALU_CYCLE_1)
	v_cmp_eq_u64_e64 s0, s[6:7], v[4:5]
	s_or_b32 s12, s0, s12
	s_and_not1_b32 exec_lo, exec_lo, s12
	s_cbranch_execnz .LBB0_3184
; %bb.3190:                             ;   in Loop: Header=BB0_1755 Depth=1
	s_or_b32 exec_lo, exec_lo, s12
	s_add_co_i32 s6, s4, 0xcd
	s_mov_b32 s1, s5
	s_bfe_u32 s0, s6, 0x100003
	v_dual_mov_b32 v0, s6 :: v_dual_mov_b32 v1, s6
	s_mulk_i32 s0, 0x20c5
	v_dual_mov_b32 v3, s6 :: v_dual_mov_b32 v14, 0
	s_lshr_b32 s0, s0, 20
	s_mov_b32 s7, s5
	s_mulk_i32 s0, 0x3e8
	s_mov_b32 s12, 0
	s_sub_co_i32 s0, s6, s0
	s_delay_alu instid0(SALU_CYCLE_1) | instskip(NEXT) | instid1(SALU_CYCLE_1)
	s_and_b32 s0, s0, 0xffff
	s_lshl_b32 s0, s0, 12
	s_delay_alu instid0(SALU_CYCLE_1)
	v_add_nc_u64_e32 v[4:5], s[0:1], v[10:11]
	v_add_nc_u64_e32 v[8:9], s[0:1], v[12:13]
	global_store_b128 v[4:5], v[0:3], off th:TH_STORE_NT
.LBB0_3191:                             ;   Parent Loop BB0_1755 Depth=1
                                        ; =>  This Inner Loop Header: Depth=2
	s_wait_loadcnt 0x0
	global_load_b128 v[4:7], v[8:9], off th:TH_LOAD_NT
	v_add_nc_u32_e32 v14, 1, v14
	s_mov_b32 s1, -1
	s_mov_b32 s14, -1
	s_mov_b32 s15, exec_lo
	s_wait_xcnt 0x0
	v_cmpx_eq_u32_e32 0xf4240, v14
	s_cbranch_execz .LBB0_3193
; %bb.3192:                             ;   in Loop: Header=BB0_3191 Depth=2
	s_wait_loadcnt 0x0
	s_wait_storecnt 0x0
	global_load_b32 v0, v2, s[10:11] scope:SCOPE_SYS
	s_wait_loadcnt 0x0
	global_inv scope:SCOPE_SYS
	v_mov_b32_e32 v14, 0
	v_cmp_eq_u32_e64 s0, 0, v0
	s_or_not1_b32 s14, s0, exec_lo
.LBB0_3193:                             ;   in Loop: Header=BB0_3191 Depth=2
	s_wait_xcnt 0x0
	s_or_b32 exec_lo, exec_lo, s15
	s_and_saveexec_b32 s15, s14
	s_cbranch_execz .LBB0_3195
; %bb.3194:                             ;   in Loop: Header=BB0_3191 Depth=2
	s_wait_loadcnt 0x0
	v_cmp_eq_u32_e64 s0, s6, v5
	v_cmp_eq_u32_e64 s1, s6, v7
	s_and_b32 s0, s0, s1
	s_delay_alu instid0(SALU_CYCLE_1)
	s_or_not1_b32 s1, s0, exec_lo
.LBB0_3195:                             ;   in Loop: Header=BB0_3191 Depth=2
	s_or_b32 exec_lo, exec_lo, s15
	s_delay_alu instid0(SALU_CYCLE_1) | instskip(NEXT) | instid1(SALU_CYCLE_1)
	s_and_b32 s0, exec_lo, s1
	s_or_b32 s13, s0, s13
	s_delay_alu instid0(SALU_CYCLE_1)
	s_and_not1_b32 exec_lo, exec_lo, s13
	s_cbranch_execnz .LBB0_3191
; %bb.3196:                             ;   in Loop: Header=BB0_3191 Depth=2
	s_or_b32 exec_lo, exec_lo, s13
	s_wait_loadcnt 0x0
	v_dual_mov_b32 v5, v6 :: v_dual_mov_b32 v14, 0
	s_mov_b32 s13, 0
	s_delay_alu instid0(VALU_DEP_1) | instskip(SKIP_1) | instid1(SALU_CYCLE_1)
	v_cmp_eq_u64_e64 s0, s[6:7], v[4:5]
	s_or_b32 s12, s0, s12
	s_and_not1_b32 exec_lo, exec_lo, s12
	s_cbranch_execnz .LBB0_3191
; %bb.3197:                             ;   in Loop: Header=BB0_1755 Depth=1
	s_or_b32 exec_lo, exec_lo, s12
	s_add_co_i32 s6, s4, 0xce
	s_mov_b32 s1, s5
	s_bfe_u32 s0, s6, 0x100003
	v_dual_mov_b32 v0, s6 :: v_dual_mov_b32 v1, s6
	s_mulk_i32 s0, 0x20c5
	v_dual_mov_b32 v3, s6 :: v_dual_mov_b32 v14, 0
	s_lshr_b32 s0, s0, 20
	s_mov_b32 s7, s5
	s_mulk_i32 s0, 0x3e8
	s_mov_b32 s12, 0
	s_sub_co_i32 s0, s6, s0
	s_delay_alu instid0(SALU_CYCLE_1) | instskip(NEXT) | instid1(SALU_CYCLE_1)
	s_and_b32 s0, s0, 0xffff
	s_lshl_b32 s0, s0, 12
	s_delay_alu instid0(SALU_CYCLE_1)
	v_add_nc_u64_e32 v[4:5], s[0:1], v[10:11]
	v_add_nc_u64_e32 v[8:9], s[0:1], v[12:13]
	global_store_b128 v[4:5], v[0:3], off th:TH_STORE_NT
.LBB0_3198:                             ;   Parent Loop BB0_1755 Depth=1
                                        ; =>  This Inner Loop Header: Depth=2
	s_wait_loadcnt 0x0
	global_load_b128 v[4:7], v[8:9], off th:TH_LOAD_NT
	v_add_nc_u32_e32 v14, 1, v14
	s_mov_b32 s1, -1
	s_mov_b32 s14, -1
	s_mov_b32 s15, exec_lo
	s_wait_xcnt 0x0
	v_cmpx_eq_u32_e32 0xf4240, v14
	s_cbranch_execz .LBB0_3200
; %bb.3199:                             ;   in Loop: Header=BB0_3198 Depth=2
	s_wait_loadcnt 0x0
	s_wait_storecnt 0x0
	global_load_b32 v0, v2, s[10:11] scope:SCOPE_SYS
	s_wait_loadcnt 0x0
	global_inv scope:SCOPE_SYS
	v_mov_b32_e32 v14, 0
	v_cmp_eq_u32_e64 s0, 0, v0
	s_or_not1_b32 s14, s0, exec_lo
.LBB0_3200:                             ;   in Loop: Header=BB0_3198 Depth=2
	s_wait_xcnt 0x0
	s_or_b32 exec_lo, exec_lo, s15
	s_and_saveexec_b32 s15, s14
	s_cbranch_execz .LBB0_3202
; %bb.3201:                             ;   in Loop: Header=BB0_3198 Depth=2
	s_wait_loadcnt 0x0
	v_cmp_eq_u32_e64 s0, s6, v5
	v_cmp_eq_u32_e64 s1, s6, v7
	s_and_b32 s0, s0, s1
	s_delay_alu instid0(SALU_CYCLE_1)
	s_or_not1_b32 s1, s0, exec_lo
.LBB0_3202:                             ;   in Loop: Header=BB0_3198 Depth=2
	s_or_b32 exec_lo, exec_lo, s15
	s_delay_alu instid0(SALU_CYCLE_1) | instskip(NEXT) | instid1(SALU_CYCLE_1)
	s_and_b32 s0, exec_lo, s1
	s_or_b32 s13, s0, s13
	s_delay_alu instid0(SALU_CYCLE_1)
	s_and_not1_b32 exec_lo, exec_lo, s13
	s_cbranch_execnz .LBB0_3198
; %bb.3203:                             ;   in Loop: Header=BB0_3198 Depth=2
	s_or_b32 exec_lo, exec_lo, s13
	s_wait_loadcnt 0x0
	v_dual_mov_b32 v5, v6 :: v_dual_mov_b32 v14, 0
	s_mov_b32 s13, 0
	s_delay_alu instid0(VALU_DEP_1) | instskip(SKIP_1) | instid1(SALU_CYCLE_1)
	v_cmp_eq_u64_e64 s0, s[6:7], v[4:5]
	s_or_b32 s12, s0, s12
	s_and_not1_b32 exec_lo, exec_lo, s12
	s_cbranch_execnz .LBB0_3198
; %bb.3204:                             ;   in Loop: Header=BB0_1755 Depth=1
	s_or_b32 exec_lo, exec_lo, s12
	s_add_co_i32 s6, s4, 0xcf
	s_mov_b32 s1, s5
	s_bfe_u32 s0, s6, 0x100003
	v_dual_mov_b32 v0, s6 :: v_dual_mov_b32 v1, s6
	s_mulk_i32 s0, 0x20c5
	v_dual_mov_b32 v3, s6 :: v_dual_mov_b32 v14, 0
	s_lshr_b32 s0, s0, 20
	s_mov_b32 s7, s5
	s_mulk_i32 s0, 0x3e8
	s_mov_b32 s12, 0
	s_sub_co_i32 s0, s6, s0
	s_delay_alu instid0(SALU_CYCLE_1) | instskip(NEXT) | instid1(SALU_CYCLE_1)
	s_and_b32 s0, s0, 0xffff
	s_lshl_b32 s0, s0, 12
	s_delay_alu instid0(SALU_CYCLE_1)
	v_add_nc_u64_e32 v[4:5], s[0:1], v[10:11]
	v_add_nc_u64_e32 v[8:9], s[0:1], v[12:13]
	global_store_b128 v[4:5], v[0:3], off th:TH_STORE_NT
.LBB0_3205:                             ;   Parent Loop BB0_1755 Depth=1
                                        ; =>  This Inner Loop Header: Depth=2
	s_wait_loadcnt 0x0
	global_load_b128 v[4:7], v[8:9], off th:TH_LOAD_NT
	v_add_nc_u32_e32 v14, 1, v14
	s_mov_b32 s1, -1
	s_mov_b32 s14, -1
	s_mov_b32 s15, exec_lo
	s_wait_xcnt 0x0
	v_cmpx_eq_u32_e32 0xf4240, v14
	s_cbranch_execz .LBB0_3207
; %bb.3206:                             ;   in Loop: Header=BB0_3205 Depth=2
	s_wait_loadcnt 0x0
	s_wait_storecnt 0x0
	global_load_b32 v0, v2, s[10:11] scope:SCOPE_SYS
	s_wait_loadcnt 0x0
	global_inv scope:SCOPE_SYS
	v_mov_b32_e32 v14, 0
	v_cmp_eq_u32_e64 s0, 0, v0
	s_or_not1_b32 s14, s0, exec_lo
.LBB0_3207:                             ;   in Loop: Header=BB0_3205 Depth=2
	s_wait_xcnt 0x0
	s_or_b32 exec_lo, exec_lo, s15
	s_and_saveexec_b32 s15, s14
	s_cbranch_execz .LBB0_3209
; %bb.3208:                             ;   in Loop: Header=BB0_3205 Depth=2
	s_wait_loadcnt 0x0
	v_cmp_eq_u32_e64 s0, s6, v5
	v_cmp_eq_u32_e64 s1, s6, v7
	s_and_b32 s0, s0, s1
	s_delay_alu instid0(SALU_CYCLE_1)
	s_or_not1_b32 s1, s0, exec_lo
.LBB0_3209:                             ;   in Loop: Header=BB0_3205 Depth=2
	s_or_b32 exec_lo, exec_lo, s15
	s_delay_alu instid0(SALU_CYCLE_1) | instskip(NEXT) | instid1(SALU_CYCLE_1)
	s_and_b32 s0, exec_lo, s1
	s_or_b32 s13, s0, s13
	s_delay_alu instid0(SALU_CYCLE_1)
	s_and_not1_b32 exec_lo, exec_lo, s13
	s_cbranch_execnz .LBB0_3205
; %bb.3210:                             ;   in Loop: Header=BB0_3205 Depth=2
	s_or_b32 exec_lo, exec_lo, s13
	s_wait_loadcnt 0x0
	v_dual_mov_b32 v5, v6 :: v_dual_mov_b32 v14, 0
	s_mov_b32 s13, 0
	s_delay_alu instid0(VALU_DEP_1) | instskip(SKIP_1) | instid1(SALU_CYCLE_1)
	v_cmp_eq_u64_e64 s0, s[6:7], v[4:5]
	s_or_b32 s12, s0, s12
	s_and_not1_b32 exec_lo, exec_lo, s12
	s_cbranch_execnz .LBB0_3205
; %bb.3211:                             ;   in Loop: Header=BB0_1755 Depth=1
	s_or_b32 exec_lo, exec_lo, s12
	s_add_co_i32 s6, s4, 0xd0
	s_mov_b32 s1, s5
	s_bfe_u32 s0, s6, 0x100003
	v_dual_mov_b32 v0, s6 :: v_dual_mov_b32 v1, s6
	s_mulk_i32 s0, 0x20c5
	v_dual_mov_b32 v3, s6 :: v_dual_mov_b32 v14, 0
	s_lshr_b32 s0, s0, 20
	s_mov_b32 s7, s5
	s_mulk_i32 s0, 0x3e8
	s_mov_b32 s12, 0
	s_sub_co_i32 s0, s6, s0
	s_delay_alu instid0(SALU_CYCLE_1) | instskip(NEXT) | instid1(SALU_CYCLE_1)
	s_and_b32 s0, s0, 0xffff
	s_lshl_b32 s0, s0, 12
	s_delay_alu instid0(SALU_CYCLE_1)
	v_add_nc_u64_e32 v[4:5], s[0:1], v[10:11]
	v_add_nc_u64_e32 v[8:9], s[0:1], v[12:13]
	global_store_b128 v[4:5], v[0:3], off th:TH_STORE_NT
.LBB0_3212:                             ;   Parent Loop BB0_1755 Depth=1
                                        ; =>  This Inner Loop Header: Depth=2
	s_wait_loadcnt 0x0
	global_load_b128 v[4:7], v[8:9], off th:TH_LOAD_NT
	v_add_nc_u32_e32 v14, 1, v14
	s_mov_b32 s1, -1
	s_mov_b32 s14, -1
	s_mov_b32 s15, exec_lo
	s_wait_xcnt 0x0
	v_cmpx_eq_u32_e32 0xf4240, v14
	s_cbranch_execz .LBB0_3214
; %bb.3213:                             ;   in Loop: Header=BB0_3212 Depth=2
	s_wait_loadcnt 0x0
	s_wait_storecnt 0x0
	global_load_b32 v0, v2, s[10:11] scope:SCOPE_SYS
	s_wait_loadcnt 0x0
	global_inv scope:SCOPE_SYS
	v_mov_b32_e32 v14, 0
	v_cmp_eq_u32_e64 s0, 0, v0
	s_or_not1_b32 s14, s0, exec_lo
.LBB0_3214:                             ;   in Loop: Header=BB0_3212 Depth=2
	s_wait_xcnt 0x0
	s_or_b32 exec_lo, exec_lo, s15
	s_and_saveexec_b32 s15, s14
	s_cbranch_execz .LBB0_3216
; %bb.3215:                             ;   in Loop: Header=BB0_3212 Depth=2
	s_wait_loadcnt 0x0
	v_cmp_eq_u32_e64 s0, s6, v5
	v_cmp_eq_u32_e64 s1, s6, v7
	s_and_b32 s0, s0, s1
	s_delay_alu instid0(SALU_CYCLE_1)
	s_or_not1_b32 s1, s0, exec_lo
.LBB0_3216:                             ;   in Loop: Header=BB0_3212 Depth=2
	s_or_b32 exec_lo, exec_lo, s15
	s_delay_alu instid0(SALU_CYCLE_1) | instskip(NEXT) | instid1(SALU_CYCLE_1)
	s_and_b32 s0, exec_lo, s1
	s_or_b32 s13, s0, s13
	s_delay_alu instid0(SALU_CYCLE_1)
	s_and_not1_b32 exec_lo, exec_lo, s13
	s_cbranch_execnz .LBB0_3212
; %bb.3217:                             ;   in Loop: Header=BB0_3212 Depth=2
	s_or_b32 exec_lo, exec_lo, s13
	s_wait_loadcnt 0x0
	v_dual_mov_b32 v5, v6 :: v_dual_mov_b32 v14, 0
	s_mov_b32 s13, 0
	s_delay_alu instid0(VALU_DEP_1) | instskip(SKIP_1) | instid1(SALU_CYCLE_1)
	v_cmp_eq_u64_e64 s0, s[6:7], v[4:5]
	s_or_b32 s12, s0, s12
	s_and_not1_b32 exec_lo, exec_lo, s12
	s_cbranch_execnz .LBB0_3212
; %bb.3218:                             ;   in Loop: Header=BB0_1755 Depth=1
	s_or_b32 exec_lo, exec_lo, s12
	s_add_co_i32 s6, s4, 0xd1
	s_mov_b32 s1, s5
	s_bfe_u32 s0, s6, 0x100003
	v_dual_mov_b32 v0, s6 :: v_dual_mov_b32 v1, s6
	s_mulk_i32 s0, 0x20c5
	v_dual_mov_b32 v3, s6 :: v_dual_mov_b32 v14, 0
	s_lshr_b32 s0, s0, 20
	s_mov_b32 s7, s5
	s_mulk_i32 s0, 0x3e8
	s_mov_b32 s12, 0
	s_sub_co_i32 s0, s6, s0
	s_delay_alu instid0(SALU_CYCLE_1) | instskip(NEXT) | instid1(SALU_CYCLE_1)
	s_and_b32 s0, s0, 0xffff
	s_lshl_b32 s0, s0, 12
	s_delay_alu instid0(SALU_CYCLE_1)
	v_add_nc_u64_e32 v[4:5], s[0:1], v[10:11]
	v_add_nc_u64_e32 v[8:9], s[0:1], v[12:13]
	global_store_b128 v[4:5], v[0:3], off th:TH_STORE_NT
.LBB0_3219:                             ;   Parent Loop BB0_1755 Depth=1
                                        ; =>  This Inner Loop Header: Depth=2
	s_wait_loadcnt 0x0
	global_load_b128 v[4:7], v[8:9], off th:TH_LOAD_NT
	v_add_nc_u32_e32 v14, 1, v14
	s_mov_b32 s1, -1
	s_mov_b32 s14, -1
	s_mov_b32 s15, exec_lo
	s_wait_xcnt 0x0
	v_cmpx_eq_u32_e32 0xf4240, v14
	s_cbranch_execz .LBB0_3221
; %bb.3220:                             ;   in Loop: Header=BB0_3219 Depth=2
	s_wait_loadcnt 0x0
	s_wait_storecnt 0x0
	global_load_b32 v0, v2, s[10:11] scope:SCOPE_SYS
	s_wait_loadcnt 0x0
	global_inv scope:SCOPE_SYS
	v_mov_b32_e32 v14, 0
	v_cmp_eq_u32_e64 s0, 0, v0
	s_or_not1_b32 s14, s0, exec_lo
.LBB0_3221:                             ;   in Loop: Header=BB0_3219 Depth=2
	s_wait_xcnt 0x0
	s_or_b32 exec_lo, exec_lo, s15
	s_and_saveexec_b32 s15, s14
	s_cbranch_execz .LBB0_3223
; %bb.3222:                             ;   in Loop: Header=BB0_3219 Depth=2
	s_wait_loadcnt 0x0
	v_cmp_eq_u32_e64 s0, s6, v5
	v_cmp_eq_u32_e64 s1, s6, v7
	s_and_b32 s0, s0, s1
	s_delay_alu instid0(SALU_CYCLE_1)
	s_or_not1_b32 s1, s0, exec_lo
.LBB0_3223:                             ;   in Loop: Header=BB0_3219 Depth=2
	s_or_b32 exec_lo, exec_lo, s15
	s_delay_alu instid0(SALU_CYCLE_1) | instskip(NEXT) | instid1(SALU_CYCLE_1)
	s_and_b32 s0, exec_lo, s1
	s_or_b32 s13, s0, s13
	s_delay_alu instid0(SALU_CYCLE_1)
	s_and_not1_b32 exec_lo, exec_lo, s13
	s_cbranch_execnz .LBB0_3219
; %bb.3224:                             ;   in Loop: Header=BB0_3219 Depth=2
	s_or_b32 exec_lo, exec_lo, s13
	s_wait_loadcnt 0x0
	v_dual_mov_b32 v5, v6 :: v_dual_mov_b32 v14, 0
	s_mov_b32 s13, 0
	s_delay_alu instid0(VALU_DEP_1) | instskip(SKIP_1) | instid1(SALU_CYCLE_1)
	v_cmp_eq_u64_e64 s0, s[6:7], v[4:5]
	s_or_b32 s12, s0, s12
	s_and_not1_b32 exec_lo, exec_lo, s12
	s_cbranch_execnz .LBB0_3219
; %bb.3225:                             ;   in Loop: Header=BB0_1755 Depth=1
	s_or_b32 exec_lo, exec_lo, s12
	s_add_co_i32 s6, s4, 0xd2
	s_mov_b32 s1, s5
	s_bfe_u32 s0, s6, 0x100003
	v_dual_mov_b32 v0, s6 :: v_dual_mov_b32 v1, s6
	s_mulk_i32 s0, 0x20c5
	v_dual_mov_b32 v3, s6 :: v_dual_mov_b32 v14, 0
	s_lshr_b32 s0, s0, 20
	s_mov_b32 s7, s5
	s_mulk_i32 s0, 0x3e8
	s_mov_b32 s12, 0
	s_sub_co_i32 s0, s6, s0
	s_delay_alu instid0(SALU_CYCLE_1) | instskip(NEXT) | instid1(SALU_CYCLE_1)
	s_and_b32 s0, s0, 0xffff
	s_lshl_b32 s0, s0, 12
	s_delay_alu instid0(SALU_CYCLE_1)
	v_add_nc_u64_e32 v[4:5], s[0:1], v[10:11]
	v_add_nc_u64_e32 v[8:9], s[0:1], v[12:13]
	global_store_b128 v[4:5], v[0:3], off th:TH_STORE_NT
.LBB0_3226:                             ;   Parent Loop BB0_1755 Depth=1
                                        ; =>  This Inner Loop Header: Depth=2
	s_wait_loadcnt 0x0
	global_load_b128 v[4:7], v[8:9], off th:TH_LOAD_NT
	v_add_nc_u32_e32 v14, 1, v14
	s_mov_b32 s1, -1
	s_mov_b32 s14, -1
	s_mov_b32 s15, exec_lo
	s_wait_xcnt 0x0
	v_cmpx_eq_u32_e32 0xf4240, v14
	s_cbranch_execz .LBB0_3228
; %bb.3227:                             ;   in Loop: Header=BB0_3226 Depth=2
	s_wait_loadcnt 0x0
	s_wait_storecnt 0x0
	global_load_b32 v0, v2, s[10:11] scope:SCOPE_SYS
	s_wait_loadcnt 0x0
	global_inv scope:SCOPE_SYS
	v_mov_b32_e32 v14, 0
	v_cmp_eq_u32_e64 s0, 0, v0
	s_or_not1_b32 s14, s0, exec_lo
.LBB0_3228:                             ;   in Loop: Header=BB0_3226 Depth=2
	s_wait_xcnt 0x0
	s_or_b32 exec_lo, exec_lo, s15
	s_and_saveexec_b32 s15, s14
	s_cbranch_execz .LBB0_3230
; %bb.3229:                             ;   in Loop: Header=BB0_3226 Depth=2
	s_wait_loadcnt 0x0
	v_cmp_eq_u32_e64 s0, s6, v5
	v_cmp_eq_u32_e64 s1, s6, v7
	s_and_b32 s0, s0, s1
	s_delay_alu instid0(SALU_CYCLE_1)
	s_or_not1_b32 s1, s0, exec_lo
.LBB0_3230:                             ;   in Loop: Header=BB0_3226 Depth=2
	s_or_b32 exec_lo, exec_lo, s15
	s_delay_alu instid0(SALU_CYCLE_1) | instskip(NEXT) | instid1(SALU_CYCLE_1)
	s_and_b32 s0, exec_lo, s1
	s_or_b32 s13, s0, s13
	s_delay_alu instid0(SALU_CYCLE_1)
	s_and_not1_b32 exec_lo, exec_lo, s13
	s_cbranch_execnz .LBB0_3226
; %bb.3231:                             ;   in Loop: Header=BB0_3226 Depth=2
	s_or_b32 exec_lo, exec_lo, s13
	s_wait_loadcnt 0x0
	v_dual_mov_b32 v5, v6 :: v_dual_mov_b32 v14, 0
	s_mov_b32 s13, 0
	s_delay_alu instid0(VALU_DEP_1) | instskip(SKIP_1) | instid1(SALU_CYCLE_1)
	v_cmp_eq_u64_e64 s0, s[6:7], v[4:5]
	s_or_b32 s12, s0, s12
	s_and_not1_b32 exec_lo, exec_lo, s12
	s_cbranch_execnz .LBB0_3226
; %bb.3232:                             ;   in Loop: Header=BB0_1755 Depth=1
	s_or_b32 exec_lo, exec_lo, s12
	s_add_co_i32 s6, s4, 0xd3
	s_mov_b32 s1, s5
	s_bfe_u32 s0, s6, 0x100003
	v_dual_mov_b32 v0, s6 :: v_dual_mov_b32 v1, s6
	s_mulk_i32 s0, 0x20c5
	v_dual_mov_b32 v3, s6 :: v_dual_mov_b32 v14, 0
	s_lshr_b32 s0, s0, 20
	s_mov_b32 s7, s5
	s_mulk_i32 s0, 0x3e8
	s_mov_b32 s12, 0
	s_sub_co_i32 s0, s6, s0
	s_delay_alu instid0(SALU_CYCLE_1) | instskip(NEXT) | instid1(SALU_CYCLE_1)
	s_and_b32 s0, s0, 0xffff
	s_lshl_b32 s0, s0, 12
	s_delay_alu instid0(SALU_CYCLE_1)
	v_add_nc_u64_e32 v[4:5], s[0:1], v[10:11]
	v_add_nc_u64_e32 v[8:9], s[0:1], v[12:13]
	global_store_b128 v[4:5], v[0:3], off th:TH_STORE_NT
.LBB0_3233:                             ;   Parent Loop BB0_1755 Depth=1
                                        ; =>  This Inner Loop Header: Depth=2
	s_wait_loadcnt 0x0
	global_load_b128 v[4:7], v[8:9], off th:TH_LOAD_NT
	v_add_nc_u32_e32 v14, 1, v14
	s_mov_b32 s1, -1
	s_mov_b32 s14, -1
	s_mov_b32 s15, exec_lo
	s_wait_xcnt 0x0
	v_cmpx_eq_u32_e32 0xf4240, v14
	s_cbranch_execz .LBB0_3235
; %bb.3234:                             ;   in Loop: Header=BB0_3233 Depth=2
	s_wait_loadcnt 0x0
	s_wait_storecnt 0x0
	global_load_b32 v0, v2, s[10:11] scope:SCOPE_SYS
	s_wait_loadcnt 0x0
	global_inv scope:SCOPE_SYS
	v_mov_b32_e32 v14, 0
	v_cmp_eq_u32_e64 s0, 0, v0
	s_or_not1_b32 s14, s0, exec_lo
.LBB0_3235:                             ;   in Loop: Header=BB0_3233 Depth=2
	s_wait_xcnt 0x0
	s_or_b32 exec_lo, exec_lo, s15
	s_and_saveexec_b32 s15, s14
	s_cbranch_execz .LBB0_3237
; %bb.3236:                             ;   in Loop: Header=BB0_3233 Depth=2
	s_wait_loadcnt 0x0
	v_cmp_eq_u32_e64 s0, s6, v5
	v_cmp_eq_u32_e64 s1, s6, v7
	s_and_b32 s0, s0, s1
	s_delay_alu instid0(SALU_CYCLE_1)
	s_or_not1_b32 s1, s0, exec_lo
.LBB0_3237:                             ;   in Loop: Header=BB0_3233 Depth=2
	s_or_b32 exec_lo, exec_lo, s15
	s_delay_alu instid0(SALU_CYCLE_1) | instskip(NEXT) | instid1(SALU_CYCLE_1)
	s_and_b32 s0, exec_lo, s1
	s_or_b32 s13, s0, s13
	s_delay_alu instid0(SALU_CYCLE_1)
	s_and_not1_b32 exec_lo, exec_lo, s13
	s_cbranch_execnz .LBB0_3233
; %bb.3238:                             ;   in Loop: Header=BB0_3233 Depth=2
	s_or_b32 exec_lo, exec_lo, s13
	s_wait_loadcnt 0x0
	v_dual_mov_b32 v5, v6 :: v_dual_mov_b32 v14, 0
	s_mov_b32 s13, 0
	s_delay_alu instid0(VALU_DEP_1) | instskip(SKIP_1) | instid1(SALU_CYCLE_1)
	v_cmp_eq_u64_e64 s0, s[6:7], v[4:5]
	s_or_b32 s12, s0, s12
	s_and_not1_b32 exec_lo, exec_lo, s12
	s_cbranch_execnz .LBB0_3233
; %bb.3239:                             ;   in Loop: Header=BB0_1755 Depth=1
	s_or_b32 exec_lo, exec_lo, s12
	s_add_co_i32 s6, s4, 0xd4
	s_mov_b32 s1, s5
	s_bfe_u32 s0, s6, 0x100003
	v_dual_mov_b32 v0, s6 :: v_dual_mov_b32 v1, s6
	s_mulk_i32 s0, 0x20c5
	v_dual_mov_b32 v3, s6 :: v_dual_mov_b32 v14, 0
	s_lshr_b32 s0, s0, 20
	s_mov_b32 s7, s5
	s_mulk_i32 s0, 0x3e8
	s_mov_b32 s12, 0
	s_sub_co_i32 s0, s6, s0
	s_delay_alu instid0(SALU_CYCLE_1) | instskip(NEXT) | instid1(SALU_CYCLE_1)
	s_and_b32 s0, s0, 0xffff
	s_lshl_b32 s0, s0, 12
	s_delay_alu instid0(SALU_CYCLE_1)
	v_add_nc_u64_e32 v[4:5], s[0:1], v[10:11]
	v_add_nc_u64_e32 v[8:9], s[0:1], v[12:13]
	global_store_b128 v[4:5], v[0:3], off th:TH_STORE_NT
.LBB0_3240:                             ;   Parent Loop BB0_1755 Depth=1
                                        ; =>  This Inner Loop Header: Depth=2
	s_wait_loadcnt 0x0
	global_load_b128 v[4:7], v[8:9], off th:TH_LOAD_NT
	v_add_nc_u32_e32 v14, 1, v14
	s_mov_b32 s1, -1
	s_mov_b32 s14, -1
	s_mov_b32 s15, exec_lo
	s_wait_xcnt 0x0
	v_cmpx_eq_u32_e32 0xf4240, v14
	s_cbranch_execz .LBB0_3242
; %bb.3241:                             ;   in Loop: Header=BB0_3240 Depth=2
	s_wait_loadcnt 0x0
	s_wait_storecnt 0x0
	global_load_b32 v0, v2, s[10:11] scope:SCOPE_SYS
	s_wait_loadcnt 0x0
	global_inv scope:SCOPE_SYS
	v_mov_b32_e32 v14, 0
	v_cmp_eq_u32_e64 s0, 0, v0
	s_or_not1_b32 s14, s0, exec_lo
.LBB0_3242:                             ;   in Loop: Header=BB0_3240 Depth=2
	s_wait_xcnt 0x0
	s_or_b32 exec_lo, exec_lo, s15
	s_and_saveexec_b32 s15, s14
	s_cbranch_execz .LBB0_3244
; %bb.3243:                             ;   in Loop: Header=BB0_3240 Depth=2
	s_wait_loadcnt 0x0
	v_cmp_eq_u32_e64 s0, s6, v5
	v_cmp_eq_u32_e64 s1, s6, v7
	s_and_b32 s0, s0, s1
	s_delay_alu instid0(SALU_CYCLE_1)
	s_or_not1_b32 s1, s0, exec_lo
.LBB0_3244:                             ;   in Loop: Header=BB0_3240 Depth=2
	s_or_b32 exec_lo, exec_lo, s15
	s_delay_alu instid0(SALU_CYCLE_1) | instskip(NEXT) | instid1(SALU_CYCLE_1)
	s_and_b32 s0, exec_lo, s1
	s_or_b32 s13, s0, s13
	s_delay_alu instid0(SALU_CYCLE_1)
	s_and_not1_b32 exec_lo, exec_lo, s13
	s_cbranch_execnz .LBB0_3240
; %bb.3245:                             ;   in Loop: Header=BB0_3240 Depth=2
	s_or_b32 exec_lo, exec_lo, s13
	s_wait_loadcnt 0x0
	v_dual_mov_b32 v5, v6 :: v_dual_mov_b32 v14, 0
	s_mov_b32 s13, 0
	s_delay_alu instid0(VALU_DEP_1) | instskip(SKIP_1) | instid1(SALU_CYCLE_1)
	v_cmp_eq_u64_e64 s0, s[6:7], v[4:5]
	s_or_b32 s12, s0, s12
	s_and_not1_b32 exec_lo, exec_lo, s12
	s_cbranch_execnz .LBB0_3240
; %bb.3246:                             ;   in Loop: Header=BB0_1755 Depth=1
	s_or_b32 exec_lo, exec_lo, s12
	s_add_co_i32 s6, s4, 0xd5
	s_mov_b32 s1, s5
	s_bfe_u32 s0, s6, 0x100003
	v_dual_mov_b32 v0, s6 :: v_dual_mov_b32 v1, s6
	s_mulk_i32 s0, 0x20c5
	v_dual_mov_b32 v3, s6 :: v_dual_mov_b32 v14, 0
	s_lshr_b32 s0, s0, 20
	s_mov_b32 s7, s5
	s_mulk_i32 s0, 0x3e8
	s_mov_b32 s12, 0
	s_sub_co_i32 s0, s6, s0
	s_delay_alu instid0(SALU_CYCLE_1) | instskip(NEXT) | instid1(SALU_CYCLE_1)
	s_and_b32 s0, s0, 0xffff
	s_lshl_b32 s0, s0, 12
	s_delay_alu instid0(SALU_CYCLE_1)
	v_add_nc_u64_e32 v[4:5], s[0:1], v[10:11]
	v_add_nc_u64_e32 v[8:9], s[0:1], v[12:13]
	global_store_b128 v[4:5], v[0:3], off th:TH_STORE_NT
.LBB0_3247:                             ;   Parent Loop BB0_1755 Depth=1
                                        ; =>  This Inner Loop Header: Depth=2
	s_wait_loadcnt 0x0
	global_load_b128 v[4:7], v[8:9], off th:TH_LOAD_NT
	v_add_nc_u32_e32 v14, 1, v14
	s_mov_b32 s1, -1
	s_mov_b32 s14, -1
	s_mov_b32 s15, exec_lo
	s_wait_xcnt 0x0
	v_cmpx_eq_u32_e32 0xf4240, v14
	s_cbranch_execz .LBB0_3249
; %bb.3248:                             ;   in Loop: Header=BB0_3247 Depth=2
	s_wait_loadcnt 0x0
	s_wait_storecnt 0x0
	global_load_b32 v0, v2, s[10:11] scope:SCOPE_SYS
	s_wait_loadcnt 0x0
	global_inv scope:SCOPE_SYS
	v_mov_b32_e32 v14, 0
	v_cmp_eq_u32_e64 s0, 0, v0
	s_or_not1_b32 s14, s0, exec_lo
.LBB0_3249:                             ;   in Loop: Header=BB0_3247 Depth=2
	s_wait_xcnt 0x0
	s_or_b32 exec_lo, exec_lo, s15
	s_and_saveexec_b32 s15, s14
	s_cbranch_execz .LBB0_3251
; %bb.3250:                             ;   in Loop: Header=BB0_3247 Depth=2
	s_wait_loadcnt 0x0
	v_cmp_eq_u32_e64 s0, s6, v5
	v_cmp_eq_u32_e64 s1, s6, v7
	s_and_b32 s0, s0, s1
	s_delay_alu instid0(SALU_CYCLE_1)
	s_or_not1_b32 s1, s0, exec_lo
.LBB0_3251:                             ;   in Loop: Header=BB0_3247 Depth=2
	s_or_b32 exec_lo, exec_lo, s15
	s_delay_alu instid0(SALU_CYCLE_1) | instskip(NEXT) | instid1(SALU_CYCLE_1)
	s_and_b32 s0, exec_lo, s1
	s_or_b32 s13, s0, s13
	s_delay_alu instid0(SALU_CYCLE_1)
	s_and_not1_b32 exec_lo, exec_lo, s13
	s_cbranch_execnz .LBB0_3247
; %bb.3252:                             ;   in Loop: Header=BB0_3247 Depth=2
	s_or_b32 exec_lo, exec_lo, s13
	s_wait_loadcnt 0x0
	v_dual_mov_b32 v5, v6 :: v_dual_mov_b32 v14, 0
	s_mov_b32 s13, 0
	s_delay_alu instid0(VALU_DEP_1) | instskip(SKIP_1) | instid1(SALU_CYCLE_1)
	v_cmp_eq_u64_e64 s0, s[6:7], v[4:5]
	s_or_b32 s12, s0, s12
	s_and_not1_b32 exec_lo, exec_lo, s12
	s_cbranch_execnz .LBB0_3247
; %bb.3253:                             ;   in Loop: Header=BB0_1755 Depth=1
	s_or_b32 exec_lo, exec_lo, s12
	s_add_co_i32 s6, s4, 0xd6
	s_mov_b32 s1, s5
	s_bfe_u32 s0, s6, 0x100003
	v_dual_mov_b32 v0, s6 :: v_dual_mov_b32 v1, s6
	s_mulk_i32 s0, 0x20c5
	v_dual_mov_b32 v3, s6 :: v_dual_mov_b32 v14, 0
	s_lshr_b32 s0, s0, 20
	s_mov_b32 s7, s5
	s_mulk_i32 s0, 0x3e8
	s_mov_b32 s12, 0
	s_sub_co_i32 s0, s6, s0
	s_delay_alu instid0(SALU_CYCLE_1) | instskip(NEXT) | instid1(SALU_CYCLE_1)
	s_and_b32 s0, s0, 0xffff
	s_lshl_b32 s0, s0, 12
	s_delay_alu instid0(SALU_CYCLE_1)
	v_add_nc_u64_e32 v[4:5], s[0:1], v[10:11]
	v_add_nc_u64_e32 v[8:9], s[0:1], v[12:13]
	global_store_b128 v[4:5], v[0:3], off th:TH_STORE_NT
.LBB0_3254:                             ;   Parent Loop BB0_1755 Depth=1
                                        ; =>  This Inner Loop Header: Depth=2
	s_wait_loadcnt 0x0
	global_load_b128 v[4:7], v[8:9], off th:TH_LOAD_NT
	v_add_nc_u32_e32 v14, 1, v14
	s_mov_b32 s1, -1
	s_mov_b32 s14, -1
	s_mov_b32 s15, exec_lo
	s_wait_xcnt 0x0
	v_cmpx_eq_u32_e32 0xf4240, v14
	s_cbranch_execz .LBB0_3256
; %bb.3255:                             ;   in Loop: Header=BB0_3254 Depth=2
	s_wait_loadcnt 0x0
	s_wait_storecnt 0x0
	global_load_b32 v0, v2, s[10:11] scope:SCOPE_SYS
	s_wait_loadcnt 0x0
	global_inv scope:SCOPE_SYS
	v_mov_b32_e32 v14, 0
	v_cmp_eq_u32_e64 s0, 0, v0
	s_or_not1_b32 s14, s0, exec_lo
.LBB0_3256:                             ;   in Loop: Header=BB0_3254 Depth=2
	s_wait_xcnt 0x0
	s_or_b32 exec_lo, exec_lo, s15
	s_and_saveexec_b32 s15, s14
	s_cbranch_execz .LBB0_3258
; %bb.3257:                             ;   in Loop: Header=BB0_3254 Depth=2
	s_wait_loadcnt 0x0
	v_cmp_eq_u32_e64 s0, s6, v5
	v_cmp_eq_u32_e64 s1, s6, v7
	s_and_b32 s0, s0, s1
	s_delay_alu instid0(SALU_CYCLE_1)
	s_or_not1_b32 s1, s0, exec_lo
.LBB0_3258:                             ;   in Loop: Header=BB0_3254 Depth=2
	s_or_b32 exec_lo, exec_lo, s15
	s_delay_alu instid0(SALU_CYCLE_1) | instskip(NEXT) | instid1(SALU_CYCLE_1)
	s_and_b32 s0, exec_lo, s1
	s_or_b32 s13, s0, s13
	s_delay_alu instid0(SALU_CYCLE_1)
	s_and_not1_b32 exec_lo, exec_lo, s13
	s_cbranch_execnz .LBB0_3254
; %bb.3259:                             ;   in Loop: Header=BB0_3254 Depth=2
	s_or_b32 exec_lo, exec_lo, s13
	s_wait_loadcnt 0x0
	v_dual_mov_b32 v5, v6 :: v_dual_mov_b32 v14, 0
	s_mov_b32 s13, 0
	s_delay_alu instid0(VALU_DEP_1) | instskip(SKIP_1) | instid1(SALU_CYCLE_1)
	v_cmp_eq_u64_e64 s0, s[6:7], v[4:5]
	s_or_b32 s12, s0, s12
	s_and_not1_b32 exec_lo, exec_lo, s12
	s_cbranch_execnz .LBB0_3254
; %bb.3260:                             ;   in Loop: Header=BB0_1755 Depth=1
	s_or_b32 exec_lo, exec_lo, s12
	s_add_co_i32 s6, s4, 0xd7
	s_mov_b32 s1, s5
	s_bfe_u32 s0, s6, 0x100003
	v_dual_mov_b32 v0, s6 :: v_dual_mov_b32 v1, s6
	s_mulk_i32 s0, 0x20c5
	v_dual_mov_b32 v3, s6 :: v_dual_mov_b32 v14, 0
	s_lshr_b32 s0, s0, 20
	s_mov_b32 s7, s5
	s_mulk_i32 s0, 0x3e8
	s_mov_b32 s12, 0
	s_sub_co_i32 s0, s6, s0
	s_delay_alu instid0(SALU_CYCLE_1) | instskip(NEXT) | instid1(SALU_CYCLE_1)
	s_and_b32 s0, s0, 0xffff
	s_lshl_b32 s0, s0, 12
	s_delay_alu instid0(SALU_CYCLE_1)
	v_add_nc_u64_e32 v[4:5], s[0:1], v[10:11]
	v_add_nc_u64_e32 v[8:9], s[0:1], v[12:13]
	global_store_b128 v[4:5], v[0:3], off th:TH_STORE_NT
.LBB0_3261:                             ;   Parent Loop BB0_1755 Depth=1
                                        ; =>  This Inner Loop Header: Depth=2
	s_wait_loadcnt 0x0
	global_load_b128 v[4:7], v[8:9], off th:TH_LOAD_NT
	v_add_nc_u32_e32 v14, 1, v14
	s_mov_b32 s1, -1
	s_mov_b32 s14, -1
	s_mov_b32 s15, exec_lo
	s_wait_xcnt 0x0
	v_cmpx_eq_u32_e32 0xf4240, v14
	s_cbranch_execz .LBB0_3263
; %bb.3262:                             ;   in Loop: Header=BB0_3261 Depth=2
	s_wait_loadcnt 0x0
	s_wait_storecnt 0x0
	global_load_b32 v0, v2, s[10:11] scope:SCOPE_SYS
	s_wait_loadcnt 0x0
	global_inv scope:SCOPE_SYS
	v_mov_b32_e32 v14, 0
	v_cmp_eq_u32_e64 s0, 0, v0
	s_or_not1_b32 s14, s0, exec_lo
.LBB0_3263:                             ;   in Loop: Header=BB0_3261 Depth=2
	s_wait_xcnt 0x0
	s_or_b32 exec_lo, exec_lo, s15
	s_and_saveexec_b32 s15, s14
	s_cbranch_execz .LBB0_3265
; %bb.3264:                             ;   in Loop: Header=BB0_3261 Depth=2
	s_wait_loadcnt 0x0
	v_cmp_eq_u32_e64 s0, s6, v5
	v_cmp_eq_u32_e64 s1, s6, v7
	s_and_b32 s0, s0, s1
	s_delay_alu instid0(SALU_CYCLE_1)
	s_or_not1_b32 s1, s0, exec_lo
.LBB0_3265:                             ;   in Loop: Header=BB0_3261 Depth=2
	s_or_b32 exec_lo, exec_lo, s15
	s_delay_alu instid0(SALU_CYCLE_1) | instskip(NEXT) | instid1(SALU_CYCLE_1)
	s_and_b32 s0, exec_lo, s1
	s_or_b32 s13, s0, s13
	s_delay_alu instid0(SALU_CYCLE_1)
	s_and_not1_b32 exec_lo, exec_lo, s13
	s_cbranch_execnz .LBB0_3261
; %bb.3266:                             ;   in Loop: Header=BB0_3261 Depth=2
	s_or_b32 exec_lo, exec_lo, s13
	s_wait_loadcnt 0x0
	v_dual_mov_b32 v5, v6 :: v_dual_mov_b32 v14, 0
	s_mov_b32 s13, 0
	s_delay_alu instid0(VALU_DEP_1) | instskip(SKIP_1) | instid1(SALU_CYCLE_1)
	v_cmp_eq_u64_e64 s0, s[6:7], v[4:5]
	s_or_b32 s12, s0, s12
	s_and_not1_b32 exec_lo, exec_lo, s12
	s_cbranch_execnz .LBB0_3261
; %bb.3267:                             ;   in Loop: Header=BB0_1755 Depth=1
	s_or_b32 exec_lo, exec_lo, s12
	s_add_co_i32 s6, s4, 0xd8
	s_mov_b32 s1, s5
	s_bfe_u32 s0, s6, 0x100003
	v_dual_mov_b32 v0, s6 :: v_dual_mov_b32 v1, s6
	s_mulk_i32 s0, 0x20c5
	v_dual_mov_b32 v3, s6 :: v_dual_mov_b32 v14, 0
	s_lshr_b32 s0, s0, 20
	s_mov_b32 s7, s5
	s_mulk_i32 s0, 0x3e8
	s_mov_b32 s12, 0
	s_sub_co_i32 s0, s6, s0
	s_delay_alu instid0(SALU_CYCLE_1) | instskip(NEXT) | instid1(SALU_CYCLE_1)
	s_and_b32 s0, s0, 0xffff
	s_lshl_b32 s0, s0, 12
	s_delay_alu instid0(SALU_CYCLE_1)
	v_add_nc_u64_e32 v[4:5], s[0:1], v[10:11]
	v_add_nc_u64_e32 v[8:9], s[0:1], v[12:13]
	global_store_b128 v[4:5], v[0:3], off th:TH_STORE_NT
.LBB0_3268:                             ;   Parent Loop BB0_1755 Depth=1
                                        ; =>  This Inner Loop Header: Depth=2
	s_wait_loadcnt 0x0
	global_load_b128 v[4:7], v[8:9], off th:TH_LOAD_NT
	v_add_nc_u32_e32 v14, 1, v14
	s_mov_b32 s1, -1
	s_mov_b32 s14, -1
	s_mov_b32 s15, exec_lo
	s_wait_xcnt 0x0
	v_cmpx_eq_u32_e32 0xf4240, v14
	s_cbranch_execz .LBB0_3270
; %bb.3269:                             ;   in Loop: Header=BB0_3268 Depth=2
	s_wait_loadcnt 0x0
	s_wait_storecnt 0x0
	global_load_b32 v0, v2, s[10:11] scope:SCOPE_SYS
	s_wait_loadcnt 0x0
	global_inv scope:SCOPE_SYS
	v_mov_b32_e32 v14, 0
	v_cmp_eq_u32_e64 s0, 0, v0
	s_or_not1_b32 s14, s0, exec_lo
.LBB0_3270:                             ;   in Loop: Header=BB0_3268 Depth=2
	s_wait_xcnt 0x0
	s_or_b32 exec_lo, exec_lo, s15
	s_and_saveexec_b32 s15, s14
	s_cbranch_execz .LBB0_3272
; %bb.3271:                             ;   in Loop: Header=BB0_3268 Depth=2
	s_wait_loadcnt 0x0
	v_cmp_eq_u32_e64 s0, s6, v5
	v_cmp_eq_u32_e64 s1, s6, v7
	s_and_b32 s0, s0, s1
	s_delay_alu instid0(SALU_CYCLE_1)
	s_or_not1_b32 s1, s0, exec_lo
.LBB0_3272:                             ;   in Loop: Header=BB0_3268 Depth=2
	s_or_b32 exec_lo, exec_lo, s15
	s_delay_alu instid0(SALU_CYCLE_1) | instskip(NEXT) | instid1(SALU_CYCLE_1)
	s_and_b32 s0, exec_lo, s1
	s_or_b32 s13, s0, s13
	s_delay_alu instid0(SALU_CYCLE_1)
	s_and_not1_b32 exec_lo, exec_lo, s13
	s_cbranch_execnz .LBB0_3268
; %bb.3273:                             ;   in Loop: Header=BB0_3268 Depth=2
	s_or_b32 exec_lo, exec_lo, s13
	s_wait_loadcnt 0x0
	v_dual_mov_b32 v5, v6 :: v_dual_mov_b32 v14, 0
	s_mov_b32 s13, 0
	s_delay_alu instid0(VALU_DEP_1) | instskip(SKIP_1) | instid1(SALU_CYCLE_1)
	v_cmp_eq_u64_e64 s0, s[6:7], v[4:5]
	s_or_b32 s12, s0, s12
	s_and_not1_b32 exec_lo, exec_lo, s12
	s_cbranch_execnz .LBB0_3268
; %bb.3274:                             ;   in Loop: Header=BB0_1755 Depth=1
	s_or_b32 exec_lo, exec_lo, s12
	s_add_co_i32 s6, s4, 0xd9
	s_mov_b32 s1, s5
	s_bfe_u32 s0, s6, 0x100003
	v_dual_mov_b32 v0, s6 :: v_dual_mov_b32 v1, s6
	s_mulk_i32 s0, 0x20c5
	v_dual_mov_b32 v3, s6 :: v_dual_mov_b32 v14, 0
	s_lshr_b32 s0, s0, 20
	s_mov_b32 s7, s5
	s_mulk_i32 s0, 0x3e8
	s_mov_b32 s12, 0
	s_sub_co_i32 s0, s6, s0
	s_delay_alu instid0(SALU_CYCLE_1) | instskip(NEXT) | instid1(SALU_CYCLE_1)
	s_and_b32 s0, s0, 0xffff
	s_lshl_b32 s0, s0, 12
	s_delay_alu instid0(SALU_CYCLE_1)
	v_add_nc_u64_e32 v[4:5], s[0:1], v[10:11]
	v_add_nc_u64_e32 v[8:9], s[0:1], v[12:13]
	global_store_b128 v[4:5], v[0:3], off th:TH_STORE_NT
.LBB0_3275:                             ;   Parent Loop BB0_1755 Depth=1
                                        ; =>  This Inner Loop Header: Depth=2
	s_wait_loadcnt 0x0
	global_load_b128 v[4:7], v[8:9], off th:TH_LOAD_NT
	v_add_nc_u32_e32 v14, 1, v14
	s_mov_b32 s1, -1
	s_mov_b32 s14, -1
	s_mov_b32 s15, exec_lo
	s_wait_xcnt 0x0
	v_cmpx_eq_u32_e32 0xf4240, v14
	s_cbranch_execz .LBB0_3277
; %bb.3276:                             ;   in Loop: Header=BB0_3275 Depth=2
	s_wait_loadcnt 0x0
	s_wait_storecnt 0x0
	global_load_b32 v0, v2, s[10:11] scope:SCOPE_SYS
	s_wait_loadcnt 0x0
	global_inv scope:SCOPE_SYS
	v_mov_b32_e32 v14, 0
	v_cmp_eq_u32_e64 s0, 0, v0
	s_or_not1_b32 s14, s0, exec_lo
.LBB0_3277:                             ;   in Loop: Header=BB0_3275 Depth=2
	s_wait_xcnt 0x0
	s_or_b32 exec_lo, exec_lo, s15
	s_and_saveexec_b32 s15, s14
	s_cbranch_execz .LBB0_3279
; %bb.3278:                             ;   in Loop: Header=BB0_3275 Depth=2
	s_wait_loadcnt 0x0
	v_cmp_eq_u32_e64 s0, s6, v5
	v_cmp_eq_u32_e64 s1, s6, v7
	s_and_b32 s0, s0, s1
	s_delay_alu instid0(SALU_CYCLE_1)
	s_or_not1_b32 s1, s0, exec_lo
.LBB0_3279:                             ;   in Loop: Header=BB0_3275 Depth=2
	s_or_b32 exec_lo, exec_lo, s15
	s_delay_alu instid0(SALU_CYCLE_1) | instskip(NEXT) | instid1(SALU_CYCLE_1)
	s_and_b32 s0, exec_lo, s1
	s_or_b32 s13, s0, s13
	s_delay_alu instid0(SALU_CYCLE_1)
	s_and_not1_b32 exec_lo, exec_lo, s13
	s_cbranch_execnz .LBB0_3275
; %bb.3280:                             ;   in Loop: Header=BB0_3275 Depth=2
	s_or_b32 exec_lo, exec_lo, s13
	s_wait_loadcnt 0x0
	v_dual_mov_b32 v5, v6 :: v_dual_mov_b32 v14, 0
	s_mov_b32 s13, 0
	s_delay_alu instid0(VALU_DEP_1) | instskip(SKIP_1) | instid1(SALU_CYCLE_1)
	v_cmp_eq_u64_e64 s0, s[6:7], v[4:5]
	s_or_b32 s12, s0, s12
	s_and_not1_b32 exec_lo, exec_lo, s12
	s_cbranch_execnz .LBB0_3275
; %bb.3281:                             ;   in Loop: Header=BB0_1755 Depth=1
	s_or_b32 exec_lo, exec_lo, s12
	s_add_co_i32 s6, s4, 0xda
	s_mov_b32 s1, s5
	s_bfe_u32 s0, s6, 0x100003
	v_dual_mov_b32 v0, s6 :: v_dual_mov_b32 v1, s6
	s_mulk_i32 s0, 0x20c5
	v_dual_mov_b32 v3, s6 :: v_dual_mov_b32 v14, 0
	s_lshr_b32 s0, s0, 20
	s_mov_b32 s7, s5
	s_mulk_i32 s0, 0x3e8
	s_mov_b32 s12, 0
	s_sub_co_i32 s0, s6, s0
	s_delay_alu instid0(SALU_CYCLE_1) | instskip(NEXT) | instid1(SALU_CYCLE_1)
	s_and_b32 s0, s0, 0xffff
	s_lshl_b32 s0, s0, 12
	s_delay_alu instid0(SALU_CYCLE_1)
	v_add_nc_u64_e32 v[4:5], s[0:1], v[10:11]
	v_add_nc_u64_e32 v[8:9], s[0:1], v[12:13]
	global_store_b128 v[4:5], v[0:3], off th:TH_STORE_NT
.LBB0_3282:                             ;   Parent Loop BB0_1755 Depth=1
                                        ; =>  This Inner Loop Header: Depth=2
	s_wait_loadcnt 0x0
	global_load_b128 v[4:7], v[8:9], off th:TH_LOAD_NT
	v_add_nc_u32_e32 v14, 1, v14
	s_mov_b32 s1, -1
	s_mov_b32 s14, -1
	s_mov_b32 s15, exec_lo
	s_wait_xcnt 0x0
	v_cmpx_eq_u32_e32 0xf4240, v14
	s_cbranch_execz .LBB0_3284
; %bb.3283:                             ;   in Loop: Header=BB0_3282 Depth=2
	s_wait_loadcnt 0x0
	s_wait_storecnt 0x0
	global_load_b32 v0, v2, s[10:11] scope:SCOPE_SYS
	s_wait_loadcnt 0x0
	global_inv scope:SCOPE_SYS
	v_mov_b32_e32 v14, 0
	v_cmp_eq_u32_e64 s0, 0, v0
	s_or_not1_b32 s14, s0, exec_lo
.LBB0_3284:                             ;   in Loop: Header=BB0_3282 Depth=2
	s_wait_xcnt 0x0
	s_or_b32 exec_lo, exec_lo, s15
	s_and_saveexec_b32 s15, s14
	s_cbranch_execz .LBB0_3286
; %bb.3285:                             ;   in Loop: Header=BB0_3282 Depth=2
	s_wait_loadcnt 0x0
	v_cmp_eq_u32_e64 s0, s6, v5
	v_cmp_eq_u32_e64 s1, s6, v7
	s_and_b32 s0, s0, s1
	s_delay_alu instid0(SALU_CYCLE_1)
	s_or_not1_b32 s1, s0, exec_lo
.LBB0_3286:                             ;   in Loop: Header=BB0_3282 Depth=2
	s_or_b32 exec_lo, exec_lo, s15
	s_delay_alu instid0(SALU_CYCLE_1) | instskip(NEXT) | instid1(SALU_CYCLE_1)
	s_and_b32 s0, exec_lo, s1
	s_or_b32 s13, s0, s13
	s_delay_alu instid0(SALU_CYCLE_1)
	s_and_not1_b32 exec_lo, exec_lo, s13
	s_cbranch_execnz .LBB0_3282
; %bb.3287:                             ;   in Loop: Header=BB0_3282 Depth=2
	s_or_b32 exec_lo, exec_lo, s13
	s_wait_loadcnt 0x0
	v_dual_mov_b32 v5, v6 :: v_dual_mov_b32 v14, 0
	s_mov_b32 s13, 0
	s_delay_alu instid0(VALU_DEP_1) | instskip(SKIP_1) | instid1(SALU_CYCLE_1)
	v_cmp_eq_u64_e64 s0, s[6:7], v[4:5]
	s_or_b32 s12, s0, s12
	s_and_not1_b32 exec_lo, exec_lo, s12
	s_cbranch_execnz .LBB0_3282
; %bb.3288:                             ;   in Loop: Header=BB0_1755 Depth=1
	s_or_b32 exec_lo, exec_lo, s12
	s_add_co_i32 s6, s4, 0xdb
	s_mov_b32 s1, s5
	s_bfe_u32 s0, s6, 0x100003
	v_dual_mov_b32 v0, s6 :: v_dual_mov_b32 v1, s6
	s_mulk_i32 s0, 0x20c5
	v_dual_mov_b32 v3, s6 :: v_dual_mov_b32 v14, 0
	s_lshr_b32 s0, s0, 20
	s_mov_b32 s7, s5
	s_mulk_i32 s0, 0x3e8
	s_mov_b32 s12, 0
	s_sub_co_i32 s0, s6, s0
	s_delay_alu instid0(SALU_CYCLE_1) | instskip(NEXT) | instid1(SALU_CYCLE_1)
	s_and_b32 s0, s0, 0xffff
	s_lshl_b32 s0, s0, 12
	s_delay_alu instid0(SALU_CYCLE_1)
	v_add_nc_u64_e32 v[4:5], s[0:1], v[10:11]
	v_add_nc_u64_e32 v[8:9], s[0:1], v[12:13]
	global_store_b128 v[4:5], v[0:3], off th:TH_STORE_NT
.LBB0_3289:                             ;   Parent Loop BB0_1755 Depth=1
                                        ; =>  This Inner Loop Header: Depth=2
	s_wait_loadcnt 0x0
	global_load_b128 v[4:7], v[8:9], off th:TH_LOAD_NT
	v_add_nc_u32_e32 v14, 1, v14
	s_mov_b32 s1, -1
	s_mov_b32 s14, -1
	s_mov_b32 s15, exec_lo
	s_wait_xcnt 0x0
	v_cmpx_eq_u32_e32 0xf4240, v14
	s_cbranch_execz .LBB0_3291
; %bb.3290:                             ;   in Loop: Header=BB0_3289 Depth=2
	s_wait_loadcnt 0x0
	s_wait_storecnt 0x0
	global_load_b32 v0, v2, s[10:11] scope:SCOPE_SYS
	s_wait_loadcnt 0x0
	global_inv scope:SCOPE_SYS
	v_mov_b32_e32 v14, 0
	v_cmp_eq_u32_e64 s0, 0, v0
	s_or_not1_b32 s14, s0, exec_lo
.LBB0_3291:                             ;   in Loop: Header=BB0_3289 Depth=2
	s_wait_xcnt 0x0
	s_or_b32 exec_lo, exec_lo, s15
	s_and_saveexec_b32 s15, s14
	s_cbranch_execz .LBB0_3293
; %bb.3292:                             ;   in Loop: Header=BB0_3289 Depth=2
	s_wait_loadcnt 0x0
	v_cmp_eq_u32_e64 s0, s6, v5
	v_cmp_eq_u32_e64 s1, s6, v7
	s_and_b32 s0, s0, s1
	s_delay_alu instid0(SALU_CYCLE_1)
	s_or_not1_b32 s1, s0, exec_lo
.LBB0_3293:                             ;   in Loop: Header=BB0_3289 Depth=2
	s_or_b32 exec_lo, exec_lo, s15
	s_delay_alu instid0(SALU_CYCLE_1) | instskip(NEXT) | instid1(SALU_CYCLE_1)
	s_and_b32 s0, exec_lo, s1
	s_or_b32 s13, s0, s13
	s_delay_alu instid0(SALU_CYCLE_1)
	s_and_not1_b32 exec_lo, exec_lo, s13
	s_cbranch_execnz .LBB0_3289
; %bb.3294:                             ;   in Loop: Header=BB0_3289 Depth=2
	s_or_b32 exec_lo, exec_lo, s13
	s_wait_loadcnt 0x0
	v_dual_mov_b32 v5, v6 :: v_dual_mov_b32 v14, 0
	s_mov_b32 s13, 0
	s_delay_alu instid0(VALU_DEP_1) | instskip(SKIP_1) | instid1(SALU_CYCLE_1)
	v_cmp_eq_u64_e64 s0, s[6:7], v[4:5]
	s_or_b32 s12, s0, s12
	s_and_not1_b32 exec_lo, exec_lo, s12
	s_cbranch_execnz .LBB0_3289
; %bb.3295:                             ;   in Loop: Header=BB0_1755 Depth=1
	s_or_b32 exec_lo, exec_lo, s12
	s_add_co_i32 s6, s4, 0xdc
	s_mov_b32 s1, s5
	s_bfe_u32 s0, s6, 0x100003
	v_dual_mov_b32 v0, s6 :: v_dual_mov_b32 v1, s6
	s_mulk_i32 s0, 0x20c5
	v_dual_mov_b32 v3, s6 :: v_dual_mov_b32 v14, 0
	s_lshr_b32 s0, s0, 20
	s_mov_b32 s7, s5
	s_mulk_i32 s0, 0x3e8
	s_mov_b32 s12, 0
	s_sub_co_i32 s0, s6, s0
	s_delay_alu instid0(SALU_CYCLE_1) | instskip(NEXT) | instid1(SALU_CYCLE_1)
	s_and_b32 s0, s0, 0xffff
	s_lshl_b32 s0, s0, 12
	s_delay_alu instid0(SALU_CYCLE_1)
	v_add_nc_u64_e32 v[4:5], s[0:1], v[10:11]
	v_add_nc_u64_e32 v[8:9], s[0:1], v[12:13]
	global_store_b128 v[4:5], v[0:3], off th:TH_STORE_NT
.LBB0_3296:                             ;   Parent Loop BB0_1755 Depth=1
                                        ; =>  This Inner Loop Header: Depth=2
	s_wait_loadcnt 0x0
	global_load_b128 v[4:7], v[8:9], off th:TH_LOAD_NT
	v_add_nc_u32_e32 v14, 1, v14
	s_mov_b32 s1, -1
	s_mov_b32 s14, -1
	s_mov_b32 s15, exec_lo
	s_wait_xcnt 0x0
	v_cmpx_eq_u32_e32 0xf4240, v14
	s_cbranch_execz .LBB0_3298
; %bb.3297:                             ;   in Loop: Header=BB0_3296 Depth=2
	s_wait_loadcnt 0x0
	s_wait_storecnt 0x0
	global_load_b32 v0, v2, s[10:11] scope:SCOPE_SYS
	s_wait_loadcnt 0x0
	global_inv scope:SCOPE_SYS
	v_mov_b32_e32 v14, 0
	v_cmp_eq_u32_e64 s0, 0, v0
	s_or_not1_b32 s14, s0, exec_lo
.LBB0_3298:                             ;   in Loop: Header=BB0_3296 Depth=2
	s_wait_xcnt 0x0
	s_or_b32 exec_lo, exec_lo, s15
	s_and_saveexec_b32 s15, s14
	s_cbranch_execz .LBB0_3300
; %bb.3299:                             ;   in Loop: Header=BB0_3296 Depth=2
	s_wait_loadcnt 0x0
	v_cmp_eq_u32_e64 s0, s6, v5
	v_cmp_eq_u32_e64 s1, s6, v7
	s_and_b32 s0, s0, s1
	s_delay_alu instid0(SALU_CYCLE_1)
	s_or_not1_b32 s1, s0, exec_lo
.LBB0_3300:                             ;   in Loop: Header=BB0_3296 Depth=2
	s_or_b32 exec_lo, exec_lo, s15
	s_delay_alu instid0(SALU_CYCLE_1) | instskip(NEXT) | instid1(SALU_CYCLE_1)
	s_and_b32 s0, exec_lo, s1
	s_or_b32 s13, s0, s13
	s_delay_alu instid0(SALU_CYCLE_1)
	s_and_not1_b32 exec_lo, exec_lo, s13
	s_cbranch_execnz .LBB0_3296
; %bb.3301:                             ;   in Loop: Header=BB0_3296 Depth=2
	s_or_b32 exec_lo, exec_lo, s13
	s_wait_loadcnt 0x0
	v_dual_mov_b32 v5, v6 :: v_dual_mov_b32 v14, 0
	s_mov_b32 s13, 0
	s_delay_alu instid0(VALU_DEP_1) | instskip(SKIP_1) | instid1(SALU_CYCLE_1)
	v_cmp_eq_u64_e64 s0, s[6:7], v[4:5]
	s_or_b32 s12, s0, s12
	s_and_not1_b32 exec_lo, exec_lo, s12
	s_cbranch_execnz .LBB0_3296
; %bb.3302:                             ;   in Loop: Header=BB0_1755 Depth=1
	s_or_b32 exec_lo, exec_lo, s12
	s_add_co_i32 s6, s4, 0xdd
	s_mov_b32 s1, s5
	s_bfe_u32 s0, s6, 0x100003
	v_dual_mov_b32 v0, s6 :: v_dual_mov_b32 v1, s6
	s_mulk_i32 s0, 0x20c5
	v_dual_mov_b32 v3, s6 :: v_dual_mov_b32 v14, 0
	s_lshr_b32 s0, s0, 20
	s_mov_b32 s7, s5
	s_mulk_i32 s0, 0x3e8
	s_mov_b32 s12, 0
	s_sub_co_i32 s0, s6, s0
	s_delay_alu instid0(SALU_CYCLE_1) | instskip(NEXT) | instid1(SALU_CYCLE_1)
	s_and_b32 s0, s0, 0xffff
	s_lshl_b32 s0, s0, 12
	s_delay_alu instid0(SALU_CYCLE_1)
	v_add_nc_u64_e32 v[4:5], s[0:1], v[10:11]
	v_add_nc_u64_e32 v[8:9], s[0:1], v[12:13]
	global_store_b128 v[4:5], v[0:3], off th:TH_STORE_NT
.LBB0_3303:                             ;   Parent Loop BB0_1755 Depth=1
                                        ; =>  This Inner Loop Header: Depth=2
	s_wait_loadcnt 0x0
	global_load_b128 v[4:7], v[8:9], off th:TH_LOAD_NT
	v_add_nc_u32_e32 v14, 1, v14
	s_mov_b32 s1, -1
	s_mov_b32 s14, -1
	s_mov_b32 s15, exec_lo
	s_wait_xcnt 0x0
	v_cmpx_eq_u32_e32 0xf4240, v14
	s_cbranch_execz .LBB0_3305
; %bb.3304:                             ;   in Loop: Header=BB0_3303 Depth=2
	s_wait_loadcnt 0x0
	s_wait_storecnt 0x0
	global_load_b32 v0, v2, s[10:11] scope:SCOPE_SYS
	s_wait_loadcnt 0x0
	global_inv scope:SCOPE_SYS
	v_mov_b32_e32 v14, 0
	v_cmp_eq_u32_e64 s0, 0, v0
	s_or_not1_b32 s14, s0, exec_lo
.LBB0_3305:                             ;   in Loop: Header=BB0_3303 Depth=2
	s_wait_xcnt 0x0
	s_or_b32 exec_lo, exec_lo, s15
	s_and_saveexec_b32 s15, s14
	s_cbranch_execz .LBB0_3307
; %bb.3306:                             ;   in Loop: Header=BB0_3303 Depth=2
	s_wait_loadcnt 0x0
	v_cmp_eq_u32_e64 s0, s6, v5
	v_cmp_eq_u32_e64 s1, s6, v7
	s_and_b32 s0, s0, s1
	s_delay_alu instid0(SALU_CYCLE_1)
	s_or_not1_b32 s1, s0, exec_lo
.LBB0_3307:                             ;   in Loop: Header=BB0_3303 Depth=2
	s_or_b32 exec_lo, exec_lo, s15
	s_delay_alu instid0(SALU_CYCLE_1) | instskip(NEXT) | instid1(SALU_CYCLE_1)
	s_and_b32 s0, exec_lo, s1
	s_or_b32 s13, s0, s13
	s_delay_alu instid0(SALU_CYCLE_1)
	s_and_not1_b32 exec_lo, exec_lo, s13
	s_cbranch_execnz .LBB0_3303
; %bb.3308:                             ;   in Loop: Header=BB0_3303 Depth=2
	s_or_b32 exec_lo, exec_lo, s13
	s_wait_loadcnt 0x0
	v_dual_mov_b32 v5, v6 :: v_dual_mov_b32 v14, 0
	s_mov_b32 s13, 0
	s_delay_alu instid0(VALU_DEP_1) | instskip(SKIP_1) | instid1(SALU_CYCLE_1)
	v_cmp_eq_u64_e64 s0, s[6:7], v[4:5]
	s_or_b32 s12, s0, s12
	s_and_not1_b32 exec_lo, exec_lo, s12
	s_cbranch_execnz .LBB0_3303
; %bb.3309:                             ;   in Loop: Header=BB0_1755 Depth=1
	s_or_b32 exec_lo, exec_lo, s12
	s_add_co_i32 s6, s4, 0xde
	s_mov_b32 s1, s5
	s_bfe_u32 s0, s6, 0x100003
	v_dual_mov_b32 v0, s6 :: v_dual_mov_b32 v1, s6
	s_mulk_i32 s0, 0x20c5
	v_dual_mov_b32 v3, s6 :: v_dual_mov_b32 v14, 0
	s_lshr_b32 s0, s0, 20
	s_mov_b32 s7, s5
	s_mulk_i32 s0, 0x3e8
	s_mov_b32 s12, 0
	s_sub_co_i32 s0, s6, s0
	s_delay_alu instid0(SALU_CYCLE_1) | instskip(NEXT) | instid1(SALU_CYCLE_1)
	s_and_b32 s0, s0, 0xffff
	s_lshl_b32 s0, s0, 12
	s_delay_alu instid0(SALU_CYCLE_1)
	v_add_nc_u64_e32 v[4:5], s[0:1], v[10:11]
	v_add_nc_u64_e32 v[8:9], s[0:1], v[12:13]
	global_store_b128 v[4:5], v[0:3], off th:TH_STORE_NT
.LBB0_3310:                             ;   Parent Loop BB0_1755 Depth=1
                                        ; =>  This Inner Loop Header: Depth=2
	s_wait_loadcnt 0x0
	global_load_b128 v[4:7], v[8:9], off th:TH_LOAD_NT
	v_add_nc_u32_e32 v14, 1, v14
	s_mov_b32 s1, -1
	s_mov_b32 s14, -1
	s_mov_b32 s15, exec_lo
	s_wait_xcnt 0x0
	v_cmpx_eq_u32_e32 0xf4240, v14
	s_cbranch_execz .LBB0_3312
; %bb.3311:                             ;   in Loop: Header=BB0_3310 Depth=2
	s_wait_loadcnt 0x0
	s_wait_storecnt 0x0
	global_load_b32 v0, v2, s[10:11] scope:SCOPE_SYS
	s_wait_loadcnt 0x0
	global_inv scope:SCOPE_SYS
	v_mov_b32_e32 v14, 0
	v_cmp_eq_u32_e64 s0, 0, v0
	s_or_not1_b32 s14, s0, exec_lo
.LBB0_3312:                             ;   in Loop: Header=BB0_3310 Depth=2
	s_wait_xcnt 0x0
	s_or_b32 exec_lo, exec_lo, s15
	s_and_saveexec_b32 s15, s14
	s_cbranch_execz .LBB0_3314
; %bb.3313:                             ;   in Loop: Header=BB0_3310 Depth=2
	s_wait_loadcnt 0x0
	v_cmp_eq_u32_e64 s0, s6, v5
	v_cmp_eq_u32_e64 s1, s6, v7
	s_and_b32 s0, s0, s1
	s_delay_alu instid0(SALU_CYCLE_1)
	s_or_not1_b32 s1, s0, exec_lo
.LBB0_3314:                             ;   in Loop: Header=BB0_3310 Depth=2
	s_or_b32 exec_lo, exec_lo, s15
	s_delay_alu instid0(SALU_CYCLE_1) | instskip(NEXT) | instid1(SALU_CYCLE_1)
	s_and_b32 s0, exec_lo, s1
	s_or_b32 s13, s0, s13
	s_delay_alu instid0(SALU_CYCLE_1)
	s_and_not1_b32 exec_lo, exec_lo, s13
	s_cbranch_execnz .LBB0_3310
; %bb.3315:                             ;   in Loop: Header=BB0_3310 Depth=2
	s_or_b32 exec_lo, exec_lo, s13
	s_wait_loadcnt 0x0
	v_dual_mov_b32 v5, v6 :: v_dual_mov_b32 v14, 0
	s_mov_b32 s13, 0
	s_delay_alu instid0(VALU_DEP_1) | instskip(SKIP_1) | instid1(SALU_CYCLE_1)
	v_cmp_eq_u64_e64 s0, s[6:7], v[4:5]
	s_or_b32 s12, s0, s12
	s_and_not1_b32 exec_lo, exec_lo, s12
	s_cbranch_execnz .LBB0_3310
; %bb.3316:                             ;   in Loop: Header=BB0_1755 Depth=1
	s_or_b32 exec_lo, exec_lo, s12
	s_add_co_i32 s6, s4, 0xdf
	s_mov_b32 s1, s5
	s_bfe_u32 s0, s6, 0x100003
	v_dual_mov_b32 v0, s6 :: v_dual_mov_b32 v1, s6
	s_mulk_i32 s0, 0x20c5
	v_dual_mov_b32 v3, s6 :: v_dual_mov_b32 v14, 0
	s_lshr_b32 s0, s0, 20
	s_mov_b32 s7, s5
	s_mulk_i32 s0, 0x3e8
	s_mov_b32 s12, 0
	s_sub_co_i32 s0, s6, s0
	s_delay_alu instid0(SALU_CYCLE_1) | instskip(NEXT) | instid1(SALU_CYCLE_1)
	s_and_b32 s0, s0, 0xffff
	s_lshl_b32 s0, s0, 12
	s_delay_alu instid0(SALU_CYCLE_1)
	v_add_nc_u64_e32 v[4:5], s[0:1], v[10:11]
	v_add_nc_u64_e32 v[8:9], s[0:1], v[12:13]
	global_store_b128 v[4:5], v[0:3], off th:TH_STORE_NT
.LBB0_3317:                             ;   Parent Loop BB0_1755 Depth=1
                                        ; =>  This Inner Loop Header: Depth=2
	s_wait_loadcnt 0x0
	global_load_b128 v[4:7], v[8:9], off th:TH_LOAD_NT
	v_add_nc_u32_e32 v14, 1, v14
	s_mov_b32 s1, -1
	s_mov_b32 s14, -1
	s_mov_b32 s15, exec_lo
	s_wait_xcnt 0x0
	v_cmpx_eq_u32_e32 0xf4240, v14
	s_cbranch_execz .LBB0_3319
; %bb.3318:                             ;   in Loop: Header=BB0_3317 Depth=2
	s_wait_loadcnt 0x0
	s_wait_storecnt 0x0
	global_load_b32 v0, v2, s[10:11] scope:SCOPE_SYS
	s_wait_loadcnt 0x0
	global_inv scope:SCOPE_SYS
	v_mov_b32_e32 v14, 0
	v_cmp_eq_u32_e64 s0, 0, v0
	s_or_not1_b32 s14, s0, exec_lo
.LBB0_3319:                             ;   in Loop: Header=BB0_3317 Depth=2
	s_wait_xcnt 0x0
	s_or_b32 exec_lo, exec_lo, s15
	s_and_saveexec_b32 s15, s14
	s_cbranch_execz .LBB0_3321
; %bb.3320:                             ;   in Loop: Header=BB0_3317 Depth=2
	s_wait_loadcnt 0x0
	v_cmp_eq_u32_e64 s0, s6, v5
	v_cmp_eq_u32_e64 s1, s6, v7
	s_and_b32 s0, s0, s1
	s_delay_alu instid0(SALU_CYCLE_1)
	s_or_not1_b32 s1, s0, exec_lo
.LBB0_3321:                             ;   in Loop: Header=BB0_3317 Depth=2
	s_or_b32 exec_lo, exec_lo, s15
	s_delay_alu instid0(SALU_CYCLE_1) | instskip(NEXT) | instid1(SALU_CYCLE_1)
	s_and_b32 s0, exec_lo, s1
	s_or_b32 s13, s0, s13
	s_delay_alu instid0(SALU_CYCLE_1)
	s_and_not1_b32 exec_lo, exec_lo, s13
	s_cbranch_execnz .LBB0_3317
; %bb.3322:                             ;   in Loop: Header=BB0_3317 Depth=2
	s_or_b32 exec_lo, exec_lo, s13
	s_wait_loadcnt 0x0
	v_dual_mov_b32 v5, v6 :: v_dual_mov_b32 v14, 0
	s_mov_b32 s13, 0
	s_delay_alu instid0(VALU_DEP_1) | instskip(SKIP_1) | instid1(SALU_CYCLE_1)
	v_cmp_eq_u64_e64 s0, s[6:7], v[4:5]
	s_or_b32 s12, s0, s12
	s_and_not1_b32 exec_lo, exec_lo, s12
	s_cbranch_execnz .LBB0_3317
; %bb.3323:                             ;   in Loop: Header=BB0_1755 Depth=1
	s_or_b32 exec_lo, exec_lo, s12
	s_add_co_i32 s6, s4, 0xe0
	s_mov_b32 s1, s5
	s_bfe_u32 s0, s6, 0x100003
	v_dual_mov_b32 v0, s6 :: v_dual_mov_b32 v1, s6
	s_mulk_i32 s0, 0x20c5
	v_dual_mov_b32 v3, s6 :: v_dual_mov_b32 v14, 0
	s_lshr_b32 s0, s0, 20
	s_mov_b32 s7, s5
	s_mulk_i32 s0, 0x3e8
	s_mov_b32 s12, 0
	s_sub_co_i32 s0, s6, s0
	s_delay_alu instid0(SALU_CYCLE_1) | instskip(NEXT) | instid1(SALU_CYCLE_1)
	s_and_b32 s0, s0, 0xffff
	s_lshl_b32 s0, s0, 12
	s_delay_alu instid0(SALU_CYCLE_1)
	v_add_nc_u64_e32 v[4:5], s[0:1], v[10:11]
	v_add_nc_u64_e32 v[8:9], s[0:1], v[12:13]
	global_store_b128 v[4:5], v[0:3], off th:TH_STORE_NT
.LBB0_3324:                             ;   Parent Loop BB0_1755 Depth=1
                                        ; =>  This Inner Loop Header: Depth=2
	s_wait_loadcnt 0x0
	global_load_b128 v[4:7], v[8:9], off th:TH_LOAD_NT
	v_add_nc_u32_e32 v14, 1, v14
	s_mov_b32 s1, -1
	s_mov_b32 s14, -1
	s_mov_b32 s15, exec_lo
	s_wait_xcnt 0x0
	v_cmpx_eq_u32_e32 0xf4240, v14
	s_cbranch_execz .LBB0_3326
; %bb.3325:                             ;   in Loop: Header=BB0_3324 Depth=2
	s_wait_loadcnt 0x0
	s_wait_storecnt 0x0
	global_load_b32 v0, v2, s[10:11] scope:SCOPE_SYS
	s_wait_loadcnt 0x0
	global_inv scope:SCOPE_SYS
	v_mov_b32_e32 v14, 0
	v_cmp_eq_u32_e64 s0, 0, v0
	s_or_not1_b32 s14, s0, exec_lo
.LBB0_3326:                             ;   in Loop: Header=BB0_3324 Depth=2
	s_wait_xcnt 0x0
	s_or_b32 exec_lo, exec_lo, s15
	s_and_saveexec_b32 s15, s14
	s_cbranch_execz .LBB0_3328
; %bb.3327:                             ;   in Loop: Header=BB0_3324 Depth=2
	s_wait_loadcnt 0x0
	v_cmp_eq_u32_e64 s0, s6, v5
	v_cmp_eq_u32_e64 s1, s6, v7
	s_and_b32 s0, s0, s1
	s_delay_alu instid0(SALU_CYCLE_1)
	s_or_not1_b32 s1, s0, exec_lo
.LBB0_3328:                             ;   in Loop: Header=BB0_3324 Depth=2
	s_or_b32 exec_lo, exec_lo, s15
	s_delay_alu instid0(SALU_CYCLE_1) | instskip(NEXT) | instid1(SALU_CYCLE_1)
	s_and_b32 s0, exec_lo, s1
	s_or_b32 s13, s0, s13
	s_delay_alu instid0(SALU_CYCLE_1)
	s_and_not1_b32 exec_lo, exec_lo, s13
	s_cbranch_execnz .LBB0_3324
; %bb.3329:                             ;   in Loop: Header=BB0_3324 Depth=2
	s_or_b32 exec_lo, exec_lo, s13
	s_wait_loadcnt 0x0
	v_dual_mov_b32 v5, v6 :: v_dual_mov_b32 v14, 0
	s_mov_b32 s13, 0
	s_delay_alu instid0(VALU_DEP_1) | instskip(SKIP_1) | instid1(SALU_CYCLE_1)
	v_cmp_eq_u64_e64 s0, s[6:7], v[4:5]
	s_or_b32 s12, s0, s12
	s_and_not1_b32 exec_lo, exec_lo, s12
	s_cbranch_execnz .LBB0_3324
; %bb.3330:                             ;   in Loop: Header=BB0_1755 Depth=1
	s_or_b32 exec_lo, exec_lo, s12
	s_add_co_i32 s6, s4, 0xe1
	s_mov_b32 s1, s5
	s_bfe_u32 s0, s6, 0x100003
	v_dual_mov_b32 v0, s6 :: v_dual_mov_b32 v1, s6
	s_mulk_i32 s0, 0x20c5
	v_dual_mov_b32 v3, s6 :: v_dual_mov_b32 v14, 0
	s_lshr_b32 s0, s0, 20
	s_mov_b32 s7, s5
	s_mulk_i32 s0, 0x3e8
	s_mov_b32 s12, 0
	s_sub_co_i32 s0, s6, s0
	s_delay_alu instid0(SALU_CYCLE_1) | instskip(NEXT) | instid1(SALU_CYCLE_1)
	s_and_b32 s0, s0, 0xffff
	s_lshl_b32 s0, s0, 12
	s_delay_alu instid0(SALU_CYCLE_1)
	v_add_nc_u64_e32 v[4:5], s[0:1], v[10:11]
	v_add_nc_u64_e32 v[8:9], s[0:1], v[12:13]
	global_store_b128 v[4:5], v[0:3], off th:TH_STORE_NT
.LBB0_3331:                             ;   Parent Loop BB0_1755 Depth=1
                                        ; =>  This Inner Loop Header: Depth=2
	s_wait_loadcnt 0x0
	global_load_b128 v[4:7], v[8:9], off th:TH_LOAD_NT
	v_add_nc_u32_e32 v14, 1, v14
	s_mov_b32 s1, -1
	s_mov_b32 s14, -1
	s_mov_b32 s15, exec_lo
	s_wait_xcnt 0x0
	v_cmpx_eq_u32_e32 0xf4240, v14
	s_cbranch_execz .LBB0_3333
; %bb.3332:                             ;   in Loop: Header=BB0_3331 Depth=2
	s_wait_loadcnt 0x0
	s_wait_storecnt 0x0
	global_load_b32 v0, v2, s[10:11] scope:SCOPE_SYS
	s_wait_loadcnt 0x0
	global_inv scope:SCOPE_SYS
	v_mov_b32_e32 v14, 0
	v_cmp_eq_u32_e64 s0, 0, v0
	s_or_not1_b32 s14, s0, exec_lo
.LBB0_3333:                             ;   in Loop: Header=BB0_3331 Depth=2
	s_wait_xcnt 0x0
	s_or_b32 exec_lo, exec_lo, s15
	s_and_saveexec_b32 s15, s14
	s_cbranch_execz .LBB0_3335
; %bb.3334:                             ;   in Loop: Header=BB0_3331 Depth=2
	s_wait_loadcnt 0x0
	v_cmp_eq_u32_e64 s0, s6, v5
	v_cmp_eq_u32_e64 s1, s6, v7
	s_and_b32 s0, s0, s1
	s_delay_alu instid0(SALU_CYCLE_1)
	s_or_not1_b32 s1, s0, exec_lo
.LBB0_3335:                             ;   in Loop: Header=BB0_3331 Depth=2
	s_or_b32 exec_lo, exec_lo, s15
	s_delay_alu instid0(SALU_CYCLE_1) | instskip(NEXT) | instid1(SALU_CYCLE_1)
	s_and_b32 s0, exec_lo, s1
	s_or_b32 s13, s0, s13
	s_delay_alu instid0(SALU_CYCLE_1)
	s_and_not1_b32 exec_lo, exec_lo, s13
	s_cbranch_execnz .LBB0_3331
; %bb.3336:                             ;   in Loop: Header=BB0_3331 Depth=2
	s_or_b32 exec_lo, exec_lo, s13
	s_wait_loadcnt 0x0
	v_dual_mov_b32 v5, v6 :: v_dual_mov_b32 v14, 0
	s_mov_b32 s13, 0
	s_delay_alu instid0(VALU_DEP_1) | instskip(SKIP_1) | instid1(SALU_CYCLE_1)
	v_cmp_eq_u64_e64 s0, s[6:7], v[4:5]
	s_or_b32 s12, s0, s12
	s_and_not1_b32 exec_lo, exec_lo, s12
	s_cbranch_execnz .LBB0_3331
; %bb.3337:                             ;   in Loop: Header=BB0_1755 Depth=1
	s_or_b32 exec_lo, exec_lo, s12
	s_add_co_i32 s6, s4, 0xe2
	s_mov_b32 s1, s5
	s_bfe_u32 s0, s6, 0x100003
	v_dual_mov_b32 v0, s6 :: v_dual_mov_b32 v1, s6
	s_mulk_i32 s0, 0x20c5
	v_dual_mov_b32 v3, s6 :: v_dual_mov_b32 v14, 0
	s_lshr_b32 s0, s0, 20
	s_mov_b32 s7, s5
	s_mulk_i32 s0, 0x3e8
	s_mov_b32 s12, 0
	s_sub_co_i32 s0, s6, s0
	s_delay_alu instid0(SALU_CYCLE_1) | instskip(NEXT) | instid1(SALU_CYCLE_1)
	s_and_b32 s0, s0, 0xffff
	s_lshl_b32 s0, s0, 12
	s_delay_alu instid0(SALU_CYCLE_1)
	v_add_nc_u64_e32 v[4:5], s[0:1], v[10:11]
	v_add_nc_u64_e32 v[8:9], s[0:1], v[12:13]
	global_store_b128 v[4:5], v[0:3], off th:TH_STORE_NT
.LBB0_3338:                             ;   Parent Loop BB0_1755 Depth=1
                                        ; =>  This Inner Loop Header: Depth=2
	s_wait_loadcnt 0x0
	global_load_b128 v[4:7], v[8:9], off th:TH_LOAD_NT
	v_add_nc_u32_e32 v14, 1, v14
	s_mov_b32 s1, -1
	s_mov_b32 s14, -1
	s_mov_b32 s15, exec_lo
	s_wait_xcnt 0x0
	v_cmpx_eq_u32_e32 0xf4240, v14
	s_cbranch_execz .LBB0_3340
; %bb.3339:                             ;   in Loop: Header=BB0_3338 Depth=2
	s_wait_loadcnt 0x0
	s_wait_storecnt 0x0
	global_load_b32 v0, v2, s[10:11] scope:SCOPE_SYS
	s_wait_loadcnt 0x0
	global_inv scope:SCOPE_SYS
	v_mov_b32_e32 v14, 0
	v_cmp_eq_u32_e64 s0, 0, v0
	s_or_not1_b32 s14, s0, exec_lo
.LBB0_3340:                             ;   in Loop: Header=BB0_3338 Depth=2
	s_wait_xcnt 0x0
	s_or_b32 exec_lo, exec_lo, s15
	s_and_saveexec_b32 s15, s14
	s_cbranch_execz .LBB0_3342
; %bb.3341:                             ;   in Loop: Header=BB0_3338 Depth=2
	s_wait_loadcnt 0x0
	v_cmp_eq_u32_e64 s0, s6, v5
	v_cmp_eq_u32_e64 s1, s6, v7
	s_and_b32 s0, s0, s1
	s_delay_alu instid0(SALU_CYCLE_1)
	s_or_not1_b32 s1, s0, exec_lo
.LBB0_3342:                             ;   in Loop: Header=BB0_3338 Depth=2
	s_or_b32 exec_lo, exec_lo, s15
	s_delay_alu instid0(SALU_CYCLE_1) | instskip(NEXT) | instid1(SALU_CYCLE_1)
	s_and_b32 s0, exec_lo, s1
	s_or_b32 s13, s0, s13
	s_delay_alu instid0(SALU_CYCLE_1)
	s_and_not1_b32 exec_lo, exec_lo, s13
	s_cbranch_execnz .LBB0_3338
; %bb.3343:                             ;   in Loop: Header=BB0_3338 Depth=2
	s_or_b32 exec_lo, exec_lo, s13
	s_wait_loadcnt 0x0
	v_dual_mov_b32 v5, v6 :: v_dual_mov_b32 v14, 0
	s_mov_b32 s13, 0
	s_delay_alu instid0(VALU_DEP_1) | instskip(SKIP_1) | instid1(SALU_CYCLE_1)
	v_cmp_eq_u64_e64 s0, s[6:7], v[4:5]
	s_or_b32 s12, s0, s12
	s_and_not1_b32 exec_lo, exec_lo, s12
	s_cbranch_execnz .LBB0_3338
; %bb.3344:                             ;   in Loop: Header=BB0_1755 Depth=1
	s_or_b32 exec_lo, exec_lo, s12
	s_add_co_i32 s6, s4, 0xe3
	s_mov_b32 s1, s5
	s_bfe_u32 s0, s6, 0x100003
	v_dual_mov_b32 v0, s6 :: v_dual_mov_b32 v1, s6
	s_mulk_i32 s0, 0x20c5
	v_dual_mov_b32 v3, s6 :: v_dual_mov_b32 v14, 0
	s_lshr_b32 s0, s0, 20
	s_mov_b32 s7, s5
	s_mulk_i32 s0, 0x3e8
	s_mov_b32 s12, 0
	s_sub_co_i32 s0, s6, s0
	s_delay_alu instid0(SALU_CYCLE_1) | instskip(NEXT) | instid1(SALU_CYCLE_1)
	s_and_b32 s0, s0, 0xffff
	s_lshl_b32 s0, s0, 12
	s_delay_alu instid0(SALU_CYCLE_1)
	v_add_nc_u64_e32 v[4:5], s[0:1], v[10:11]
	v_add_nc_u64_e32 v[8:9], s[0:1], v[12:13]
	global_store_b128 v[4:5], v[0:3], off th:TH_STORE_NT
.LBB0_3345:                             ;   Parent Loop BB0_1755 Depth=1
                                        ; =>  This Inner Loop Header: Depth=2
	s_wait_loadcnt 0x0
	global_load_b128 v[4:7], v[8:9], off th:TH_LOAD_NT
	v_add_nc_u32_e32 v14, 1, v14
	s_mov_b32 s1, -1
	s_mov_b32 s14, -1
	s_mov_b32 s15, exec_lo
	s_wait_xcnt 0x0
	v_cmpx_eq_u32_e32 0xf4240, v14
	s_cbranch_execz .LBB0_3347
; %bb.3346:                             ;   in Loop: Header=BB0_3345 Depth=2
	s_wait_loadcnt 0x0
	s_wait_storecnt 0x0
	global_load_b32 v0, v2, s[10:11] scope:SCOPE_SYS
	s_wait_loadcnt 0x0
	global_inv scope:SCOPE_SYS
	v_mov_b32_e32 v14, 0
	v_cmp_eq_u32_e64 s0, 0, v0
	s_or_not1_b32 s14, s0, exec_lo
.LBB0_3347:                             ;   in Loop: Header=BB0_3345 Depth=2
	s_wait_xcnt 0x0
	s_or_b32 exec_lo, exec_lo, s15
	s_and_saveexec_b32 s15, s14
	s_cbranch_execz .LBB0_3349
; %bb.3348:                             ;   in Loop: Header=BB0_3345 Depth=2
	s_wait_loadcnt 0x0
	v_cmp_eq_u32_e64 s0, s6, v5
	v_cmp_eq_u32_e64 s1, s6, v7
	s_and_b32 s0, s0, s1
	s_delay_alu instid0(SALU_CYCLE_1)
	s_or_not1_b32 s1, s0, exec_lo
.LBB0_3349:                             ;   in Loop: Header=BB0_3345 Depth=2
	s_or_b32 exec_lo, exec_lo, s15
	s_delay_alu instid0(SALU_CYCLE_1) | instskip(NEXT) | instid1(SALU_CYCLE_1)
	s_and_b32 s0, exec_lo, s1
	s_or_b32 s13, s0, s13
	s_delay_alu instid0(SALU_CYCLE_1)
	s_and_not1_b32 exec_lo, exec_lo, s13
	s_cbranch_execnz .LBB0_3345
; %bb.3350:                             ;   in Loop: Header=BB0_3345 Depth=2
	s_or_b32 exec_lo, exec_lo, s13
	s_wait_loadcnt 0x0
	v_dual_mov_b32 v5, v6 :: v_dual_mov_b32 v14, 0
	s_mov_b32 s13, 0
	s_delay_alu instid0(VALU_DEP_1) | instskip(SKIP_1) | instid1(SALU_CYCLE_1)
	v_cmp_eq_u64_e64 s0, s[6:7], v[4:5]
	s_or_b32 s12, s0, s12
	s_and_not1_b32 exec_lo, exec_lo, s12
	s_cbranch_execnz .LBB0_3345
; %bb.3351:                             ;   in Loop: Header=BB0_1755 Depth=1
	s_or_b32 exec_lo, exec_lo, s12
	s_add_co_i32 s6, s4, 0xe4
	s_mov_b32 s1, s5
	s_bfe_u32 s0, s6, 0x100003
	v_dual_mov_b32 v0, s6 :: v_dual_mov_b32 v1, s6
	s_mulk_i32 s0, 0x20c5
	v_dual_mov_b32 v3, s6 :: v_dual_mov_b32 v14, 0
	s_lshr_b32 s0, s0, 20
	s_mov_b32 s7, s5
	s_mulk_i32 s0, 0x3e8
	s_mov_b32 s12, 0
	s_sub_co_i32 s0, s6, s0
	s_delay_alu instid0(SALU_CYCLE_1) | instskip(NEXT) | instid1(SALU_CYCLE_1)
	s_and_b32 s0, s0, 0xffff
	s_lshl_b32 s0, s0, 12
	s_delay_alu instid0(SALU_CYCLE_1)
	v_add_nc_u64_e32 v[4:5], s[0:1], v[10:11]
	v_add_nc_u64_e32 v[8:9], s[0:1], v[12:13]
	global_store_b128 v[4:5], v[0:3], off th:TH_STORE_NT
.LBB0_3352:                             ;   Parent Loop BB0_1755 Depth=1
                                        ; =>  This Inner Loop Header: Depth=2
	s_wait_loadcnt 0x0
	global_load_b128 v[4:7], v[8:9], off th:TH_LOAD_NT
	v_add_nc_u32_e32 v14, 1, v14
	s_mov_b32 s1, -1
	s_mov_b32 s14, -1
	s_mov_b32 s15, exec_lo
	s_wait_xcnt 0x0
	v_cmpx_eq_u32_e32 0xf4240, v14
	s_cbranch_execz .LBB0_3354
; %bb.3353:                             ;   in Loop: Header=BB0_3352 Depth=2
	s_wait_loadcnt 0x0
	s_wait_storecnt 0x0
	global_load_b32 v0, v2, s[10:11] scope:SCOPE_SYS
	s_wait_loadcnt 0x0
	global_inv scope:SCOPE_SYS
	v_mov_b32_e32 v14, 0
	v_cmp_eq_u32_e64 s0, 0, v0
	s_or_not1_b32 s14, s0, exec_lo
.LBB0_3354:                             ;   in Loop: Header=BB0_3352 Depth=2
	s_wait_xcnt 0x0
	s_or_b32 exec_lo, exec_lo, s15
	s_and_saveexec_b32 s15, s14
	s_cbranch_execz .LBB0_3356
; %bb.3355:                             ;   in Loop: Header=BB0_3352 Depth=2
	s_wait_loadcnt 0x0
	v_cmp_eq_u32_e64 s0, s6, v5
	v_cmp_eq_u32_e64 s1, s6, v7
	s_and_b32 s0, s0, s1
	s_delay_alu instid0(SALU_CYCLE_1)
	s_or_not1_b32 s1, s0, exec_lo
.LBB0_3356:                             ;   in Loop: Header=BB0_3352 Depth=2
	s_or_b32 exec_lo, exec_lo, s15
	s_delay_alu instid0(SALU_CYCLE_1) | instskip(NEXT) | instid1(SALU_CYCLE_1)
	s_and_b32 s0, exec_lo, s1
	s_or_b32 s13, s0, s13
	s_delay_alu instid0(SALU_CYCLE_1)
	s_and_not1_b32 exec_lo, exec_lo, s13
	s_cbranch_execnz .LBB0_3352
; %bb.3357:                             ;   in Loop: Header=BB0_3352 Depth=2
	s_or_b32 exec_lo, exec_lo, s13
	s_wait_loadcnt 0x0
	v_dual_mov_b32 v5, v6 :: v_dual_mov_b32 v14, 0
	s_mov_b32 s13, 0
	s_delay_alu instid0(VALU_DEP_1) | instskip(SKIP_1) | instid1(SALU_CYCLE_1)
	v_cmp_eq_u64_e64 s0, s[6:7], v[4:5]
	s_or_b32 s12, s0, s12
	s_and_not1_b32 exec_lo, exec_lo, s12
	s_cbranch_execnz .LBB0_3352
; %bb.3358:                             ;   in Loop: Header=BB0_1755 Depth=1
	s_or_b32 exec_lo, exec_lo, s12
	s_add_co_i32 s6, s4, 0xe5
	s_mov_b32 s1, s5
	s_bfe_u32 s0, s6, 0x100003
	v_dual_mov_b32 v0, s6 :: v_dual_mov_b32 v1, s6
	s_mulk_i32 s0, 0x20c5
	v_dual_mov_b32 v3, s6 :: v_dual_mov_b32 v14, 0
	s_lshr_b32 s0, s0, 20
	s_mov_b32 s7, s5
	s_mulk_i32 s0, 0x3e8
	s_mov_b32 s12, 0
	s_sub_co_i32 s0, s6, s0
	s_delay_alu instid0(SALU_CYCLE_1) | instskip(NEXT) | instid1(SALU_CYCLE_1)
	s_and_b32 s0, s0, 0xffff
	s_lshl_b32 s0, s0, 12
	s_delay_alu instid0(SALU_CYCLE_1)
	v_add_nc_u64_e32 v[4:5], s[0:1], v[10:11]
	v_add_nc_u64_e32 v[8:9], s[0:1], v[12:13]
	global_store_b128 v[4:5], v[0:3], off th:TH_STORE_NT
.LBB0_3359:                             ;   Parent Loop BB0_1755 Depth=1
                                        ; =>  This Inner Loop Header: Depth=2
	s_wait_loadcnt 0x0
	global_load_b128 v[4:7], v[8:9], off th:TH_LOAD_NT
	v_add_nc_u32_e32 v14, 1, v14
	s_mov_b32 s1, -1
	s_mov_b32 s14, -1
	s_mov_b32 s15, exec_lo
	s_wait_xcnt 0x0
	v_cmpx_eq_u32_e32 0xf4240, v14
	s_cbranch_execz .LBB0_3361
; %bb.3360:                             ;   in Loop: Header=BB0_3359 Depth=2
	s_wait_loadcnt 0x0
	s_wait_storecnt 0x0
	global_load_b32 v0, v2, s[10:11] scope:SCOPE_SYS
	s_wait_loadcnt 0x0
	global_inv scope:SCOPE_SYS
	v_mov_b32_e32 v14, 0
	v_cmp_eq_u32_e64 s0, 0, v0
	s_or_not1_b32 s14, s0, exec_lo
.LBB0_3361:                             ;   in Loop: Header=BB0_3359 Depth=2
	s_wait_xcnt 0x0
	s_or_b32 exec_lo, exec_lo, s15
	s_and_saveexec_b32 s15, s14
	s_cbranch_execz .LBB0_3363
; %bb.3362:                             ;   in Loop: Header=BB0_3359 Depth=2
	s_wait_loadcnt 0x0
	v_cmp_eq_u32_e64 s0, s6, v5
	v_cmp_eq_u32_e64 s1, s6, v7
	s_and_b32 s0, s0, s1
	s_delay_alu instid0(SALU_CYCLE_1)
	s_or_not1_b32 s1, s0, exec_lo
.LBB0_3363:                             ;   in Loop: Header=BB0_3359 Depth=2
	s_or_b32 exec_lo, exec_lo, s15
	s_delay_alu instid0(SALU_CYCLE_1) | instskip(NEXT) | instid1(SALU_CYCLE_1)
	s_and_b32 s0, exec_lo, s1
	s_or_b32 s13, s0, s13
	s_delay_alu instid0(SALU_CYCLE_1)
	s_and_not1_b32 exec_lo, exec_lo, s13
	s_cbranch_execnz .LBB0_3359
; %bb.3364:                             ;   in Loop: Header=BB0_3359 Depth=2
	s_or_b32 exec_lo, exec_lo, s13
	s_wait_loadcnt 0x0
	v_dual_mov_b32 v5, v6 :: v_dual_mov_b32 v14, 0
	s_mov_b32 s13, 0
	s_delay_alu instid0(VALU_DEP_1) | instskip(SKIP_1) | instid1(SALU_CYCLE_1)
	v_cmp_eq_u64_e64 s0, s[6:7], v[4:5]
	s_or_b32 s12, s0, s12
	s_and_not1_b32 exec_lo, exec_lo, s12
	s_cbranch_execnz .LBB0_3359
; %bb.3365:                             ;   in Loop: Header=BB0_1755 Depth=1
	s_or_b32 exec_lo, exec_lo, s12
	s_add_co_i32 s6, s4, 0xe6
	s_mov_b32 s1, s5
	s_bfe_u32 s0, s6, 0x100003
	v_dual_mov_b32 v0, s6 :: v_dual_mov_b32 v1, s6
	s_mulk_i32 s0, 0x20c5
	v_dual_mov_b32 v3, s6 :: v_dual_mov_b32 v14, 0
	s_lshr_b32 s0, s0, 20
	s_mov_b32 s7, s5
	s_mulk_i32 s0, 0x3e8
	s_mov_b32 s12, 0
	s_sub_co_i32 s0, s6, s0
	s_delay_alu instid0(SALU_CYCLE_1) | instskip(NEXT) | instid1(SALU_CYCLE_1)
	s_and_b32 s0, s0, 0xffff
	s_lshl_b32 s0, s0, 12
	s_delay_alu instid0(SALU_CYCLE_1)
	v_add_nc_u64_e32 v[4:5], s[0:1], v[10:11]
	v_add_nc_u64_e32 v[8:9], s[0:1], v[12:13]
	global_store_b128 v[4:5], v[0:3], off th:TH_STORE_NT
.LBB0_3366:                             ;   Parent Loop BB0_1755 Depth=1
                                        ; =>  This Inner Loop Header: Depth=2
	s_wait_loadcnt 0x0
	global_load_b128 v[4:7], v[8:9], off th:TH_LOAD_NT
	v_add_nc_u32_e32 v14, 1, v14
	s_mov_b32 s1, -1
	s_mov_b32 s14, -1
	s_mov_b32 s15, exec_lo
	s_wait_xcnt 0x0
	v_cmpx_eq_u32_e32 0xf4240, v14
	s_cbranch_execz .LBB0_3368
; %bb.3367:                             ;   in Loop: Header=BB0_3366 Depth=2
	s_wait_loadcnt 0x0
	s_wait_storecnt 0x0
	global_load_b32 v0, v2, s[10:11] scope:SCOPE_SYS
	s_wait_loadcnt 0x0
	global_inv scope:SCOPE_SYS
	v_mov_b32_e32 v14, 0
	v_cmp_eq_u32_e64 s0, 0, v0
	s_or_not1_b32 s14, s0, exec_lo
.LBB0_3368:                             ;   in Loop: Header=BB0_3366 Depth=2
	s_wait_xcnt 0x0
	s_or_b32 exec_lo, exec_lo, s15
	s_and_saveexec_b32 s15, s14
	s_cbranch_execz .LBB0_3370
; %bb.3369:                             ;   in Loop: Header=BB0_3366 Depth=2
	s_wait_loadcnt 0x0
	v_cmp_eq_u32_e64 s0, s6, v5
	v_cmp_eq_u32_e64 s1, s6, v7
	s_and_b32 s0, s0, s1
	s_delay_alu instid0(SALU_CYCLE_1)
	s_or_not1_b32 s1, s0, exec_lo
.LBB0_3370:                             ;   in Loop: Header=BB0_3366 Depth=2
	s_or_b32 exec_lo, exec_lo, s15
	s_delay_alu instid0(SALU_CYCLE_1) | instskip(NEXT) | instid1(SALU_CYCLE_1)
	s_and_b32 s0, exec_lo, s1
	s_or_b32 s13, s0, s13
	s_delay_alu instid0(SALU_CYCLE_1)
	s_and_not1_b32 exec_lo, exec_lo, s13
	s_cbranch_execnz .LBB0_3366
; %bb.3371:                             ;   in Loop: Header=BB0_3366 Depth=2
	s_or_b32 exec_lo, exec_lo, s13
	s_wait_loadcnt 0x0
	v_dual_mov_b32 v5, v6 :: v_dual_mov_b32 v14, 0
	s_mov_b32 s13, 0
	s_delay_alu instid0(VALU_DEP_1) | instskip(SKIP_1) | instid1(SALU_CYCLE_1)
	v_cmp_eq_u64_e64 s0, s[6:7], v[4:5]
	s_or_b32 s12, s0, s12
	s_and_not1_b32 exec_lo, exec_lo, s12
	s_cbranch_execnz .LBB0_3366
; %bb.3372:                             ;   in Loop: Header=BB0_1755 Depth=1
	s_or_b32 exec_lo, exec_lo, s12
	s_add_co_i32 s6, s4, 0xe7
	s_mov_b32 s1, s5
	s_bfe_u32 s0, s6, 0x100003
	v_dual_mov_b32 v0, s6 :: v_dual_mov_b32 v1, s6
	s_mulk_i32 s0, 0x20c5
	v_dual_mov_b32 v3, s6 :: v_dual_mov_b32 v14, 0
	s_lshr_b32 s0, s0, 20
	s_mov_b32 s7, s5
	s_mulk_i32 s0, 0x3e8
	s_mov_b32 s12, 0
	s_sub_co_i32 s0, s6, s0
	s_delay_alu instid0(SALU_CYCLE_1) | instskip(NEXT) | instid1(SALU_CYCLE_1)
	s_and_b32 s0, s0, 0xffff
	s_lshl_b32 s0, s0, 12
	s_delay_alu instid0(SALU_CYCLE_1)
	v_add_nc_u64_e32 v[4:5], s[0:1], v[10:11]
	v_add_nc_u64_e32 v[8:9], s[0:1], v[12:13]
	global_store_b128 v[4:5], v[0:3], off th:TH_STORE_NT
.LBB0_3373:                             ;   Parent Loop BB0_1755 Depth=1
                                        ; =>  This Inner Loop Header: Depth=2
	s_wait_loadcnt 0x0
	global_load_b128 v[4:7], v[8:9], off th:TH_LOAD_NT
	v_add_nc_u32_e32 v14, 1, v14
	s_mov_b32 s1, -1
	s_mov_b32 s14, -1
	s_mov_b32 s15, exec_lo
	s_wait_xcnt 0x0
	v_cmpx_eq_u32_e32 0xf4240, v14
	s_cbranch_execz .LBB0_3375
; %bb.3374:                             ;   in Loop: Header=BB0_3373 Depth=2
	s_wait_loadcnt 0x0
	s_wait_storecnt 0x0
	global_load_b32 v0, v2, s[10:11] scope:SCOPE_SYS
	s_wait_loadcnt 0x0
	global_inv scope:SCOPE_SYS
	v_mov_b32_e32 v14, 0
	v_cmp_eq_u32_e64 s0, 0, v0
	s_or_not1_b32 s14, s0, exec_lo
.LBB0_3375:                             ;   in Loop: Header=BB0_3373 Depth=2
	s_wait_xcnt 0x0
	s_or_b32 exec_lo, exec_lo, s15
	s_and_saveexec_b32 s15, s14
	s_cbranch_execz .LBB0_3377
; %bb.3376:                             ;   in Loop: Header=BB0_3373 Depth=2
	s_wait_loadcnt 0x0
	v_cmp_eq_u32_e64 s0, s6, v5
	v_cmp_eq_u32_e64 s1, s6, v7
	s_and_b32 s0, s0, s1
	s_delay_alu instid0(SALU_CYCLE_1)
	s_or_not1_b32 s1, s0, exec_lo
.LBB0_3377:                             ;   in Loop: Header=BB0_3373 Depth=2
	s_or_b32 exec_lo, exec_lo, s15
	s_delay_alu instid0(SALU_CYCLE_1) | instskip(NEXT) | instid1(SALU_CYCLE_1)
	s_and_b32 s0, exec_lo, s1
	s_or_b32 s13, s0, s13
	s_delay_alu instid0(SALU_CYCLE_1)
	s_and_not1_b32 exec_lo, exec_lo, s13
	s_cbranch_execnz .LBB0_3373
; %bb.3378:                             ;   in Loop: Header=BB0_3373 Depth=2
	s_or_b32 exec_lo, exec_lo, s13
	s_wait_loadcnt 0x0
	v_dual_mov_b32 v5, v6 :: v_dual_mov_b32 v14, 0
	s_mov_b32 s13, 0
	s_delay_alu instid0(VALU_DEP_1) | instskip(SKIP_1) | instid1(SALU_CYCLE_1)
	v_cmp_eq_u64_e64 s0, s[6:7], v[4:5]
	s_or_b32 s12, s0, s12
	s_and_not1_b32 exec_lo, exec_lo, s12
	s_cbranch_execnz .LBB0_3373
; %bb.3379:                             ;   in Loop: Header=BB0_1755 Depth=1
	s_or_b32 exec_lo, exec_lo, s12
	s_add_co_i32 s6, s4, 0xe8
	s_mov_b32 s1, s5
	s_bfe_u32 s0, s6, 0x100003
	v_dual_mov_b32 v0, s6 :: v_dual_mov_b32 v1, s6
	s_mulk_i32 s0, 0x20c5
	v_dual_mov_b32 v3, s6 :: v_dual_mov_b32 v14, 0
	s_lshr_b32 s0, s0, 20
	s_mov_b32 s7, s5
	s_mulk_i32 s0, 0x3e8
	s_mov_b32 s12, 0
	s_sub_co_i32 s0, s6, s0
	s_delay_alu instid0(SALU_CYCLE_1) | instskip(NEXT) | instid1(SALU_CYCLE_1)
	s_and_b32 s0, s0, 0xffff
	s_lshl_b32 s0, s0, 12
	s_delay_alu instid0(SALU_CYCLE_1)
	v_add_nc_u64_e32 v[4:5], s[0:1], v[10:11]
	v_add_nc_u64_e32 v[8:9], s[0:1], v[12:13]
	global_store_b128 v[4:5], v[0:3], off th:TH_STORE_NT
.LBB0_3380:                             ;   Parent Loop BB0_1755 Depth=1
                                        ; =>  This Inner Loop Header: Depth=2
	s_wait_loadcnt 0x0
	global_load_b128 v[4:7], v[8:9], off th:TH_LOAD_NT
	v_add_nc_u32_e32 v14, 1, v14
	s_mov_b32 s1, -1
	s_mov_b32 s14, -1
	s_mov_b32 s15, exec_lo
	s_wait_xcnt 0x0
	v_cmpx_eq_u32_e32 0xf4240, v14
	s_cbranch_execz .LBB0_3382
; %bb.3381:                             ;   in Loop: Header=BB0_3380 Depth=2
	s_wait_loadcnt 0x0
	s_wait_storecnt 0x0
	global_load_b32 v0, v2, s[10:11] scope:SCOPE_SYS
	s_wait_loadcnt 0x0
	global_inv scope:SCOPE_SYS
	v_mov_b32_e32 v14, 0
	v_cmp_eq_u32_e64 s0, 0, v0
	s_or_not1_b32 s14, s0, exec_lo
.LBB0_3382:                             ;   in Loop: Header=BB0_3380 Depth=2
	s_wait_xcnt 0x0
	s_or_b32 exec_lo, exec_lo, s15
	s_and_saveexec_b32 s15, s14
	s_cbranch_execz .LBB0_3384
; %bb.3383:                             ;   in Loop: Header=BB0_3380 Depth=2
	s_wait_loadcnt 0x0
	v_cmp_eq_u32_e64 s0, s6, v5
	v_cmp_eq_u32_e64 s1, s6, v7
	s_and_b32 s0, s0, s1
	s_delay_alu instid0(SALU_CYCLE_1)
	s_or_not1_b32 s1, s0, exec_lo
.LBB0_3384:                             ;   in Loop: Header=BB0_3380 Depth=2
	s_or_b32 exec_lo, exec_lo, s15
	s_delay_alu instid0(SALU_CYCLE_1) | instskip(NEXT) | instid1(SALU_CYCLE_1)
	s_and_b32 s0, exec_lo, s1
	s_or_b32 s13, s0, s13
	s_delay_alu instid0(SALU_CYCLE_1)
	s_and_not1_b32 exec_lo, exec_lo, s13
	s_cbranch_execnz .LBB0_3380
; %bb.3385:                             ;   in Loop: Header=BB0_3380 Depth=2
	s_or_b32 exec_lo, exec_lo, s13
	s_wait_loadcnt 0x0
	v_dual_mov_b32 v5, v6 :: v_dual_mov_b32 v14, 0
	s_mov_b32 s13, 0
	s_delay_alu instid0(VALU_DEP_1) | instskip(SKIP_1) | instid1(SALU_CYCLE_1)
	v_cmp_eq_u64_e64 s0, s[6:7], v[4:5]
	s_or_b32 s12, s0, s12
	s_and_not1_b32 exec_lo, exec_lo, s12
	s_cbranch_execnz .LBB0_3380
; %bb.3386:                             ;   in Loop: Header=BB0_1755 Depth=1
	s_or_b32 exec_lo, exec_lo, s12
	s_add_co_i32 s6, s4, 0xe9
	s_mov_b32 s1, s5
	s_bfe_u32 s0, s6, 0x100003
	v_dual_mov_b32 v0, s6 :: v_dual_mov_b32 v1, s6
	s_mulk_i32 s0, 0x20c5
	v_dual_mov_b32 v3, s6 :: v_dual_mov_b32 v14, 0
	s_lshr_b32 s0, s0, 20
	s_mov_b32 s7, s5
	s_mulk_i32 s0, 0x3e8
	s_mov_b32 s12, 0
	s_sub_co_i32 s0, s6, s0
	s_delay_alu instid0(SALU_CYCLE_1) | instskip(NEXT) | instid1(SALU_CYCLE_1)
	s_and_b32 s0, s0, 0xffff
	s_lshl_b32 s0, s0, 12
	s_delay_alu instid0(SALU_CYCLE_1)
	v_add_nc_u64_e32 v[4:5], s[0:1], v[10:11]
	v_add_nc_u64_e32 v[8:9], s[0:1], v[12:13]
	global_store_b128 v[4:5], v[0:3], off th:TH_STORE_NT
.LBB0_3387:                             ;   Parent Loop BB0_1755 Depth=1
                                        ; =>  This Inner Loop Header: Depth=2
	s_wait_loadcnt 0x0
	global_load_b128 v[4:7], v[8:9], off th:TH_LOAD_NT
	v_add_nc_u32_e32 v14, 1, v14
	s_mov_b32 s1, -1
	s_mov_b32 s14, -1
	s_mov_b32 s15, exec_lo
	s_wait_xcnt 0x0
	v_cmpx_eq_u32_e32 0xf4240, v14
	s_cbranch_execz .LBB0_3389
; %bb.3388:                             ;   in Loop: Header=BB0_3387 Depth=2
	s_wait_loadcnt 0x0
	s_wait_storecnt 0x0
	global_load_b32 v0, v2, s[10:11] scope:SCOPE_SYS
	s_wait_loadcnt 0x0
	global_inv scope:SCOPE_SYS
	v_mov_b32_e32 v14, 0
	v_cmp_eq_u32_e64 s0, 0, v0
	s_or_not1_b32 s14, s0, exec_lo
.LBB0_3389:                             ;   in Loop: Header=BB0_3387 Depth=2
	s_wait_xcnt 0x0
	s_or_b32 exec_lo, exec_lo, s15
	s_and_saveexec_b32 s15, s14
	s_cbranch_execz .LBB0_3391
; %bb.3390:                             ;   in Loop: Header=BB0_3387 Depth=2
	s_wait_loadcnt 0x0
	v_cmp_eq_u32_e64 s0, s6, v5
	v_cmp_eq_u32_e64 s1, s6, v7
	s_and_b32 s0, s0, s1
	s_delay_alu instid0(SALU_CYCLE_1)
	s_or_not1_b32 s1, s0, exec_lo
.LBB0_3391:                             ;   in Loop: Header=BB0_3387 Depth=2
	s_or_b32 exec_lo, exec_lo, s15
	s_delay_alu instid0(SALU_CYCLE_1) | instskip(NEXT) | instid1(SALU_CYCLE_1)
	s_and_b32 s0, exec_lo, s1
	s_or_b32 s13, s0, s13
	s_delay_alu instid0(SALU_CYCLE_1)
	s_and_not1_b32 exec_lo, exec_lo, s13
	s_cbranch_execnz .LBB0_3387
; %bb.3392:                             ;   in Loop: Header=BB0_3387 Depth=2
	s_or_b32 exec_lo, exec_lo, s13
	s_wait_loadcnt 0x0
	v_dual_mov_b32 v5, v6 :: v_dual_mov_b32 v14, 0
	s_mov_b32 s13, 0
	s_delay_alu instid0(VALU_DEP_1) | instskip(SKIP_1) | instid1(SALU_CYCLE_1)
	v_cmp_eq_u64_e64 s0, s[6:7], v[4:5]
	s_or_b32 s12, s0, s12
	s_and_not1_b32 exec_lo, exec_lo, s12
	s_cbranch_execnz .LBB0_3387
; %bb.3393:                             ;   in Loop: Header=BB0_1755 Depth=1
	s_or_b32 exec_lo, exec_lo, s12
	s_add_co_i32 s6, s4, 0xea
	s_mov_b32 s1, s5
	s_bfe_u32 s0, s6, 0x100003
	v_dual_mov_b32 v0, s6 :: v_dual_mov_b32 v1, s6
	s_mulk_i32 s0, 0x20c5
	v_dual_mov_b32 v3, s6 :: v_dual_mov_b32 v14, 0
	s_lshr_b32 s0, s0, 20
	s_mov_b32 s7, s5
	s_mulk_i32 s0, 0x3e8
	s_mov_b32 s12, 0
	s_sub_co_i32 s0, s6, s0
	s_delay_alu instid0(SALU_CYCLE_1) | instskip(NEXT) | instid1(SALU_CYCLE_1)
	s_and_b32 s0, s0, 0xffff
	s_lshl_b32 s0, s0, 12
	s_delay_alu instid0(SALU_CYCLE_1)
	v_add_nc_u64_e32 v[4:5], s[0:1], v[10:11]
	v_add_nc_u64_e32 v[8:9], s[0:1], v[12:13]
	global_store_b128 v[4:5], v[0:3], off th:TH_STORE_NT
.LBB0_3394:                             ;   Parent Loop BB0_1755 Depth=1
                                        ; =>  This Inner Loop Header: Depth=2
	s_wait_loadcnt 0x0
	global_load_b128 v[4:7], v[8:9], off th:TH_LOAD_NT
	v_add_nc_u32_e32 v14, 1, v14
	s_mov_b32 s1, -1
	s_mov_b32 s14, -1
	s_mov_b32 s15, exec_lo
	s_wait_xcnt 0x0
	v_cmpx_eq_u32_e32 0xf4240, v14
	s_cbranch_execz .LBB0_3396
; %bb.3395:                             ;   in Loop: Header=BB0_3394 Depth=2
	s_wait_loadcnt 0x0
	s_wait_storecnt 0x0
	global_load_b32 v0, v2, s[10:11] scope:SCOPE_SYS
	s_wait_loadcnt 0x0
	global_inv scope:SCOPE_SYS
	v_mov_b32_e32 v14, 0
	v_cmp_eq_u32_e64 s0, 0, v0
	s_or_not1_b32 s14, s0, exec_lo
.LBB0_3396:                             ;   in Loop: Header=BB0_3394 Depth=2
	s_wait_xcnt 0x0
	s_or_b32 exec_lo, exec_lo, s15
	s_and_saveexec_b32 s15, s14
	s_cbranch_execz .LBB0_3398
; %bb.3397:                             ;   in Loop: Header=BB0_3394 Depth=2
	s_wait_loadcnt 0x0
	v_cmp_eq_u32_e64 s0, s6, v5
	v_cmp_eq_u32_e64 s1, s6, v7
	s_and_b32 s0, s0, s1
	s_delay_alu instid0(SALU_CYCLE_1)
	s_or_not1_b32 s1, s0, exec_lo
.LBB0_3398:                             ;   in Loop: Header=BB0_3394 Depth=2
	s_or_b32 exec_lo, exec_lo, s15
	s_delay_alu instid0(SALU_CYCLE_1) | instskip(NEXT) | instid1(SALU_CYCLE_1)
	s_and_b32 s0, exec_lo, s1
	s_or_b32 s13, s0, s13
	s_delay_alu instid0(SALU_CYCLE_1)
	s_and_not1_b32 exec_lo, exec_lo, s13
	s_cbranch_execnz .LBB0_3394
; %bb.3399:                             ;   in Loop: Header=BB0_3394 Depth=2
	s_or_b32 exec_lo, exec_lo, s13
	s_wait_loadcnt 0x0
	v_dual_mov_b32 v5, v6 :: v_dual_mov_b32 v14, 0
	s_mov_b32 s13, 0
	s_delay_alu instid0(VALU_DEP_1) | instskip(SKIP_1) | instid1(SALU_CYCLE_1)
	v_cmp_eq_u64_e64 s0, s[6:7], v[4:5]
	s_or_b32 s12, s0, s12
	s_and_not1_b32 exec_lo, exec_lo, s12
	s_cbranch_execnz .LBB0_3394
; %bb.3400:                             ;   in Loop: Header=BB0_1755 Depth=1
	s_or_b32 exec_lo, exec_lo, s12
	s_add_co_i32 s6, s4, 0xeb
	s_mov_b32 s1, s5
	s_bfe_u32 s0, s6, 0x100003
	v_dual_mov_b32 v0, s6 :: v_dual_mov_b32 v1, s6
	s_mulk_i32 s0, 0x20c5
	v_dual_mov_b32 v3, s6 :: v_dual_mov_b32 v14, 0
	s_lshr_b32 s0, s0, 20
	s_mov_b32 s7, s5
	s_mulk_i32 s0, 0x3e8
	s_mov_b32 s12, 0
	s_sub_co_i32 s0, s6, s0
	s_delay_alu instid0(SALU_CYCLE_1) | instskip(NEXT) | instid1(SALU_CYCLE_1)
	s_and_b32 s0, s0, 0xffff
	s_lshl_b32 s0, s0, 12
	s_delay_alu instid0(SALU_CYCLE_1)
	v_add_nc_u64_e32 v[4:5], s[0:1], v[10:11]
	v_add_nc_u64_e32 v[8:9], s[0:1], v[12:13]
	global_store_b128 v[4:5], v[0:3], off th:TH_STORE_NT
.LBB0_3401:                             ;   Parent Loop BB0_1755 Depth=1
                                        ; =>  This Inner Loop Header: Depth=2
	s_wait_loadcnt 0x0
	global_load_b128 v[4:7], v[8:9], off th:TH_LOAD_NT
	v_add_nc_u32_e32 v14, 1, v14
	s_mov_b32 s1, -1
	s_mov_b32 s14, -1
	s_mov_b32 s15, exec_lo
	s_wait_xcnt 0x0
	v_cmpx_eq_u32_e32 0xf4240, v14
	s_cbranch_execz .LBB0_3403
; %bb.3402:                             ;   in Loop: Header=BB0_3401 Depth=2
	s_wait_loadcnt 0x0
	s_wait_storecnt 0x0
	global_load_b32 v0, v2, s[10:11] scope:SCOPE_SYS
	s_wait_loadcnt 0x0
	global_inv scope:SCOPE_SYS
	v_mov_b32_e32 v14, 0
	v_cmp_eq_u32_e64 s0, 0, v0
	s_or_not1_b32 s14, s0, exec_lo
.LBB0_3403:                             ;   in Loop: Header=BB0_3401 Depth=2
	s_wait_xcnt 0x0
	s_or_b32 exec_lo, exec_lo, s15
	s_and_saveexec_b32 s15, s14
	s_cbranch_execz .LBB0_3405
; %bb.3404:                             ;   in Loop: Header=BB0_3401 Depth=2
	s_wait_loadcnt 0x0
	v_cmp_eq_u32_e64 s0, s6, v5
	v_cmp_eq_u32_e64 s1, s6, v7
	s_and_b32 s0, s0, s1
	s_delay_alu instid0(SALU_CYCLE_1)
	s_or_not1_b32 s1, s0, exec_lo
.LBB0_3405:                             ;   in Loop: Header=BB0_3401 Depth=2
	s_or_b32 exec_lo, exec_lo, s15
	s_delay_alu instid0(SALU_CYCLE_1) | instskip(NEXT) | instid1(SALU_CYCLE_1)
	s_and_b32 s0, exec_lo, s1
	s_or_b32 s13, s0, s13
	s_delay_alu instid0(SALU_CYCLE_1)
	s_and_not1_b32 exec_lo, exec_lo, s13
	s_cbranch_execnz .LBB0_3401
; %bb.3406:                             ;   in Loop: Header=BB0_3401 Depth=2
	s_or_b32 exec_lo, exec_lo, s13
	s_wait_loadcnt 0x0
	v_dual_mov_b32 v5, v6 :: v_dual_mov_b32 v14, 0
	s_mov_b32 s13, 0
	s_delay_alu instid0(VALU_DEP_1) | instskip(SKIP_1) | instid1(SALU_CYCLE_1)
	v_cmp_eq_u64_e64 s0, s[6:7], v[4:5]
	s_or_b32 s12, s0, s12
	s_and_not1_b32 exec_lo, exec_lo, s12
	s_cbranch_execnz .LBB0_3401
; %bb.3407:                             ;   in Loop: Header=BB0_1755 Depth=1
	s_or_b32 exec_lo, exec_lo, s12
	s_add_co_i32 s6, s4, 0xec
	s_mov_b32 s1, s5
	s_bfe_u32 s0, s6, 0x100003
	v_dual_mov_b32 v0, s6 :: v_dual_mov_b32 v1, s6
	s_mulk_i32 s0, 0x20c5
	v_dual_mov_b32 v3, s6 :: v_dual_mov_b32 v14, 0
	s_lshr_b32 s0, s0, 20
	s_mov_b32 s7, s5
	s_mulk_i32 s0, 0x3e8
	s_mov_b32 s12, 0
	s_sub_co_i32 s0, s6, s0
	s_delay_alu instid0(SALU_CYCLE_1) | instskip(NEXT) | instid1(SALU_CYCLE_1)
	s_and_b32 s0, s0, 0xffff
	s_lshl_b32 s0, s0, 12
	s_delay_alu instid0(SALU_CYCLE_1)
	v_add_nc_u64_e32 v[4:5], s[0:1], v[10:11]
	v_add_nc_u64_e32 v[8:9], s[0:1], v[12:13]
	global_store_b128 v[4:5], v[0:3], off th:TH_STORE_NT
.LBB0_3408:                             ;   Parent Loop BB0_1755 Depth=1
                                        ; =>  This Inner Loop Header: Depth=2
	s_wait_loadcnt 0x0
	global_load_b128 v[4:7], v[8:9], off th:TH_LOAD_NT
	v_add_nc_u32_e32 v14, 1, v14
	s_mov_b32 s1, -1
	s_mov_b32 s14, -1
	s_mov_b32 s15, exec_lo
	s_wait_xcnt 0x0
	v_cmpx_eq_u32_e32 0xf4240, v14
	s_cbranch_execz .LBB0_3410
; %bb.3409:                             ;   in Loop: Header=BB0_3408 Depth=2
	s_wait_loadcnt 0x0
	s_wait_storecnt 0x0
	global_load_b32 v0, v2, s[10:11] scope:SCOPE_SYS
	s_wait_loadcnt 0x0
	global_inv scope:SCOPE_SYS
	v_mov_b32_e32 v14, 0
	v_cmp_eq_u32_e64 s0, 0, v0
	s_or_not1_b32 s14, s0, exec_lo
.LBB0_3410:                             ;   in Loop: Header=BB0_3408 Depth=2
	s_wait_xcnt 0x0
	s_or_b32 exec_lo, exec_lo, s15
	s_and_saveexec_b32 s15, s14
	s_cbranch_execz .LBB0_3412
; %bb.3411:                             ;   in Loop: Header=BB0_3408 Depth=2
	s_wait_loadcnt 0x0
	v_cmp_eq_u32_e64 s0, s6, v5
	v_cmp_eq_u32_e64 s1, s6, v7
	s_and_b32 s0, s0, s1
	s_delay_alu instid0(SALU_CYCLE_1)
	s_or_not1_b32 s1, s0, exec_lo
.LBB0_3412:                             ;   in Loop: Header=BB0_3408 Depth=2
	s_or_b32 exec_lo, exec_lo, s15
	s_delay_alu instid0(SALU_CYCLE_1) | instskip(NEXT) | instid1(SALU_CYCLE_1)
	s_and_b32 s0, exec_lo, s1
	s_or_b32 s13, s0, s13
	s_delay_alu instid0(SALU_CYCLE_1)
	s_and_not1_b32 exec_lo, exec_lo, s13
	s_cbranch_execnz .LBB0_3408
; %bb.3413:                             ;   in Loop: Header=BB0_3408 Depth=2
	s_or_b32 exec_lo, exec_lo, s13
	s_wait_loadcnt 0x0
	v_dual_mov_b32 v5, v6 :: v_dual_mov_b32 v14, 0
	s_mov_b32 s13, 0
	s_delay_alu instid0(VALU_DEP_1) | instskip(SKIP_1) | instid1(SALU_CYCLE_1)
	v_cmp_eq_u64_e64 s0, s[6:7], v[4:5]
	s_or_b32 s12, s0, s12
	s_and_not1_b32 exec_lo, exec_lo, s12
	s_cbranch_execnz .LBB0_3408
; %bb.3414:                             ;   in Loop: Header=BB0_1755 Depth=1
	s_or_b32 exec_lo, exec_lo, s12
	s_add_co_i32 s6, s4, 0xed
	s_mov_b32 s1, s5
	s_bfe_u32 s0, s6, 0x100003
	v_dual_mov_b32 v0, s6 :: v_dual_mov_b32 v1, s6
	s_mulk_i32 s0, 0x20c5
	v_dual_mov_b32 v3, s6 :: v_dual_mov_b32 v14, 0
	s_lshr_b32 s0, s0, 20
	s_mov_b32 s7, s5
	s_mulk_i32 s0, 0x3e8
	s_mov_b32 s12, 0
	s_sub_co_i32 s0, s6, s0
	s_delay_alu instid0(SALU_CYCLE_1) | instskip(NEXT) | instid1(SALU_CYCLE_1)
	s_and_b32 s0, s0, 0xffff
	s_lshl_b32 s0, s0, 12
	s_delay_alu instid0(SALU_CYCLE_1)
	v_add_nc_u64_e32 v[4:5], s[0:1], v[10:11]
	v_add_nc_u64_e32 v[8:9], s[0:1], v[12:13]
	global_store_b128 v[4:5], v[0:3], off th:TH_STORE_NT
.LBB0_3415:                             ;   Parent Loop BB0_1755 Depth=1
                                        ; =>  This Inner Loop Header: Depth=2
	s_wait_loadcnt 0x0
	global_load_b128 v[4:7], v[8:9], off th:TH_LOAD_NT
	v_add_nc_u32_e32 v14, 1, v14
	s_mov_b32 s1, -1
	s_mov_b32 s14, -1
	s_mov_b32 s15, exec_lo
	s_wait_xcnt 0x0
	v_cmpx_eq_u32_e32 0xf4240, v14
	s_cbranch_execz .LBB0_3417
; %bb.3416:                             ;   in Loop: Header=BB0_3415 Depth=2
	s_wait_loadcnt 0x0
	s_wait_storecnt 0x0
	global_load_b32 v0, v2, s[10:11] scope:SCOPE_SYS
	s_wait_loadcnt 0x0
	global_inv scope:SCOPE_SYS
	v_mov_b32_e32 v14, 0
	v_cmp_eq_u32_e64 s0, 0, v0
	s_or_not1_b32 s14, s0, exec_lo
.LBB0_3417:                             ;   in Loop: Header=BB0_3415 Depth=2
	s_wait_xcnt 0x0
	s_or_b32 exec_lo, exec_lo, s15
	s_and_saveexec_b32 s15, s14
	s_cbranch_execz .LBB0_3419
; %bb.3418:                             ;   in Loop: Header=BB0_3415 Depth=2
	s_wait_loadcnt 0x0
	v_cmp_eq_u32_e64 s0, s6, v5
	v_cmp_eq_u32_e64 s1, s6, v7
	s_and_b32 s0, s0, s1
	s_delay_alu instid0(SALU_CYCLE_1)
	s_or_not1_b32 s1, s0, exec_lo
.LBB0_3419:                             ;   in Loop: Header=BB0_3415 Depth=2
	s_or_b32 exec_lo, exec_lo, s15
	s_delay_alu instid0(SALU_CYCLE_1) | instskip(NEXT) | instid1(SALU_CYCLE_1)
	s_and_b32 s0, exec_lo, s1
	s_or_b32 s13, s0, s13
	s_delay_alu instid0(SALU_CYCLE_1)
	s_and_not1_b32 exec_lo, exec_lo, s13
	s_cbranch_execnz .LBB0_3415
; %bb.3420:                             ;   in Loop: Header=BB0_3415 Depth=2
	s_or_b32 exec_lo, exec_lo, s13
	s_wait_loadcnt 0x0
	v_dual_mov_b32 v5, v6 :: v_dual_mov_b32 v14, 0
	s_mov_b32 s13, 0
	s_delay_alu instid0(VALU_DEP_1) | instskip(SKIP_1) | instid1(SALU_CYCLE_1)
	v_cmp_eq_u64_e64 s0, s[6:7], v[4:5]
	s_or_b32 s12, s0, s12
	s_and_not1_b32 exec_lo, exec_lo, s12
	s_cbranch_execnz .LBB0_3415
; %bb.3421:                             ;   in Loop: Header=BB0_1755 Depth=1
	s_or_b32 exec_lo, exec_lo, s12
	s_add_co_i32 s6, s4, 0xee
	s_mov_b32 s1, s5
	s_bfe_u32 s0, s6, 0x100003
	v_dual_mov_b32 v0, s6 :: v_dual_mov_b32 v1, s6
	s_mulk_i32 s0, 0x20c5
	v_dual_mov_b32 v3, s6 :: v_dual_mov_b32 v14, 0
	s_lshr_b32 s0, s0, 20
	s_mov_b32 s7, s5
	s_mulk_i32 s0, 0x3e8
	s_mov_b32 s12, 0
	s_sub_co_i32 s0, s6, s0
	s_delay_alu instid0(SALU_CYCLE_1) | instskip(NEXT) | instid1(SALU_CYCLE_1)
	s_and_b32 s0, s0, 0xffff
	s_lshl_b32 s0, s0, 12
	s_delay_alu instid0(SALU_CYCLE_1)
	v_add_nc_u64_e32 v[4:5], s[0:1], v[10:11]
	v_add_nc_u64_e32 v[8:9], s[0:1], v[12:13]
	global_store_b128 v[4:5], v[0:3], off th:TH_STORE_NT
.LBB0_3422:                             ;   Parent Loop BB0_1755 Depth=1
                                        ; =>  This Inner Loop Header: Depth=2
	s_wait_loadcnt 0x0
	global_load_b128 v[4:7], v[8:9], off th:TH_LOAD_NT
	v_add_nc_u32_e32 v14, 1, v14
	s_mov_b32 s1, -1
	s_mov_b32 s14, -1
	s_mov_b32 s15, exec_lo
	s_wait_xcnt 0x0
	v_cmpx_eq_u32_e32 0xf4240, v14
	s_cbranch_execz .LBB0_3424
; %bb.3423:                             ;   in Loop: Header=BB0_3422 Depth=2
	s_wait_loadcnt 0x0
	s_wait_storecnt 0x0
	global_load_b32 v0, v2, s[10:11] scope:SCOPE_SYS
	s_wait_loadcnt 0x0
	global_inv scope:SCOPE_SYS
	v_mov_b32_e32 v14, 0
	v_cmp_eq_u32_e64 s0, 0, v0
	s_or_not1_b32 s14, s0, exec_lo
.LBB0_3424:                             ;   in Loop: Header=BB0_3422 Depth=2
	s_wait_xcnt 0x0
	s_or_b32 exec_lo, exec_lo, s15
	s_and_saveexec_b32 s15, s14
	s_cbranch_execz .LBB0_3426
; %bb.3425:                             ;   in Loop: Header=BB0_3422 Depth=2
	s_wait_loadcnt 0x0
	v_cmp_eq_u32_e64 s0, s6, v5
	v_cmp_eq_u32_e64 s1, s6, v7
	s_and_b32 s0, s0, s1
	s_delay_alu instid0(SALU_CYCLE_1)
	s_or_not1_b32 s1, s0, exec_lo
.LBB0_3426:                             ;   in Loop: Header=BB0_3422 Depth=2
	s_or_b32 exec_lo, exec_lo, s15
	s_delay_alu instid0(SALU_CYCLE_1) | instskip(NEXT) | instid1(SALU_CYCLE_1)
	s_and_b32 s0, exec_lo, s1
	s_or_b32 s13, s0, s13
	s_delay_alu instid0(SALU_CYCLE_1)
	s_and_not1_b32 exec_lo, exec_lo, s13
	s_cbranch_execnz .LBB0_3422
; %bb.3427:                             ;   in Loop: Header=BB0_3422 Depth=2
	s_or_b32 exec_lo, exec_lo, s13
	s_wait_loadcnt 0x0
	v_dual_mov_b32 v5, v6 :: v_dual_mov_b32 v14, 0
	s_mov_b32 s13, 0
	s_delay_alu instid0(VALU_DEP_1) | instskip(SKIP_1) | instid1(SALU_CYCLE_1)
	v_cmp_eq_u64_e64 s0, s[6:7], v[4:5]
	s_or_b32 s12, s0, s12
	s_and_not1_b32 exec_lo, exec_lo, s12
	s_cbranch_execnz .LBB0_3422
; %bb.3428:                             ;   in Loop: Header=BB0_1755 Depth=1
	s_or_b32 exec_lo, exec_lo, s12
	s_add_co_i32 s6, s4, 0xef
	s_mov_b32 s1, s5
	s_bfe_u32 s0, s6, 0x100003
	v_dual_mov_b32 v0, s6 :: v_dual_mov_b32 v1, s6
	s_mulk_i32 s0, 0x20c5
	v_dual_mov_b32 v3, s6 :: v_dual_mov_b32 v14, 0
	s_lshr_b32 s0, s0, 20
	s_mov_b32 s7, s5
	s_mulk_i32 s0, 0x3e8
	s_mov_b32 s12, 0
	s_sub_co_i32 s0, s6, s0
	s_delay_alu instid0(SALU_CYCLE_1) | instskip(NEXT) | instid1(SALU_CYCLE_1)
	s_and_b32 s0, s0, 0xffff
	s_lshl_b32 s0, s0, 12
	s_delay_alu instid0(SALU_CYCLE_1)
	v_add_nc_u64_e32 v[4:5], s[0:1], v[10:11]
	v_add_nc_u64_e32 v[8:9], s[0:1], v[12:13]
	global_store_b128 v[4:5], v[0:3], off th:TH_STORE_NT
.LBB0_3429:                             ;   Parent Loop BB0_1755 Depth=1
                                        ; =>  This Inner Loop Header: Depth=2
	s_wait_loadcnt 0x0
	global_load_b128 v[4:7], v[8:9], off th:TH_LOAD_NT
	v_add_nc_u32_e32 v14, 1, v14
	s_mov_b32 s1, -1
	s_mov_b32 s14, -1
	s_mov_b32 s15, exec_lo
	s_wait_xcnt 0x0
	v_cmpx_eq_u32_e32 0xf4240, v14
	s_cbranch_execz .LBB0_3431
; %bb.3430:                             ;   in Loop: Header=BB0_3429 Depth=2
	s_wait_loadcnt 0x0
	s_wait_storecnt 0x0
	global_load_b32 v0, v2, s[10:11] scope:SCOPE_SYS
	s_wait_loadcnt 0x0
	global_inv scope:SCOPE_SYS
	v_mov_b32_e32 v14, 0
	v_cmp_eq_u32_e64 s0, 0, v0
	s_or_not1_b32 s14, s0, exec_lo
.LBB0_3431:                             ;   in Loop: Header=BB0_3429 Depth=2
	s_wait_xcnt 0x0
	s_or_b32 exec_lo, exec_lo, s15
	s_and_saveexec_b32 s15, s14
	s_cbranch_execz .LBB0_3433
; %bb.3432:                             ;   in Loop: Header=BB0_3429 Depth=2
	s_wait_loadcnt 0x0
	v_cmp_eq_u32_e64 s0, s6, v5
	v_cmp_eq_u32_e64 s1, s6, v7
	s_and_b32 s0, s0, s1
	s_delay_alu instid0(SALU_CYCLE_1)
	s_or_not1_b32 s1, s0, exec_lo
.LBB0_3433:                             ;   in Loop: Header=BB0_3429 Depth=2
	s_or_b32 exec_lo, exec_lo, s15
	s_delay_alu instid0(SALU_CYCLE_1) | instskip(NEXT) | instid1(SALU_CYCLE_1)
	s_and_b32 s0, exec_lo, s1
	s_or_b32 s13, s0, s13
	s_delay_alu instid0(SALU_CYCLE_1)
	s_and_not1_b32 exec_lo, exec_lo, s13
	s_cbranch_execnz .LBB0_3429
; %bb.3434:                             ;   in Loop: Header=BB0_3429 Depth=2
	s_or_b32 exec_lo, exec_lo, s13
	s_wait_loadcnt 0x0
	v_dual_mov_b32 v5, v6 :: v_dual_mov_b32 v14, 0
	s_mov_b32 s13, 0
	s_delay_alu instid0(VALU_DEP_1) | instskip(SKIP_1) | instid1(SALU_CYCLE_1)
	v_cmp_eq_u64_e64 s0, s[6:7], v[4:5]
	s_or_b32 s12, s0, s12
	s_and_not1_b32 exec_lo, exec_lo, s12
	s_cbranch_execnz .LBB0_3429
; %bb.3435:                             ;   in Loop: Header=BB0_1755 Depth=1
	s_or_b32 exec_lo, exec_lo, s12
	s_add_co_i32 s6, s4, 0xf0
	s_mov_b32 s1, s5
	s_bfe_u32 s0, s6, 0x100003
	v_dual_mov_b32 v0, s6 :: v_dual_mov_b32 v1, s6
	s_mulk_i32 s0, 0x20c5
	v_dual_mov_b32 v3, s6 :: v_dual_mov_b32 v14, 0
	s_lshr_b32 s0, s0, 20
	s_mov_b32 s7, s5
	s_mulk_i32 s0, 0x3e8
	s_mov_b32 s12, 0
	s_sub_co_i32 s0, s6, s0
	s_delay_alu instid0(SALU_CYCLE_1) | instskip(NEXT) | instid1(SALU_CYCLE_1)
	s_and_b32 s0, s0, 0xffff
	s_lshl_b32 s0, s0, 12
	s_delay_alu instid0(SALU_CYCLE_1)
	v_add_nc_u64_e32 v[4:5], s[0:1], v[10:11]
	v_add_nc_u64_e32 v[8:9], s[0:1], v[12:13]
	global_store_b128 v[4:5], v[0:3], off th:TH_STORE_NT
.LBB0_3436:                             ;   Parent Loop BB0_1755 Depth=1
                                        ; =>  This Inner Loop Header: Depth=2
	s_wait_loadcnt 0x0
	global_load_b128 v[4:7], v[8:9], off th:TH_LOAD_NT
	v_add_nc_u32_e32 v14, 1, v14
	s_mov_b32 s1, -1
	s_mov_b32 s14, -1
	s_mov_b32 s15, exec_lo
	s_wait_xcnt 0x0
	v_cmpx_eq_u32_e32 0xf4240, v14
	s_cbranch_execz .LBB0_3438
; %bb.3437:                             ;   in Loop: Header=BB0_3436 Depth=2
	s_wait_loadcnt 0x0
	s_wait_storecnt 0x0
	global_load_b32 v0, v2, s[10:11] scope:SCOPE_SYS
	s_wait_loadcnt 0x0
	global_inv scope:SCOPE_SYS
	v_mov_b32_e32 v14, 0
	v_cmp_eq_u32_e64 s0, 0, v0
	s_or_not1_b32 s14, s0, exec_lo
.LBB0_3438:                             ;   in Loop: Header=BB0_3436 Depth=2
	s_wait_xcnt 0x0
	s_or_b32 exec_lo, exec_lo, s15
	s_and_saveexec_b32 s15, s14
	s_cbranch_execz .LBB0_3440
; %bb.3439:                             ;   in Loop: Header=BB0_3436 Depth=2
	s_wait_loadcnt 0x0
	v_cmp_eq_u32_e64 s0, s6, v5
	v_cmp_eq_u32_e64 s1, s6, v7
	s_and_b32 s0, s0, s1
	s_delay_alu instid0(SALU_CYCLE_1)
	s_or_not1_b32 s1, s0, exec_lo
.LBB0_3440:                             ;   in Loop: Header=BB0_3436 Depth=2
	s_or_b32 exec_lo, exec_lo, s15
	s_delay_alu instid0(SALU_CYCLE_1) | instskip(NEXT) | instid1(SALU_CYCLE_1)
	s_and_b32 s0, exec_lo, s1
	s_or_b32 s13, s0, s13
	s_delay_alu instid0(SALU_CYCLE_1)
	s_and_not1_b32 exec_lo, exec_lo, s13
	s_cbranch_execnz .LBB0_3436
; %bb.3441:                             ;   in Loop: Header=BB0_3436 Depth=2
	s_or_b32 exec_lo, exec_lo, s13
	s_wait_loadcnt 0x0
	v_dual_mov_b32 v5, v6 :: v_dual_mov_b32 v14, 0
	s_mov_b32 s13, 0
	s_delay_alu instid0(VALU_DEP_1) | instskip(SKIP_1) | instid1(SALU_CYCLE_1)
	v_cmp_eq_u64_e64 s0, s[6:7], v[4:5]
	s_or_b32 s12, s0, s12
	s_and_not1_b32 exec_lo, exec_lo, s12
	s_cbranch_execnz .LBB0_3436
; %bb.3442:                             ;   in Loop: Header=BB0_1755 Depth=1
	s_or_b32 exec_lo, exec_lo, s12
	s_add_co_i32 s6, s4, 0xf1
	s_mov_b32 s1, s5
	s_bfe_u32 s0, s6, 0x100003
	v_dual_mov_b32 v0, s6 :: v_dual_mov_b32 v1, s6
	s_mulk_i32 s0, 0x20c5
	v_dual_mov_b32 v3, s6 :: v_dual_mov_b32 v14, 0
	s_lshr_b32 s0, s0, 20
	s_mov_b32 s7, s5
	s_mulk_i32 s0, 0x3e8
	s_mov_b32 s12, 0
	s_sub_co_i32 s0, s6, s0
	s_delay_alu instid0(SALU_CYCLE_1) | instskip(NEXT) | instid1(SALU_CYCLE_1)
	s_and_b32 s0, s0, 0xffff
	s_lshl_b32 s0, s0, 12
	s_delay_alu instid0(SALU_CYCLE_1)
	v_add_nc_u64_e32 v[4:5], s[0:1], v[10:11]
	v_add_nc_u64_e32 v[8:9], s[0:1], v[12:13]
	global_store_b128 v[4:5], v[0:3], off th:TH_STORE_NT
.LBB0_3443:                             ;   Parent Loop BB0_1755 Depth=1
                                        ; =>  This Inner Loop Header: Depth=2
	s_wait_loadcnt 0x0
	global_load_b128 v[4:7], v[8:9], off th:TH_LOAD_NT
	v_add_nc_u32_e32 v14, 1, v14
	s_mov_b32 s1, -1
	s_mov_b32 s14, -1
	s_mov_b32 s15, exec_lo
	s_wait_xcnt 0x0
	v_cmpx_eq_u32_e32 0xf4240, v14
	s_cbranch_execz .LBB0_3445
; %bb.3444:                             ;   in Loop: Header=BB0_3443 Depth=2
	s_wait_loadcnt 0x0
	s_wait_storecnt 0x0
	global_load_b32 v0, v2, s[10:11] scope:SCOPE_SYS
	s_wait_loadcnt 0x0
	global_inv scope:SCOPE_SYS
	v_mov_b32_e32 v14, 0
	v_cmp_eq_u32_e64 s0, 0, v0
	s_or_not1_b32 s14, s0, exec_lo
.LBB0_3445:                             ;   in Loop: Header=BB0_3443 Depth=2
	s_wait_xcnt 0x0
	s_or_b32 exec_lo, exec_lo, s15
	s_and_saveexec_b32 s15, s14
	s_cbranch_execz .LBB0_3447
; %bb.3446:                             ;   in Loop: Header=BB0_3443 Depth=2
	s_wait_loadcnt 0x0
	v_cmp_eq_u32_e64 s0, s6, v5
	v_cmp_eq_u32_e64 s1, s6, v7
	s_and_b32 s0, s0, s1
	s_delay_alu instid0(SALU_CYCLE_1)
	s_or_not1_b32 s1, s0, exec_lo
.LBB0_3447:                             ;   in Loop: Header=BB0_3443 Depth=2
	s_or_b32 exec_lo, exec_lo, s15
	s_delay_alu instid0(SALU_CYCLE_1) | instskip(NEXT) | instid1(SALU_CYCLE_1)
	s_and_b32 s0, exec_lo, s1
	s_or_b32 s13, s0, s13
	s_delay_alu instid0(SALU_CYCLE_1)
	s_and_not1_b32 exec_lo, exec_lo, s13
	s_cbranch_execnz .LBB0_3443
; %bb.3448:                             ;   in Loop: Header=BB0_3443 Depth=2
	s_or_b32 exec_lo, exec_lo, s13
	s_wait_loadcnt 0x0
	v_dual_mov_b32 v5, v6 :: v_dual_mov_b32 v14, 0
	s_mov_b32 s13, 0
	s_delay_alu instid0(VALU_DEP_1) | instskip(SKIP_1) | instid1(SALU_CYCLE_1)
	v_cmp_eq_u64_e64 s0, s[6:7], v[4:5]
	s_or_b32 s12, s0, s12
	s_and_not1_b32 exec_lo, exec_lo, s12
	s_cbranch_execnz .LBB0_3443
; %bb.3449:                             ;   in Loop: Header=BB0_1755 Depth=1
	s_or_b32 exec_lo, exec_lo, s12
	s_add_co_i32 s6, s4, 0xf2
	s_mov_b32 s1, s5
	s_bfe_u32 s0, s6, 0x100003
	v_dual_mov_b32 v0, s6 :: v_dual_mov_b32 v1, s6
	s_mulk_i32 s0, 0x20c5
	v_dual_mov_b32 v3, s6 :: v_dual_mov_b32 v14, 0
	s_lshr_b32 s0, s0, 20
	s_mov_b32 s7, s5
	s_mulk_i32 s0, 0x3e8
	s_mov_b32 s12, 0
	s_sub_co_i32 s0, s6, s0
	s_delay_alu instid0(SALU_CYCLE_1) | instskip(NEXT) | instid1(SALU_CYCLE_1)
	s_and_b32 s0, s0, 0xffff
	s_lshl_b32 s0, s0, 12
	s_delay_alu instid0(SALU_CYCLE_1)
	v_add_nc_u64_e32 v[4:5], s[0:1], v[10:11]
	v_add_nc_u64_e32 v[8:9], s[0:1], v[12:13]
	global_store_b128 v[4:5], v[0:3], off th:TH_STORE_NT
.LBB0_3450:                             ;   Parent Loop BB0_1755 Depth=1
                                        ; =>  This Inner Loop Header: Depth=2
	s_wait_loadcnt 0x0
	global_load_b128 v[4:7], v[8:9], off th:TH_LOAD_NT
	v_add_nc_u32_e32 v14, 1, v14
	s_mov_b32 s1, -1
	s_mov_b32 s14, -1
	s_mov_b32 s15, exec_lo
	s_wait_xcnt 0x0
	v_cmpx_eq_u32_e32 0xf4240, v14
	s_cbranch_execz .LBB0_3452
; %bb.3451:                             ;   in Loop: Header=BB0_3450 Depth=2
	s_wait_loadcnt 0x0
	s_wait_storecnt 0x0
	global_load_b32 v0, v2, s[10:11] scope:SCOPE_SYS
	s_wait_loadcnt 0x0
	global_inv scope:SCOPE_SYS
	v_mov_b32_e32 v14, 0
	v_cmp_eq_u32_e64 s0, 0, v0
	s_or_not1_b32 s14, s0, exec_lo
.LBB0_3452:                             ;   in Loop: Header=BB0_3450 Depth=2
	s_wait_xcnt 0x0
	s_or_b32 exec_lo, exec_lo, s15
	s_and_saveexec_b32 s15, s14
	s_cbranch_execz .LBB0_3454
; %bb.3453:                             ;   in Loop: Header=BB0_3450 Depth=2
	s_wait_loadcnt 0x0
	v_cmp_eq_u32_e64 s0, s6, v5
	v_cmp_eq_u32_e64 s1, s6, v7
	s_and_b32 s0, s0, s1
	s_delay_alu instid0(SALU_CYCLE_1)
	s_or_not1_b32 s1, s0, exec_lo
.LBB0_3454:                             ;   in Loop: Header=BB0_3450 Depth=2
	s_or_b32 exec_lo, exec_lo, s15
	s_delay_alu instid0(SALU_CYCLE_1) | instskip(NEXT) | instid1(SALU_CYCLE_1)
	s_and_b32 s0, exec_lo, s1
	s_or_b32 s13, s0, s13
	s_delay_alu instid0(SALU_CYCLE_1)
	s_and_not1_b32 exec_lo, exec_lo, s13
	s_cbranch_execnz .LBB0_3450
; %bb.3455:                             ;   in Loop: Header=BB0_3450 Depth=2
	s_or_b32 exec_lo, exec_lo, s13
	s_wait_loadcnt 0x0
	v_dual_mov_b32 v5, v6 :: v_dual_mov_b32 v14, 0
	s_mov_b32 s13, 0
	s_delay_alu instid0(VALU_DEP_1) | instskip(SKIP_1) | instid1(SALU_CYCLE_1)
	v_cmp_eq_u64_e64 s0, s[6:7], v[4:5]
	s_or_b32 s12, s0, s12
	s_and_not1_b32 exec_lo, exec_lo, s12
	s_cbranch_execnz .LBB0_3450
; %bb.3456:                             ;   in Loop: Header=BB0_1755 Depth=1
	s_or_b32 exec_lo, exec_lo, s12
	s_add_co_i32 s6, s4, 0xf3
	s_mov_b32 s1, s5
	s_bfe_u32 s0, s6, 0x100003
	v_dual_mov_b32 v0, s6 :: v_dual_mov_b32 v1, s6
	s_mulk_i32 s0, 0x20c5
	v_dual_mov_b32 v3, s6 :: v_dual_mov_b32 v14, 0
	s_lshr_b32 s0, s0, 20
	s_mov_b32 s7, s5
	s_mulk_i32 s0, 0x3e8
	s_mov_b32 s12, 0
	s_sub_co_i32 s0, s6, s0
	s_delay_alu instid0(SALU_CYCLE_1) | instskip(NEXT) | instid1(SALU_CYCLE_1)
	s_and_b32 s0, s0, 0xffff
	s_lshl_b32 s0, s0, 12
	s_delay_alu instid0(SALU_CYCLE_1)
	v_add_nc_u64_e32 v[4:5], s[0:1], v[10:11]
	v_add_nc_u64_e32 v[8:9], s[0:1], v[12:13]
	global_store_b128 v[4:5], v[0:3], off th:TH_STORE_NT
.LBB0_3457:                             ;   Parent Loop BB0_1755 Depth=1
                                        ; =>  This Inner Loop Header: Depth=2
	s_wait_loadcnt 0x0
	global_load_b128 v[4:7], v[8:9], off th:TH_LOAD_NT
	v_add_nc_u32_e32 v14, 1, v14
	s_mov_b32 s1, -1
	s_mov_b32 s14, -1
	s_mov_b32 s15, exec_lo
	s_wait_xcnt 0x0
	v_cmpx_eq_u32_e32 0xf4240, v14
	s_cbranch_execz .LBB0_3459
; %bb.3458:                             ;   in Loop: Header=BB0_3457 Depth=2
	s_wait_loadcnt 0x0
	s_wait_storecnt 0x0
	global_load_b32 v0, v2, s[10:11] scope:SCOPE_SYS
	s_wait_loadcnt 0x0
	global_inv scope:SCOPE_SYS
	v_mov_b32_e32 v14, 0
	v_cmp_eq_u32_e64 s0, 0, v0
	s_or_not1_b32 s14, s0, exec_lo
.LBB0_3459:                             ;   in Loop: Header=BB0_3457 Depth=2
	s_wait_xcnt 0x0
	s_or_b32 exec_lo, exec_lo, s15
	s_and_saveexec_b32 s15, s14
	s_cbranch_execz .LBB0_3461
; %bb.3460:                             ;   in Loop: Header=BB0_3457 Depth=2
	s_wait_loadcnt 0x0
	v_cmp_eq_u32_e64 s0, s6, v5
	v_cmp_eq_u32_e64 s1, s6, v7
	s_and_b32 s0, s0, s1
	s_delay_alu instid0(SALU_CYCLE_1)
	s_or_not1_b32 s1, s0, exec_lo
.LBB0_3461:                             ;   in Loop: Header=BB0_3457 Depth=2
	s_or_b32 exec_lo, exec_lo, s15
	s_delay_alu instid0(SALU_CYCLE_1) | instskip(NEXT) | instid1(SALU_CYCLE_1)
	s_and_b32 s0, exec_lo, s1
	s_or_b32 s13, s0, s13
	s_delay_alu instid0(SALU_CYCLE_1)
	s_and_not1_b32 exec_lo, exec_lo, s13
	s_cbranch_execnz .LBB0_3457
; %bb.3462:                             ;   in Loop: Header=BB0_3457 Depth=2
	s_or_b32 exec_lo, exec_lo, s13
	s_wait_loadcnt 0x0
	v_dual_mov_b32 v5, v6 :: v_dual_mov_b32 v14, 0
	s_mov_b32 s13, 0
	s_delay_alu instid0(VALU_DEP_1) | instskip(SKIP_1) | instid1(SALU_CYCLE_1)
	v_cmp_eq_u64_e64 s0, s[6:7], v[4:5]
	s_or_b32 s12, s0, s12
	s_and_not1_b32 exec_lo, exec_lo, s12
	s_cbranch_execnz .LBB0_3457
; %bb.3463:                             ;   in Loop: Header=BB0_1755 Depth=1
	s_or_b32 exec_lo, exec_lo, s12
	s_add_co_i32 s6, s4, 0xf4
	s_mov_b32 s1, s5
	s_bfe_u32 s0, s6, 0x100003
	v_dual_mov_b32 v0, s6 :: v_dual_mov_b32 v1, s6
	s_mulk_i32 s0, 0x20c5
	v_dual_mov_b32 v3, s6 :: v_dual_mov_b32 v14, 0
	s_lshr_b32 s0, s0, 20
	s_mov_b32 s7, s5
	s_mulk_i32 s0, 0x3e8
	s_mov_b32 s12, 0
	s_sub_co_i32 s0, s6, s0
	s_delay_alu instid0(SALU_CYCLE_1) | instskip(NEXT) | instid1(SALU_CYCLE_1)
	s_and_b32 s0, s0, 0xffff
	s_lshl_b32 s0, s0, 12
	s_delay_alu instid0(SALU_CYCLE_1)
	v_add_nc_u64_e32 v[4:5], s[0:1], v[10:11]
	v_add_nc_u64_e32 v[8:9], s[0:1], v[12:13]
	global_store_b128 v[4:5], v[0:3], off th:TH_STORE_NT
.LBB0_3464:                             ;   Parent Loop BB0_1755 Depth=1
                                        ; =>  This Inner Loop Header: Depth=2
	s_wait_loadcnt 0x0
	global_load_b128 v[4:7], v[8:9], off th:TH_LOAD_NT
	v_add_nc_u32_e32 v14, 1, v14
	s_mov_b32 s1, -1
	s_mov_b32 s14, -1
	s_mov_b32 s15, exec_lo
	s_wait_xcnt 0x0
	v_cmpx_eq_u32_e32 0xf4240, v14
	s_cbranch_execz .LBB0_3466
; %bb.3465:                             ;   in Loop: Header=BB0_3464 Depth=2
	s_wait_loadcnt 0x0
	s_wait_storecnt 0x0
	global_load_b32 v0, v2, s[10:11] scope:SCOPE_SYS
	s_wait_loadcnt 0x0
	global_inv scope:SCOPE_SYS
	v_mov_b32_e32 v14, 0
	v_cmp_eq_u32_e64 s0, 0, v0
	s_or_not1_b32 s14, s0, exec_lo
.LBB0_3466:                             ;   in Loop: Header=BB0_3464 Depth=2
	s_wait_xcnt 0x0
	s_or_b32 exec_lo, exec_lo, s15
	s_and_saveexec_b32 s15, s14
	s_cbranch_execz .LBB0_3468
; %bb.3467:                             ;   in Loop: Header=BB0_3464 Depth=2
	s_wait_loadcnt 0x0
	v_cmp_eq_u32_e64 s0, s6, v5
	v_cmp_eq_u32_e64 s1, s6, v7
	s_and_b32 s0, s0, s1
	s_delay_alu instid0(SALU_CYCLE_1)
	s_or_not1_b32 s1, s0, exec_lo
.LBB0_3468:                             ;   in Loop: Header=BB0_3464 Depth=2
	s_or_b32 exec_lo, exec_lo, s15
	s_delay_alu instid0(SALU_CYCLE_1) | instskip(NEXT) | instid1(SALU_CYCLE_1)
	s_and_b32 s0, exec_lo, s1
	s_or_b32 s13, s0, s13
	s_delay_alu instid0(SALU_CYCLE_1)
	s_and_not1_b32 exec_lo, exec_lo, s13
	s_cbranch_execnz .LBB0_3464
; %bb.3469:                             ;   in Loop: Header=BB0_3464 Depth=2
	s_or_b32 exec_lo, exec_lo, s13
	s_wait_loadcnt 0x0
	v_dual_mov_b32 v5, v6 :: v_dual_mov_b32 v14, 0
	s_mov_b32 s13, 0
	s_delay_alu instid0(VALU_DEP_1) | instskip(SKIP_1) | instid1(SALU_CYCLE_1)
	v_cmp_eq_u64_e64 s0, s[6:7], v[4:5]
	s_or_b32 s12, s0, s12
	s_and_not1_b32 exec_lo, exec_lo, s12
	s_cbranch_execnz .LBB0_3464
; %bb.3470:                             ;   in Loop: Header=BB0_1755 Depth=1
	s_or_b32 exec_lo, exec_lo, s12
	s_add_co_i32 s6, s4, 0xf5
	s_mov_b32 s1, s5
	s_bfe_u32 s0, s6, 0x100003
	v_dual_mov_b32 v0, s6 :: v_dual_mov_b32 v1, s6
	s_mulk_i32 s0, 0x20c5
	v_dual_mov_b32 v3, s6 :: v_dual_mov_b32 v14, 0
	s_lshr_b32 s0, s0, 20
	s_mov_b32 s7, s5
	s_mulk_i32 s0, 0x3e8
	s_mov_b32 s12, 0
	s_sub_co_i32 s0, s6, s0
	s_delay_alu instid0(SALU_CYCLE_1) | instskip(NEXT) | instid1(SALU_CYCLE_1)
	s_and_b32 s0, s0, 0xffff
	s_lshl_b32 s0, s0, 12
	s_delay_alu instid0(SALU_CYCLE_1)
	v_add_nc_u64_e32 v[4:5], s[0:1], v[10:11]
	v_add_nc_u64_e32 v[8:9], s[0:1], v[12:13]
	global_store_b128 v[4:5], v[0:3], off th:TH_STORE_NT
.LBB0_3471:                             ;   Parent Loop BB0_1755 Depth=1
                                        ; =>  This Inner Loop Header: Depth=2
	s_wait_loadcnt 0x0
	global_load_b128 v[4:7], v[8:9], off th:TH_LOAD_NT
	v_add_nc_u32_e32 v14, 1, v14
	s_mov_b32 s1, -1
	s_mov_b32 s14, -1
	s_mov_b32 s15, exec_lo
	s_wait_xcnt 0x0
	v_cmpx_eq_u32_e32 0xf4240, v14
	s_cbranch_execz .LBB0_3473
; %bb.3472:                             ;   in Loop: Header=BB0_3471 Depth=2
	s_wait_loadcnt 0x0
	s_wait_storecnt 0x0
	global_load_b32 v0, v2, s[10:11] scope:SCOPE_SYS
	s_wait_loadcnt 0x0
	global_inv scope:SCOPE_SYS
	v_mov_b32_e32 v14, 0
	v_cmp_eq_u32_e64 s0, 0, v0
	s_or_not1_b32 s14, s0, exec_lo
.LBB0_3473:                             ;   in Loop: Header=BB0_3471 Depth=2
	s_wait_xcnt 0x0
	s_or_b32 exec_lo, exec_lo, s15
	s_and_saveexec_b32 s15, s14
	s_cbranch_execz .LBB0_3475
; %bb.3474:                             ;   in Loop: Header=BB0_3471 Depth=2
	s_wait_loadcnt 0x0
	v_cmp_eq_u32_e64 s0, s6, v5
	v_cmp_eq_u32_e64 s1, s6, v7
	s_and_b32 s0, s0, s1
	s_delay_alu instid0(SALU_CYCLE_1)
	s_or_not1_b32 s1, s0, exec_lo
.LBB0_3475:                             ;   in Loop: Header=BB0_3471 Depth=2
	s_or_b32 exec_lo, exec_lo, s15
	s_delay_alu instid0(SALU_CYCLE_1) | instskip(NEXT) | instid1(SALU_CYCLE_1)
	s_and_b32 s0, exec_lo, s1
	s_or_b32 s13, s0, s13
	s_delay_alu instid0(SALU_CYCLE_1)
	s_and_not1_b32 exec_lo, exec_lo, s13
	s_cbranch_execnz .LBB0_3471
; %bb.3476:                             ;   in Loop: Header=BB0_3471 Depth=2
	s_or_b32 exec_lo, exec_lo, s13
	s_wait_loadcnt 0x0
	v_dual_mov_b32 v5, v6 :: v_dual_mov_b32 v14, 0
	s_mov_b32 s13, 0
	s_delay_alu instid0(VALU_DEP_1) | instskip(SKIP_1) | instid1(SALU_CYCLE_1)
	v_cmp_eq_u64_e64 s0, s[6:7], v[4:5]
	s_or_b32 s12, s0, s12
	s_and_not1_b32 exec_lo, exec_lo, s12
	s_cbranch_execnz .LBB0_3471
; %bb.3477:                             ;   in Loop: Header=BB0_1755 Depth=1
	s_or_b32 exec_lo, exec_lo, s12
	s_add_co_i32 s6, s4, 0xf6
	s_mov_b32 s1, s5
	s_bfe_u32 s0, s6, 0x100003
	v_dual_mov_b32 v0, s6 :: v_dual_mov_b32 v1, s6
	s_mulk_i32 s0, 0x20c5
	v_dual_mov_b32 v3, s6 :: v_dual_mov_b32 v14, 0
	s_lshr_b32 s0, s0, 20
	s_mov_b32 s7, s5
	s_mulk_i32 s0, 0x3e8
	s_mov_b32 s12, 0
	s_sub_co_i32 s0, s6, s0
	s_delay_alu instid0(SALU_CYCLE_1) | instskip(NEXT) | instid1(SALU_CYCLE_1)
	s_and_b32 s0, s0, 0xffff
	s_lshl_b32 s0, s0, 12
	s_delay_alu instid0(SALU_CYCLE_1)
	v_add_nc_u64_e32 v[4:5], s[0:1], v[10:11]
	v_add_nc_u64_e32 v[8:9], s[0:1], v[12:13]
	global_store_b128 v[4:5], v[0:3], off th:TH_STORE_NT
.LBB0_3478:                             ;   Parent Loop BB0_1755 Depth=1
                                        ; =>  This Inner Loop Header: Depth=2
	s_wait_loadcnt 0x0
	global_load_b128 v[4:7], v[8:9], off th:TH_LOAD_NT
	v_add_nc_u32_e32 v14, 1, v14
	s_mov_b32 s1, -1
	s_mov_b32 s14, -1
	s_mov_b32 s15, exec_lo
	s_wait_xcnt 0x0
	v_cmpx_eq_u32_e32 0xf4240, v14
	s_cbranch_execz .LBB0_3480
; %bb.3479:                             ;   in Loop: Header=BB0_3478 Depth=2
	s_wait_loadcnt 0x0
	s_wait_storecnt 0x0
	global_load_b32 v0, v2, s[10:11] scope:SCOPE_SYS
	s_wait_loadcnt 0x0
	global_inv scope:SCOPE_SYS
	v_mov_b32_e32 v14, 0
	v_cmp_eq_u32_e64 s0, 0, v0
	s_or_not1_b32 s14, s0, exec_lo
.LBB0_3480:                             ;   in Loop: Header=BB0_3478 Depth=2
	s_wait_xcnt 0x0
	s_or_b32 exec_lo, exec_lo, s15
	s_and_saveexec_b32 s15, s14
	s_cbranch_execz .LBB0_3482
; %bb.3481:                             ;   in Loop: Header=BB0_3478 Depth=2
	s_wait_loadcnt 0x0
	v_cmp_eq_u32_e64 s0, s6, v5
	v_cmp_eq_u32_e64 s1, s6, v7
	s_and_b32 s0, s0, s1
	s_delay_alu instid0(SALU_CYCLE_1)
	s_or_not1_b32 s1, s0, exec_lo
.LBB0_3482:                             ;   in Loop: Header=BB0_3478 Depth=2
	s_or_b32 exec_lo, exec_lo, s15
	s_delay_alu instid0(SALU_CYCLE_1) | instskip(NEXT) | instid1(SALU_CYCLE_1)
	s_and_b32 s0, exec_lo, s1
	s_or_b32 s13, s0, s13
	s_delay_alu instid0(SALU_CYCLE_1)
	s_and_not1_b32 exec_lo, exec_lo, s13
	s_cbranch_execnz .LBB0_3478
; %bb.3483:                             ;   in Loop: Header=BB0_3478 Depth=2
	s_or_b32 exec_lo, exec_lo, s13
	s_wait_loadcnt 0x0
	v_dual_mov_b32 v5, v6 :: v_dual_mov_b32 v14, 0
	s_mov_b32 s13, 0
	s_delay_alu instid0(VALU_DEP_1) | instskip(SKIP_1) | instid1(SALU_CYCLE_1)
	v_cmp_eq_u64_e64 s0, s[6:7], v[4:5]
	s_or_b32 s12, s0, s12
	s_and_not1_b32 exec_lo, exec_lo, s12
	s_cbranch_execnz .LBB0_3478
; %bb.3484:                             ;   in Loop: Header=BB0_1755 Depth=1
	s_or_b32 exec_lo, exec_lo, s12
	s_add_co_i32 s6, s4, 0xf7
	s_mov_b32 s1, s5
	s_bfe_u32 s0, s6, 0x100003
	v_dual_mov_b32 v0, s6 :: v_dual_mov_b32 v1, s6
	s_mulk_i32 s0, 0x20c5
	v_dual_mov_b32 v3, s6 :: v_dual_mov_b32 v14, 0
	s_lshr_b32 s0, s0, 20
	s_mov_b32 s7, s5
	s_mulk_i32 s0, 0x3e8
	s_mov_b32 s12, 0
	s_sub_co_i32 s0, s6, s0
	s_delay_alu instid0(SALU_CYCLE_1) | instskip(NEXT) | instid1(SALU_CYCLE_1)
	s_and_b32 s0, s0, 0xffff
	s_lshl_b32 s0, s0, 12
	s_delay_alu instid0(SALU_CYCLE_1)
	v_add_nc_u64_e32 v[4:5], s[0:1], v[10:11]
	v_add_nc_u64_e32 v[8:9], s[0:1], v[12:13]
	global_store_b128 v[4:5], v[0:3], off th:TH_STORE_NT
.LBB0_3485:                             ;   Parent Loop BB0_1755 Depth=1
                                        ; =>  This Inner Loop Header: Depth=2
	s_wait_loadcnt 0x0
	global_load_b128 v[4:7], v[8:9], off th:TH_LOAD_NT
	v_add_nc_u32_e32 v14, 1, v14
	s_mov_b32 s1, -1
	s_mov_b32 s14, -1
	s_mov_b32 s15, exec_lo
	s_wait_xcnt 0x0
	v_cmpx_eq_u32_e32 0xf4240, v14
	s_cbranch_execz .LBB0_3487
; %bb.3486:                             ;   in Loop: Header=BB0_3485 Depth=2
	s_wait_loadcnt 0x0
	s_wait_storecnt 0x0
	global_load_b32 v0, v2, s[10:11] scope:SCOPE_SYS
	s_wait_loadcnt 0x0
	global_inv scope:SCOPE_SYS
	v_mov_b32_e32 v14, 0
	v_cmp_eq_u32_e64 s0, 0, v0
	s_or_not1_b32 s14, s0, exec_lo
.LBB0_3487:                             ;   in Loop: Header=BB0_3485 Depth=2
	s_wait_xcnt 0x0
	s_or_b32 exec_lo, exec_lo, s15
	s_and_saveexec_b32 s15, s14
	s_cbranch_execz .LBB0_3489
; %bb.3488:                             ;   in Loop: Header=BB0_3485 Depth=2
	s_wait_loadcnt 0x0
	v_cmp_eq_u32_e64 s0, s6, v5
	v_cmp_eq_u32_e64 s1, s6, v7
	s_and_b32 s0, s0, s1
	s_delay_alu instid0(SALU_CYCLE_1)
	s_or_not1_b32 s1, s0, exec_lo
.LBB0_3489:                             ;   in Loop: Header=BB0_3485 Depth=2
	s_or_b32 exec_lo, exec_lo, s15
	s_delay_alu instid0(SALU_CYCLE_1) | instskip(NEXT) | instid1(SALU_CYCLE_1)
	s_and_b32 s0, exec_lo, s1
	s_or_b32 s13, s0, s13
	s_delay_alu instid0(SALU_CYCLE_1)
	s_and_not1_b32 exec_lo, exec_lo, s13
	s_cbranch_execnz .LBB0_3485
; %bb.3490:                             ;   in Loop: Header=BB0_3485 Depth=2
	s_or_b32 exec_lo, exec_lo, s13
	s_wait_loadcnt 0x0
	v_dual_mov_b32 v5, v6 :: v_dual_mov_b32 v14, 0
	s_mov_b32 s13, 0
	s_delay_alu instid0(VALU_DEP_1) | instskip(SKIP_1) | instid1(SALU_CYCLE_1)
	v_cmp_eq_u64_e64 s0, s[6:7], v[4:5]
	s_or_b32 s12, s0, s12
	s_and_not1_b32 exec_lo, exec_lo, s12
	s_cbranch_execnz .LBB0_3485
; %bb.3491:                             ;   in Loop: Header=BB0_1755 Depth=1
	s_or_b32 exec_lo, exec_lo, s12
	s_add_co_i32 s6, s4, 0xf8
	s_mov_b32 s1, s5
	s_bfe_u32 s0, s6, 0x100003
	v_dual_mov_b32 v0, s6 :: v_dual_mov_b32 v1, s6
	s_mulk_i32 s0, 0x20c5
	v_dual_mov_b32 v3, s6 :: v_dual_mov_b32 v14, 0
	s_lshr_b32 s0, s0, 20
	s_mov_b32 s7, s5
	s_mulk_i32 s0, 0x3e8
	s_mov_b32 s12, 0
	s_sub_co_i32 s0, s6, s0
	s_delay_alu instid0(SALU_CYCLE_1) | instskip(NEXT) | instid1(SALU_CYCLE_1)
	s_and_b32 s0, s0, 0xffff
	s_lshl_b32 s0, s0, 12
	s_delay_alu instid0(SALU_CYCLE_1)
	v_add_nc_u64_e32 v[4:5], s[0:1], v[10:11]
	v_add_nc_u64_e32 v[8:9], s[0:1], v[12:13]
	global_store_b128 v[4:5], v[0:3], off th:TH_STORE_NT
.LBB0_3492:                             ;   Parent Loop BB0_1755 Depth=1
                                        ; =>  This Inner Loop Header: Depth=2
	s_wait_loadcnt 0x0
	global_load_b128 v[4:7], v[8:9], off th:TH_LOAD_NT
	v_add_nc_u32_e32 v14, 1, v14
	s_mov_b32 s1, -1
	s_mov_b32 s14, -1
	s_mov_b32 s15, exec_lo
	s_wait_xcnt 0x0
	v_cmpx_eq_u32_e32 0xf4240, v14
	s_cbranch_execz .LBB0_3494
; %bb.3493:                             ;   in Loop: Header=BB0_3492 Depth=2
	s_wait_loadcnt 0x0
	s_wait_storecnt 0x0
	global_load_b32 v0, v2, s[10:11] scope:SCOPE_SYS
	s_wait_loadcnt 0x0
	global_inv scope:SCOPE_SYS
	v_mov_b32_e32 v14, 0
	v_cmp_eq_u32_e64 s0, 0, v0
	s_or_not1_b32 s14, s0, exec_lo
.LBB0_3494:                             ;   in Loop: Header=BB0_3492 Depth=2
	s_wait_xcnt 0x0
	s_or_b32 exec_lo, exec_lo, s15
	s_and_saveexec_b32 s15, s14
	s_cbranch_execz .LBB0_3496
; %bb.3495:                             ;   in Loop: Header=BB0_3492 Depth=2
	s_wait_loadcnt 0x0
	v_cmp_eq_u32_e64 s0, s6, v5
	v_cmp_eq_u32_e64 s1, s6, v7
	s_and_b32 s0, s0, s1
	s_delay_alu instid0(SALU_CYCLE_1)
	s_or_not1_b32 s1, s0, exec_lo
.LBB0_3496:                             ;   in Loop: Header=BB0_3492 Depth=2
	s_or_b32 exec_lo, exec_lo, s15
	s_delay_alu instid0(SALU_CYCLE_1) | instskip(NEXT) | instid1(SALU_CYCLE_1)
	s_and_b32 s0, exec_lo, s1
	s_or_b32 s13, s0, s13
	s_delay_alu instid0(SALU_CYCLE_1)
	s_and_not1_b32 exec_lo, exec_lo, s13
	s_cbranch_execnz .LBB0_3492
; %bb.3497:                             ;   in Loop: Header=BB0_3492 Depth=2
	s_or_b32 exec_lo, exec_lo, s13
	s_wait_loadcnt 0x0
	v_dual_mov_b32 v5, v6 :: v_dual_mov_b32 v14, 0
	s_mov_b32 s13, 0
	s_delay_alu instid0(VALU_DEP_1) | instskip(SKIP_1) | instid1(SALU_CYCLE_1)
	v_cmp_eq_u64_e64 s0, s[6:7], v[4:5]
	s_or_b32 s12, s0, s12
	s_and_not1_b32 exec_lo, exec_lo, s12
	s_cbranch_execnz .LBB0_3492
; %bb.3498:                             ;   in Loop: Header=BB0_1755 Depth=1
	s_or_b32 exec_lo, exec_lo, s12
	s_add_co_i32 s6, s4, 0xf9
	s_mov_b32 s1, s5
	s_bfe_u32 s0, s6, 0x100003
	v_dual_mov_b32 v0, s6 :: v_dual_mov_b32 v1, s6
	s_mulk_i32 s0, 0x20c5
	v_dual_mov_b32 v3, s6 :: v_dual_mov_b32 v14, 0
	s_lshr_b32 s0, s0, 20
	s_mov_b32 s7, s5
	s_mulk_i32 s0, 0x3e8
	s_mov_b32 s12, 0
	s_sub_co_i32 s0, s6, s0
	s_delay_alu instid0(SALU_CYCLE_1) | instskip(NEXT) | instid1(SALU_CYCLE_1)
	s_and_b32 s0, s0, 0xffff
	s_lshl_b32 s0, s0, 12
	s_delay_alu instid0(SALU_CYCLE_1)
	v_add_nc_u64_e32 v[4:5], s[0:1], v[10:11]
	v_add_nc_u64_e32 v[8:9], s[0:1], v[12:13]
	global_store_b128 v[4:5], v[0:3], off th:TH_STORE_NT
.LBB0_3499:                             ;   Parent Loop BB0_1755 Depth=1
                                        ; =>  This Inner Loop Header: Depth=2
	s_wait_loadcnt 0x0
	global_load_b128 v[4:7], v[8:9], off th:TH_LOAD_NT
	v_add_nc_u32_e32 v14, 1, v14
	s_mov_b32 s1, -1
	s_mov_b32 s14, -1
	s_mov_b32 s15, exec_lo
	s_wait_xcnt 0x0
	v_cmpx_eq_u32_e32 0xf4240, v14
	s_cbranch_execz .LBB0_3501
; %bb.3500:                             ;   in Loop: Header=BB0_3499 Depth=2
	s_wait_loadcnt 0x0
	s_wait_storecnt 0x0
	global_load_b32 v0, v2, s[10:11] scope:SCOPE_SYS
	s_wait_loadcnt 0x0
	global_inv scope:SCOPE_SYS
	v_mov_b32_e32 v14, 0
	v_cmp_eq_u32_e64 s0, 0, v0
	s_or_not1_b32 s14, s0, exec_lo
.LBB0_3501:                             ;   in Loop: Header=BB0_3499 Depth=2
	s_wait_xcnt 0x0
	s_or_b32 exec_lo, exec_lo, s15
	s_and_saveexec_b32 s15, s14
	s_cbranch_execz .LBB0_3503
; %bb.3502:                             ;   in Loop: Header=BB0_3499 Depth=2
	s_wait_loadcnt 0x0
	v_cmp_eq_u32_e64 s0, s6, v5
	v_cmp_eq_u32_e64 s1, s6, v7
	s_and_b32 s0, s0, s1
	s_delay_alu instid0(SALU_CYCLE_1)
	s_or_not1_b32 s1, s0, exec_lo
.LBB0_3503:                             ;   in Loop: Header=BB0_3499 Depth=2
	s_or_b32 exec_lo, exec_lo, s15
	s_delay_alu instid0(SALU_CYCLE_1) | instskip(NEXT) | instid1(SALU_CYCLE_1)
	s_and_b32 s0, exec_lo, s1
	s_or_b32 s13, s0, s13
	s_delay_alu instid0(SALU_CYCLE_1)
	s_and_not1_b32 exec_lo, exec_lo, s13
	s_cbranch_execnz .LBB0_3499
; %bb.3504:                             ;   in Loop: Header=BB0_3499 Depth=2
	s_or_b32 exec_lo, exec_lo, s13
	s_wait_loadcnt 0x0
	v_dual_mov_b32 v5, v6 :: v_dual_mov_b32 v14, 0
	s_mov_b32 s13, 0
	s_delay_alu instid0(VALU_DEP_1) | instskip(SKIP_1) | instid1(SALU_CYCLE_1)
	v_cmp_eq_u64_e64 s0, s[6:7], v[4:5]
	s_or_b32 s12, s0, s12
	s_and_not1_b32 exec_lo, exec_lo, s12
	s_cbranch_execnz .LBB0_3499
; %bb.3505:                             ;   in Loop: Header=BB0_1755 Depth=1
	s_or_b32 exec_lo, exec_lo, s12
	s_addk_co_i32 s4, 0xfa
	s_delay_alu instid0(SALU_CYCLE_1)
	s_cmp_eq_u32 s4, 0x2ee1
	s_cbranch_scc0 .LBB0_1755
; %bb.3506:
	s_wait_storecnt 0x0
	s_barrier_signal -1
	s_barrier_wait -1
	s_and_saveexec_b32 s0, vcc_lo
	s_cbranch_execz .LBB0_3508
; %bb.3507:
	s_sendmsg_rtn_b64 s[0:1], sendmsg(MSG_RTN_GET_REALTIME)
	v_mov_b32_e32 v2, 0
	s_wait_kmcnt 0x0
	s_sub_nc_u64 s[0:1], s[0:1], s[2:3]
	s_delay_alu instid0(SALU_CYCLE_1)
	v_mov_b64_e32 v[0:1], s[0:1]
	global_store_b64 v2, v[0:1], s[8:9]
.LBB0_3508:
	s_endpgm
	.section	.rodata,"a",@progbits
	.p2align	6, 0x0
	.amdhsa_kernel _Z10PingKernelP10LLFifoLineS0_PmPj
		.amdhsa_group_segment_fixed_size 0
		.amdhsa_private_segment_fixed_size 0
		.amdhsa_kernarg_size 32
		.amdhsa_user_sgpr_count 2
		.amdhsa_user_sgpr_dispatch_ptr 0
		.amdhsa_user_sgpr_queue_ptr 0
		.amdhsa_user_sgpr_kernarg_segment_ptr 1
		.amdhsa_user_sgpr_dispatch_id 0
		.amdhsa_user_sgpr_kernarg_preload_length 0
		.amdhsa_user_sgpr_kernarg_preload_offset 0
		.amdhsa_user_sgpr_private_segment_size 0
		.amdhsa_wavefront_size32 1
		.amdhsa_uses_dynamic_stack 0
		.amdhsa_enable_private_segment 0
		.amdhsa_system_sgpr_workgroup_id_x 1
		.amdhsa_system_sgpr_workgroup_id_y 0
		.amdhsa_system_sgpr_workgroup_id_z 0
		.amdhsa_system_sgpr_workgroup_info 0
		.amdhsa_system_vgpr_workitem_id 0
		.amdhsa_next_free_vgpr 16
		.amdhsa_next_free_sgpr 16
		.amdhsa_named_barrier_count 0
		.amdhsa_reserve_vcc 1
		.amdhsa_float_round_mode_32 0
		.amdhsa_float_round_mode_16_64 0
		.amdhsa_float_denorm_mode_32 3
		.amdhsa_float_denorm_mode_16_64 3
		.amdhsa_fp16_overflow 0
		.amdhsa_memory_ordered 1
		.amdhsa_forward_progress 1
		.amdhsa_inst_pref_size 255
		.amdhsa_round_robin_scheduling 0
		.amdhsa_exception_fp_ieee_invalid_op 0
		.amdhsa_exception_fp_denorm_src 0
		.amdhsa_exception_fp_ieee_div_zero 0
		.amdhsa_exception_fp_ieee_overflow 0
		.amdhsa_exception_fp_ieee_underflow 0
		.amdhsa_exception_fp_ieee_inexact 0
		.amdhsa_exception_int_div_zero 0
	.end_amdhsa_kernel
	.text
.Lfunc_end0:
	.size	_Z10PingKernelP10LLFifoLineS0_PmPj, .Lfunc_end0-_Z10PingKernelP10LLFifoLineS0_PmPj
                                        ; -- End function
	.set _Z10PingKernelP10LLFifoLineS0_PmPj.num_vgpr, 16
	.set _Z10PingKernelP10LLFifoLineS0_PmPj.num_agpr, 0
	.set _Z10PingKernelP10LLFifoLineS0_PmPj.numbered_sgpr, 16
	.set _Z10PingKernelP10LLFifoLineS0_PmPj.num_named_barrier, 0
	.set _Z10PingKernelP10LLFifoLineS0_PmPj.private_seg_size, 0
	.set _Z10PingKernelP10LLFifoLineS0_PmPj.uses_vcc, 1
	.set _Z10PingKernelP10LLFifoLineS0_PmPj.uses_flat_scratch, 0
	.set _Z10PingKernelP10LLFifoLineS0_PmPj.has_dyn_sized_stack, 0
	.set _Z10PingKernelP10LLFifoLineS0_PmPj.has_recursion, 0
	.set _Z10PingKernelP10LLFifoLineS0_PmPj.has_indirect_call, 0
	.section	.AMDGPU.csdata,"",@progbits
; Kernel info:
; codeLenInByte = 160648
; TotalNumSgprs: 18
; NumVgprs: 16
; ScratchSize: 0
; MemoryBound: 0
; FloatMode: 240
; IeeeMode: 1
; LDSByteSize: 0 bytes/workgroup (compile time only)
; SGPRBlocks: 0
; VGPRBlocks: 0
; NumSGPRsForWavesPerEU: 18
; NumVGPRsForWavesPerEU: 16
; NamedBarCnt: 0
; Occupancy: 16
; WaveLimiterHint : 0
; COMPUTE_PGM_RSRC2:SCRATCH_EN: 0
; COMPUTE_PGM_RSRC2:USER_SGPR: 2
; COMPUTE_PGM_RSRC2:TRAP_HANDLER: 0
; COMPUTE_PGM_RSRC2:TGID_X_EN: 1
; COMPUTE_PGM_RSRC2:TGID_Y_EN: 0
; COMPUTE_PGM_RSRC2:TGID_Z_EN: 0
; COMPUTE_PGM_RSRC2:TIDIG_COMP_CNT: 0
	.text
	.protected	_Z10PongKernelP10LLFifoLineS0_PmPj ; -- Begin function _Z10PongKernelP10LLFifoLineS0_PmPj
	.globl	_Z10PongKernelP10LLFifoLineS0_PmPj
	.p2align	8
	.type	_Z10PongKernelP10LLFifoLineS0_PmPj,@function
_Z10PongKernelP10LLFifoLineS0_PmPj:     ; @_Z10PongKernelP10LLFifoLineS0_PmPj
; %bb.0:
	s_load_b256 s[4:11], s[0:1], 0x0
	v_dual_mov_b32 v4, 0 :: v_dual_lshlrev_b32 v2, 4, v0
	s_mov_b32 s2, 1
	s_delay_alu instid0(VALU_DEP_1) | instskip(SKIP_1) | instid1(VALU_DEP_1)
	v_mov_b32_e32 v3, v4
	s_wait_kmcnt 0x0
	v_add_nc_u64_e32 v[10:11], s[4:5], v[2:3]
	v_add_nc_u64_e32 v[12:13], s[6:7], v[2:3]
	s_mov_b32 s5, 0
.LBB1_1:                                ; =>This Loop Header: Depth=1
                                        ;     Child Loop BB1_2 Depth 2
                                        ;     Child Loop BB1_9 Depth 2
	;; [unrolled: 1-line block ×250, first 2 shown]
	s_mul_hi_u32 s0, s2, 0x10624dd3
	s_mov_b32 s1, s5
	s_lshr_b32 s0, s0, 6
	v_mov_b32_e32 v1, 0
	s_mulk_i32 s0, 0x3e8
	s_mov_b32 s6, s5
	s_sub_co_i32 s3, s2, s0
	s_delay_alu instid0(SALU_CYCLE_1)
	s_lshl_b32 s0, s3, 12
	s_lshl_b32 s4, s3, 8
	s_wait_xcnt 0x0
	v_add_nc_u64_e32 v[2:3], s[0:1], v[10:11]
	s_mov_b32 s3, s5
.LBB1_2:                                ;   Parent Loop BB1_1 Depth=1
                                        ; =>  This Inner Loop Header: Depth=2
	s_wait_loadcnt 0x0
	global_load_b128 v[6:9], v[2:3], off th:TH_LOAD_NT
	v_add_nc_u32_e32 v1, 1, v1
	s_mov_b32 s0, -1
	s_mov_b32 s7, -1
	s_mov_b32 s12, exec_lo
	s_wait_xcnt 0x0
	v_cmpx_eq_u32_e32 0xf4240, v1
	s_cbranch_execz .LBB1_4
; %bb.3:                                ;   in Loop: Header=BB1_2 Depth=2
	s_wait_loadcnt 0x0
	global_load_b32 v1, v4, s[10:11] scope:SCOPE_SYS
	s_wait_loadcnt 0x0
	global_inv scope:SCOPE_SYS
	v_cmp_eq_u32_e32 vcc_lo, 0, v1
	v_mov_b32_e32 v1, 0
	s_or_not1_b32 s7, vcc_lo, exec_lo
.LBB1_4:                                ;   in Loop: Header=BB1_2 Depth=2
	s_wait_xcnt 0x0
	s_or_b32 exec_lo, exec_lo, s12
	s_and_saveexec_b32 s12, s7
	s_cbranch_execz .LBB1_6
; %bb.5:                                ;   in Loop: Header=BB1_2 Depth=2
	s_wait_loadcnt 0x0
	v_cmp_eq_u32_e32 vcc_lo, s2, v7
	v_cmp_eq_u32_e64 s0, s2, v9
	s_and_b32 s0, vcc_lo, s0
	s_delay_alu instid0(SALU_CYCLE_1)
	s_or_not1_b32 s0, s0, exec_lo
.LBB1_6:                                ;   in Loop: Header=BB1_2 Depth=2
	s_or_b32 exec_lo, exec_lo, s12
	s_delay_alu instid0(SALU_CYCLE_1) | instskip(NEXT) | instid1(SALU_CYCLE_1)
	s_and_b32 s0, exec_lo, s0
	s_or_b32 s6, s0, s6
	s_delay_alu instid0(SALU_CYCLE_1)
	s_and_not1_b32 exec_lo, exec_lo, s6
	s_cbranch_execnz .LBB1_2
; %bb.7:                                ;   in Loop: Header=BB1_2 Depth=2
	s_or_b32 exec_lo, exec_lo, s6
	s_wait_loadcnt 0x0
	v_dual_mov_b32 v7, v8 :: v_dual_mov_b32 v1, 0
	s_mov_b32 s6, 0
	s_delay_alu instid0(VALU_DEP_1) | instskip(SKIP_1) | instid1(SALU_CYCLE_1)
	v_cmp_eq_u64_e32 vcc_lo, s[2:3], v[6:7]
	s_or_b32 s1, vcc_lo, s1
	s_and_not1_b32 exec_lo, exec_lo, s1
	s_cbranch_execnz .LBB1_2
; %bb.8:                                ;   in Loop: Header=BB1_1 Depth=1
	s_or_b32 exec_lo, exec_lo, s1
	s_add_co_i32 s6, s2, 1
	v_lshl_add_u64 v[6:7], s[4:5], 4, v[12:13]
	s_mul_hi_u32 s0, s6, 0x10624dd3
	s_mov_b32 s12, 0
	s_lshr_b32 s0, s0, 6
	s_mov_b32 s13, s2
	s_mul_i32 s4, s0, 0x3e8
	s_or_b64 s[0:1], s[12:13], s[2:3]
	s_sub_co_i32 s3, s6, s4
	s_mov_b32 s15, s5
	s_lshl_b32 s14, s3, 12
	v_dual_mov_b32 v2, s0 :: v_dual_mov_b32 v3, s1
	v_add_nc_u64_e32 v[14:15], s[14:15], v[10:11]
	v_dual_mov_b32 v5, s2 :: v_dual_mov_b32 v1, 0
	s_lshl_b32 s4, s3, 8
	s_mov_b32 s7, s5
	s_mov_b32 s1, s12
	global_store_b128 v[6:7], v[2:5], off th:TH_STORE_NT
.LBB1_9:                                ;   Parent Loop BB1_1 Depth=1
                                        ; =>  This Inner Loop Header: Depth=2
	s_wait_loadcnt 0x0
	global_load_b128 v[6:9], v[14:15], off th:TH_LOAD_NT
	v_add_nc_u32_e32 v1, 1, v1
	s_mov_b32 s0, -1
	s_mov_b32 s3, -1
	s_mov_b32 s13, exec_lo
	s_wait_xcnt 0x0
	v_cmpx_eq_u32_e32 0xf4240, v1
	s_cbranch_execz .LBB1_11
; %bb.10:                               ;   in Loop: Header=BB1_9 Depth=2
	s_wait_loadcnt 0x0
	s_wait_storecnt 0x0
	global_load_b32 v1, v4, s[10:11] scope:SCOPE_SYS
	s_wait_loadcnt 0x0
	global_inv scope:SCOPE_SYS
	v_cmp_eq_u32_e32 vcc_lo, 0, v1
	v_mov_b32_e32 v1, 0
	s_or_not1_b32 s3, vcc_lo, exec_lo
.LBB1_11:                               ;   in Loop: Header=BB1_9 Depth=2
	s_wait_xcnt 0x0
	s_or_b32 exec_lo, exec_lo, s13
	s_and_saveexec_b32 s13, s3
	s_cbranch_execz .LBB1_13
; %bb.12:                               ;   in Loop: Header=BB1_9 Depth=2
	s_wait_loadcnt 0x0
	v_cmp_eq_u32_e32 vcc_lo, s6, v7
	v_cmp_eq_u32_e64 s0, s6, v9
	s_and_b32 s0, vcc_lo, s0
	s_delay_alu instid0(SALU_CYCLE_1)
	s_or_not1_b32 s0, s0, exec_lo
.LBB1_13:                               ;   in Loop: Header=BB1_9 Depth=2
	s_or_b32 exec_lo, exec_lo, s13
	s_delay_alu instid0(SALU_CYCLE_1) | instskip(NEXT) | instid1(SALU_CYCLE_1)
	s_and_b32 s0, exec_lo, s0
	s_or_b32 s1, s0, s1
	s_delay_alu instid0(SALU_CYCLE_1)
	s_and_not1_b32 exec_lo, exec_lo, s1
	s_cbranch_execnz .LBB1_9
; %bb.14:                               ;   in Loop: Header=BB1_9 Depth=2
	s_or_b32 exec_lo, exec_lo, s1
	s_wait_loadcnt 0x0
	v_dual_mov_b32 v7, v8 :: v_dual_mov_b32 v1, 0
	s_mov_b32 s1, 0
	s_delay_alu instid0(VALU_DEP_1) | instskip(SKIP_1) | instid1(SALU_CYCLE_1)
	v_cmp_eq_u64_e32 vcc_lo, s[6:7], v[6:7]
	s_or_b32 s12, vcc_lo, s12
	s_and_not1_b32 exec_lo, exec_lo, s12
	s_cbranch_execnz .LBB1_9
; %bb.15:                               ;   in Loop: Header=BB1_1 Depth=1
	s_or_b32 exec_lo, exec_lo, s12
	s_add_co_i32 s12, s2, 2
	s_mov_b32 s14, 0
	s_mul_hi_u32 s0, s12, 0x10624dd3
	s_mov_b32 s15, s6
	s_lshr_b32 s0, s0, 6
	s_mov_b32 s17, s5
	s_mul_i32 s3, s0, 0x3e8
	s_or_b64 s[0:1], s[14:15], s[6:7]
	s_sub_co_i32 s3, s12, s3
	v_lshl_add_u64 v[6:7], s[4:5], 4, v[12:13]
	s_lshl_b32 s16, s3, 12
	v_dual_mov_b32 v2, s0 :: v_dual_mov_b32 v3, s1
	v_add_nc_u64_e32 v[14:15], s[16:17], v[10:11]
	v_dual_mov_b32 v5, s6 :: v_dual_mov_b32 v1, 0
	s_lshl_b32 s4, s3, 8
	s_mov_b32 s13, s5
	s_mov_b32 s1, s14
	global_store_b128 v[6:7], v[2:5], off th:TH_STORE_NT
.LBB1_16:                               ;   Parent Loop BB1_1 Depth=1
                                        ; =>  This Inner Loop Header: Depth=2
	s_wait_loadcnt 0x0
	global_load_b128 v[6:9], v[14:15], off th:TH_LOAD_NT
	v_add_nc_u32_e32 v1, 1, v1
	s_mov_b32 s0, -1
	s_mov_b32 s3, -1
	s_mov_b32 s6, exec_lo
	s_wait_xcnt 0x0
	v_cmpx_eq_u32_e32 0xf4240, v1
	s_cbranch_execz .LBB1_18
; %bb.17:                               ;   in Loop: Header=BB1_16 Depth=2
	s_wait_loadcnt 0x0
	s_wait_storecnt 0x0
	global_load_b32 v1, v4, s[10:11] scope:SCOPE_SYS
	s_wait_loadcnt 0x0
	global_inv scope:SCOPE_SYS
	v_cmp_eq_u32_e32 vcc_lo, 0, v1
	v_mov_b32_e32 v1, 0
	s_or_not1_b32 s3, vcc_lo, exec_lo
.LBB1_18:                               ;   in Loop: Header=BB1_16 Depth=2
	s_wait_xcnt 0x0
	s_or_b32 exec_lo, exec_lo, s6
	s_and_saveexec_b32 s6, s3
	s_cbranch_execz .LBB1_20
; %bb.19:                               ;   in Loop: Header=BB1_16 Depth=2
	s_wait_loadcnt 0x0
	v_cmp_eq_u32_e32 vcc_lo, s12, v7
	v_cmp_eq_u32_e64 s0, s12, v9
	s_and_b32 s0, vcc_lo, s0
	s_delay_alu instid0(SALU_CYCLE_1)
	s_or_not1_b32 s0, s0, exec_lo
.LBB1_20:                               ;   in Loop: Header=BB1_16 Depth=2
	s_or_b32 exec_lo, exec_lo, s6
	s_delay_alu instid0(SALU_CYCLE_1) | instskip(NEXT) | instid1(SALU_CYCLE_1)
	s_and_b32 s0, exec_lo, s0
	s_or_b32 s1, s0, s1
	s_delay_alu instid0(SALU_CYCLE_1)
	s_and_not1_b32 exec_lo, exec_lo, s1
	s_cbranch_execnz .LBB1_16
; %bb.21:                               ;   in Loop: Header=BB1_16 Depth=2
	s_or_b32 exec_lo, exec_lo, s1
	s_wait_loadcnt 0x0
	v_dual_mov_b32 v7, v8 :: v_dual_mov_b32 v1, 0
	s_mov_b32 s1, 0
	s_delay_alu instid0(VALU_DEP_1) | instskip(SKIP_1) | instid1(SALU_CYCLE_1)
	v_cmp_eq_u64_e32 vcc_lo, s[12:13], v[6:7]
	s_or_b32 s14, vcc_lo, s14
	s_and_not1_b32 exec_lo, exec_lo, s14
	s_cbranch_execnz .LBB1_16
; %bb.22:                               ;   in Loop: Header=BB1_1 Depth=1
	s_or_b32 exec_lo, exec_lo, s14
	s_add_co_i32 s6, s2, 3
	s_mov_b32 s14, 0
	s_mul_hi_u32 s0, s6, 0x10624dd3
	s_mov_b32 s15, s12
	s_lshr_b32 s0, s0, 6
	s_mov_b32 s17, s5
	s_mul_i32 s3, s0, 0x3e8
	s_or_b64 s[0:1], s[14:15], s[12:13]
	s_sub_co_i32 s3, s6, s3
	v_lshl_add_u64 v[6:7], s[4:5], 4, v[12:13]
	s_lshl_b32 s16, s3, 12
	v_dual_mov_b32 v2, s0 :: v_dual_mov_b32 v3, s1
	v_add_nc_u64_e32 v[14:15], s[16:17], v[10:11]
	v_dual_mov_b32 v5, s12 :: v_dual_mov_b32 v1, 0
	s_lshl_b32 s4, s3, 8
	s_mov_b32 s7, s5
	s_mov_b32 s1, s14
	global_store_b128 v[6:7], v[2:5], off th:TH_STORE_NT
.LBB1_23:                               ;   Parent Loop BB1_1 Depth=1
                                        ; =>  This Inner Loop Header: Depth=2
	s_wait_loadcnt 0x0
	global_load_b128 v[6:9], v[14:15], off th:TH_LOAD_NT
	v_add_nc_u32_e32 v1, 1, v1
	s_mov_b32 s0, -1
	s_mov_b32 s3, -1
	s_mov_b32 s12, exec_lo
	s_wait_xcnt 0x0
	v_cmpx_eq_u32_e32 0xf4240, v1
	s_cbranch_execz .LBB1_25
; %bb.24:                               ;   in Loop: Header=BB1_23 Depth=2
	s_wait_loadcnt 0x0
	s_wait_storecnt 0x0
	global_load_b32 v1, v4, s[10:11] scope:SCOPE_SYS
	s_wait_loadcnt 0x0
	global_inv scope:SCOPE_SYS
	v_cmp_eq_u32_e32 vcc_lo, 0, v1
	v_mov_b32_e32 v1, 0
	s_or_not1_b32 s3, vcc_lo, exec_lo
.LBB1_25:                               ;   in Loop: Header=BB1_23 Depth=2
	s_wait_xcnt 0x0
	s_or_b32 exec_lo, exec_lo, s12
	s_and_saveexec_b32 s12, s3
	s_cbranch_execz .LBB1_27
; %bb.26:                               ;   in Loop: Header=BB1_23 Depth=2
	s_wait_loadcnt 0x0
	v_cmp_eq_u32_e32 vcc_lo, s6, v7
	v_cmp_eq_u32_e64 s0, s6, v9
	s_and_b32 s0, vcc_lo, s0
	s_delay_alu instid0(SALU_CYCLE_1)
	s_or_not1_b32 s0, s0, exec_lo
.LBB1_27:                               ;   in Loop: Header=BB1_23 Depth=2
	s_or_b32 exec_lo, exec_lo, s12
	s_delay_alu instid0(SALU_CYCLE_1) | instskip(NEXT) | instid1(SALU_CYCLE_1)
	s_and_b32 s0, exec_lo, s0
	s_or_b32 s1, s0, s1
	s_delay_alu instid0(SALU_CYCLE_1)
	s_and_not1_b32 exec_lo, exec_lo, s1
	s_cbranch_execnz .LBB1_23
; %bb.28:                               ;   in Loop: Header=BB1_23 Depth=2
	s_or_b32 exec_lo, exec_lo, s1
	s_wait_loadcnt 0x0
	v_dual_mov_b32 v7, v8 :: v_dual_mov_b32 v1, 0
	s_mov_b32 s1, 0
	s_delay_alu instid0(VALU_DEP_1) | instskip(SKIP_1) | instid1(SALU_CYCLE_1)
	v_cmp_eq_u64_e32 vcc_lo, s[6:7], v[6:7]
	s_or_b32 s14, vcc_lo, s14
	s_and_not1_b32 exec_lo, exec_lo, s14
	s_cbranch_execnz .LBB1_23
; %bb.29:                               ;   in Loop: Header=BB1_1 Depth=1
	s_or_b32 exec_lo, exec_lo, s14
	s_add_co_i32 s12, s2, 4
	s_mov_b32 s14, 0
	s_mul_hi_u32 s0, s12, 0x10624dd3
	s_mov_b32 s15, s6
	s_lshr_b32 s0, s0, 6
	s_mov_b32 s17, s5
	s_mul_i32 s3, s0, 0x3e8
	s_or_b64 s[0:1], s[14:15], s[6:7]
	s_sub_co_i32 s3, s12, s3
	v_lshl_add_u64 v[6:7], s[4:5], 4, v[12:13]
	s_lshl_b32 s16, s3, 12
	v_dual_mov_b32 v2, s0 :: v_dual_mov_b32 v3, s1
	v_add_nc_u64_e32 v[14:15], s[16:17], v[10:11]
	v_dual_mov_b32 v5, s6 :: v_dual_mov_b32 v1, 0
	s_lshl_b32 s4, s3, 8
	s_mov_b32 s13, s5
	s_mov_b32 s1, s14
	global_store_b128 v[6:7], v[2:5], off th:TH_STORE_NT
.LBB1_30:                               ;   Parent Loop BB1_1 Depth=1
                                        ; =>  This Inner Loop Header: Depth=2
	s_wait_loadcnt 0x0
	global_load_b128 v[6:9], v[14:15], off th:TH_LOAD_NT
	v_add_nc_u32_e32 v1, 1, v1
	s_mov_b32 s0, -1
	s_mov_b32 s3, -1
	s_mov_b32 s6, exec_lo
	s_wait_xcnt 0x0
	v_cmpx_eq_u32_e32 0xf4240, v1
	s_cbranch_execz .LBB1_32
; %bb.31:                               ;   in Loop: Header=BB1_30 Depth=2
	s_wait_loadcnt 0x0
	s_wait_storecnt 0x0
	global_load_b32 v1, v4, s[10:11] scope:SCOPE_SYS
	s_wait_loadcnt 0x0
	global_inv scope:SCOPE_SYS
	v_cmp_eq_u32_e32 vcc_lo, 0, v1
	v_mov_b32_e32 v1, 0
	s_or_not1_b32 s3, vcc_lo, exec_lo
.LBB1_32:                               ;   in Loop: Header=BB1_30 Depth=2
	s_wait_xcnt 0x0
	s_or_b32 exec_lo, exec_lo, s6
	s_and_saveexec_b32 s6, s3
	s_cbranch_execz .LBB1_34
; %bb.33:                               ;   in Loop: Header=BB1_30 Depth=2
	s_wait_loadcnt 0x0
	v_cmp_eq_u32_e32 vcc_lo, s12, v7
	v_cmp_eq_u32_e64 s0, s12, v9
	s_and_b32 s0, vcc_lo, s0
	s_delay_alu instid0(SALU_CYCLE_1)
	s_or_not1_b32 s0, s0, exec_lo
.LBB1_34:                               ;   in Loop: Header=BB1_30 Depth=2
	s_or_b32 exec_lo, exec_lo, s6
	s_delay_alu instid0(SALU_CYCLE_1) | instskip(NEXT) | instid1(SALU_CYCLE_1)
	s_and_b32 s0, exec_lo, s0
	s_or_b32 s1, s0, s1
	s_delay_alu instid0(SALU_CYCLE_1)
	s_and_not1_b32 exec_lo, exec_lo, s1
	s_cbranch_execnz .LBB1_30
; %bb.35:                               ;   in Loop: Header=BB1_30 Depth=2
	s_or_b32 exec_lo, exec_lo, s1
	s_wait_loadcnt 0x0
	v_dual_mov_b32 v7, v8 :: v_dual_mov_b32 v1, 0
	s_mov_b32 s1, 0
	s_delay_alu instid0(VALU_DEP_1) | instskip(SKIP_1) | instid1(SALU_CYCLE_1)
	v_cmp_eq_u64_e32 vcc_lo, s[12:13], v[6:7]
	s_or_b32 s14, vcc_lo, s14
	s_and_not1_b32 exec_lo, exec_lo, s14
	s_cbranch_execnz .LBB1_30
; %bb.36:                               ;   in Loop: Header=BB1_1 Depth=1
	s_or_b32 exec_lo, exec_lo, s14
	s_add_co_i32 s6, s2, 5
	s_mov_b32 s14, 0
	s_mul_hi_u32 s0, s6, 0x10624dd3
	s_mov_b32 s15, s12
	s_lshr_b32 s0, s0, 6
	s_mov_b32 s17, s5
	s_mul_i32 s3, s0, 0x3e8
	s_or_b64 s[0:1], s[14:15], s[12:13]
	s_sub_co_i32 s3, s6, s3
	v_lshl_add_u64 v[6:7], s[4:5], 4, v[12:13]
	s_lshl_b32 s16, s3, 12
	v_dual_mov_b32 v2, s0 :: v_dual_mov_b32 v3, s1
	v_add_nc_u64_e32 v[14:15], s[16:17], v[10:11]
	v_dual_mov_b32 v5, s12 :: v_dual_mov_b32 v1, 0
	s_lshl_b32 s4, s3, 8
	s_mov_b32 s7, s5
	s_mov_b32 s1, s14
	global_store_b128 v[6:7], v[2:5], off th:TH_STORE_NT
.LBB1_37:                               ;   Parent Loop BB1_1 Depth=1
                                        ; =>  This Inner Loop Header: Depth=2
	s_wait_loadcnt 0x0
	global_load_b128 v[6:9], v[14:15], off th:TH_LOAD_NT
	v_add_nc_u32_e32 v1, 1, v1
	s_mov_b32 s0, -1
	s_mov_b32 s3, -1
	s_mov_b32 s12, exec_lo
	s_wait_xcnt 0x0
	v_cmpx_eq_u32_e32 0xf4240, v1
	s_cbranch_execz .LBB1_39
; %bb.38:                               ;   in Loop: Header=BB1_37 Depth=2
	s_wait_loadcnt 0x0
	s_wait_storecnt 0x0
	global_load_b32 v1, v4, s[10:11] scope:SCOPE_SYS
	s_wait_loadcnt 0x0
	global_inv scope:SCOPE_SYS
	v_cmp_eq_u32_e32 vcc_lo, 0, v1
	v_mov_b32_e32 v1, 0
	s_or_not1_b32 s3, vcc_lo, exec_lo
.LBB1_39:                               ;   in Loop: Header=BB1_37 Depth=2
	s_wait_xcnt 0x0
	s_or_b32 exec_lo, exec_lo, s12
	s_and_saveexec_b32 s12, s3
	s_cbranch_execz .LBB1_41
; %bb.40:                               ;   in Loop: Header=BB1_37 Depth=2
	s_wait_loadcnt 0x0
	v_cmp_eq_u32_e32 vcc_lo, s6, v7
	v_cmp_eq_u32_e64 s0, s6, v9
	s_and_b32 s0, vcc_lo, s0
	s_delay_alu instid0(SALU_CYCLE_1)
	s_or_not1_b32 s0, s0, exec_lo
.LBB1_41:                               ;   in Loop: Header=BB1_37 Depth=2
	s_or_b32 exec_lo, exec_lo, s12
	s_delay_alu instid0(SALU_CYCLE_1) | instskip(NEXT) | instid1(SALU_CYCLE_1)
	s_and_b32 s0, exec_lo, s0
	s_or_b32 s1, s0, s1
	s_delay_alu instid0(SALU_CYCLE_1)
	s_and_not1_b32 exec_lo, exec_lo, s1
	s_cbranch_execnz .LBB1_37
; %bb.42:                               ;   in Loop: Header=BB1_37 Depth=2
	s_or_b32 exec_lo, exec_lo, s1
	s_wait_loadcnt 0x0
	v_dual_mov_b32 v7, v8 :: v_dual_mov_b32 v1, 0
	s_mov_b32 s1, 0
	s_delay_alu instid0(VALU_DEP_1) | instskip(SKIP_1) | instid1(SALU_CYCLE_1)
	v_cmp_eq_u64_e32 vcc_lo, s[6:7], v[6:7]
	s_or_b32 s14, vcc_lo, s14
	s_and_not1_b32 exec_lo, exec_lo, s14
	s_cbranch_execnz .LBB1_37
; %bb.43:                               ;   in Loop: Header=BB1_1 Depth=1
	s_or_b32 exec_lo, exec_lo, s14
	s_add_co_i32 s12, s2, 6
	s_mov_b32 s14, 0
	s_mul_hi_u32 s0, s12, 0x10624dd3
	s_mov_b32 s15, s6
	s_lshr_b32 s0, s0, 6
	s_mov_b32 s17, s5
	s_mul_i32 s3, s0, 0x3e8
	s_or_b64 s[0:1], s[14:15], s[6:7]
	s_sub_co_i32 s3, s12, s3
	v_lshl_add_u64 v[6:7], s[4:5], 4, v[12:13]
	s_lshl_b32 s16, s3, 12
	v_dual_mov_b32 v2, s0 :: v_dual_mov_b32 v3, s1
	v_add_nc_u64_e32 v[14:15], s[16:17], v[10:11]
	v_dual_mov_b32 v5, s6 :: v_dual_mov_b32 v1, 0
	s_lshl_b32 s4, s3, 8
	s_mov_b32 s13, s5
	s_mov_b32 s1, s14
	global_store_b128 v[6:7], v[2:5], off th:TH_STORE_NT
.LBB1_44:                               ;   Parent Loop BB1_1 Depth=1
                                        ; =>  This Inner Loop Header: Depth=2
	s_wait_loadcnt 0x0
	global_load_b128 v[6:9], v[14:15], off th:TH_LOAD_NT
	v_add_nc_u32_e32 v1, 1, v1
	s_mov_b32 s0, -1
	s_mov_b32 s3, -1
	s_mov_b32 s6, exec_lo
	s_wait_xcnt 0x0
	v_cmpx_eq_u32_e32 0xf4240, v1
	s_cbranch_execz .LBB1_46
; %bb.45:                               ;   in Loop: Header=BB1_44 Depth=2
	s_wait_loadcnt 0x0
	s_wait_storecnt 0x0
	global_load_b32 v1, v4, s[10:11] scope:SCOPE_SYS
	s_wait_loadcnt 0x0
	global_inv scope:SCOPE_SYS
	v_cmp_eq_u32_e32 vcc_lo, 0, v1
	v_mov_b32_e32 v1, 0
	s_or_not1_b32 s3, vcc_lo, exec_lo
.LBB1_46:                               ;   in Loop: Header=BB1_44 Depth=2
	s_wait_xcnt 0x0
	s_or_b32 exec_lo, exec_lo, s6
	s_and_saveexec_b32 s6, s3
	s_cbranch_execz .LBB1_48
; %bb.47:                               ;   in Loop: Header=BB1_44 Depth=2
	s_wait_loadcnt 0x0
	v_cmp_eq_u32_e32 vcc_lo, s12, v7
	v_cmp_eq_u32_e64 s0, s12, v9
	s_and_b32 s0, vcc_lo, s0
	s_delay_alu instid0(SALU_CYCLE_1)
	s_or_not1_b32 s0, s0, exec_lo
.LBB1_48:                               ;   in Loop: Header=BB1_44 Depth=2
	s_or_b32 exec_lo, exec_lo, s6
	s_delay_alu instid0(SALU_CYCLE_1) | instskip(NEXT) | instid1(SALU_CYCLE_1)
	s_and_b32 s0, exec_lo, s0
	s_or_b32 s1, s0, s1
	s_delay_alu instid0(SALU_CYCLE_1)
	s_and_not1_b32 exec_lo, exec_lo, s1
	s_cbranch_execnz .LBB1_44
; %bb.49:                               ;   in Loop: Header=BB1_44 Depth=2
	s_or_b32 exec_lo, exec_lo, s1
	s_wait_loadcnt 0x0
	v_dual_mov_b32 v7, v8 :: v_dual_mov_b32 v1, 0
	s_mov_b32 s1, 0
	s_delay_alu instid0(VALU_DEP_1) | instskip(SKIP_1) | instid1(SALU_CYCLE_1)
	v_cmp_eq_u64_e32 vcc_lo, s[12:13], v[6:7]
	s_or_b32 s14, vcc_lo, s14
	s_and_not1_b32 exec_lo, exec_lo, s14
	s_cbranch_execnz .LBB1_44
; %bb.50:                               ;   in Loop: Header=BB1_1 Depth=1
	s_or_b32 exec_lo, exec_lo, s14
	s_add_co_i32 s6, s2, 7
	s_mov_b32 s14, 0
	s_mul_hi_u32 s0, s6, 0x10624dd3
	s_mov_b32 s15, s12
	s_lshr_b32 s0, s0, 6
	s_mov_b32 s17, s5
	s_mul_i32 s3, s0, 0x3e8
	s_or_b64 s[0:1], s[14:15], s[12:13]
	s_sub_co_i32 s3, s6, s3
	v_lshl_add_u64 v[6:7], s[4:5], 4, v[12:13]
	s_lshl_b32 s16, s3, 12
	v_dual_mov_b32 v2, s0 :: v_dual_mov_b32 v3, s1
	v_add_nc_u64_e32 v[14:15], s[16:17], v[10:11]
	v_dual_mov_b32 v5, s12 :: v_dual_mov_b32 v1, 0
	s_lshl_b32 s4, s3, 8
	s_mov_b32 s7, s5
	s_mov_b32 s1, s14
	global_store_b128 v[6:7], v[2:5], off th:TH_STORE_NT
.LBB1_51:                               ;   Parent Loop BB1_1 Depth=1
                                        ; =>  This Inner Loop Header: Depth=2
	s_wait_loadcnt 0x0
	global_load_b128 v[6:9], v[14:15], off th:TH_LOAD_NT
	v_add_nc_u32_e32 v1, 1, v1
	s_mov_b32 s0, -1
	s_mov_b32 s3, -1
	s_mov_b32 s12, exec_lo
	s_wait_xcnt 0x0
	v_cmpx_eq_u32_e32 0xf4240, v1
	s_cbranch_execz .LBB1_53
; %bb.52:                               ;   in Loop: Header=BB1_51 Depth=2
	s_wait_loadcnt 0x0
	s_wait_storecnt 0x0
	global_load_b32 v1, v4, s[10:11] scope:SCOPE_SYS
	s_wait_loadcnt 0x0
	global_inv scope:SCOPE_SYS
	v_cmp_eq_u32_e32 vcc_lo, 0, v1
	v_mov_b32_e32 v1, 0
	s_or_not1_b32 s3, vcc_lo, exec_lo
.LBB1_53:                               ;   in Loop: Header=BB1_51 Depth=2
	s_wait_xcnt 0x0
	s_or_b32 exec_lo, exec_lo, s12
	s_and_saveexec_b32 s12, s3
	s_cbranch_execz .LBB1_55
; %bb.54:                               ;   in Loop: Header=BB1_51 Depth=2
	s_wait_loadcnt 0x0
	v_cmp_eq_u32_e32 vcc_lo, s6, v7
	v_cmp_eq_u32_e64 s0, s6, v9
	s_and_b32 s0, vcc_lo, s0
	s_delay_alu instid0(SALU_CYCLE_1)
	s_or_not1_b32 s0, s0, exec_lo
.LBB1_55:                               ;   in Loop: Header=BB1_51 Depth=2
	s_or_b32 exec_lo, exec_lo, s12
	s_delay_alu instid0(SALU_CYCLE_1) | instskip(NEXT) | instid1(SALU_CYCLE_1)
	s_and_b32 s0, exec_lo, s0
	s_or_b32 s1, s0, s1
	s_delay_alu instid0(SALU_CYCLE_1)
	s_and_not1_b32 exec_lo, exec_lo, s1
	s_cbranch_execnz .LBB1_51
; %bb.56:                               ;   in Loop: Header=BB1_51 Depth=2
	s_or_b32 exec_lo, exec_lo, s1
	s_wait_loadcnt 0x0
	v_dual_mov_b32 v7, v8 :: v_dual_mov_b32 v1, 0
	s_mov_b32 s1, 0
	s_delay_alu instid0(VALU_DEP_1) | instskip(SKIP_1) | instid1(SALU_CYCLE_1)
	v_cmp_eq_u64_e32 vcc_lo, s[6:7], v[6:7]
	s_or_b32 s14, vcc_lo, s14
	s_and_not1_b32 exec_lo, exec_lo, s14
	s_cbranch_execnz .LBB1_51
; %bb.57:                               ;   in Loop: Header=BB1_1 Depth=1
	s_or_b32 exec_lo, exec_lo, s14
	s_add_co_i32 s12, s2, 8
	s_mov_b32 s14, 0
	s_mul_hi_u32 s0, s12, 0x10624dd3
	s_mov_b32 s15, s6
	s_lshr_b32 s0, s0, 6
	s_mov_b32 s17, s5
	s_mul_i32 s3, s0, 0x3e8
	s_or_b64 s[0:1], s[14:15], s[6:7]
	s_sub_co_i32 s3, s12, s3
	v_lshl_add_u64 v[6:7], s[4:5], 4, v[12:13]
	s_lshl_b32 s16, s3, 12
	v_dual_mov_b32 v2, s0 :: v_dual_mov_b32 v3, s1
	v_add_nc_u64_e32 v[14:15], s[16:17], v[10:11]
	v_dual_mov_b32 v5, s6 :: v_dual_mov_b32 v1, 0
	s_lshl_b32 s4, s3, 8
	s_mov_b32 s13, s5
	s_mov_b32 s1, s14
	global_store_b128 v[6:7], v[2:5], off th:TH_STORE_NT
.LBB1_58:                               ;   Parent Loop BB1_1 Depth=1
                                        ; =>  This Inner Loop Header: Depth=2
	s_wait_loadcnt 0x0
	global_load_b128 v[6:9], v[14:15], off th:TH_LOAD_NT
	v_add_nc_u32_e32 v1, 1, v1
	s_mov_b32 s0, -1
	s_mov_b32 s3, -1
	s_mov_b32 s6, exec_lo
	s_wait_xcnt 0x0
	v_cmpx_eq_u32_e32 0xf4240, v1
	s_cbranch_execz .LBB1_60
; %bb.59:                               ;   in Loop: Header=BB1_58 Depth=2
	s_wait_loadcnt 0x0
	s_wait_storecnt 0x0
	global_load_b32 v1, v4, s[10:11] scope:SCOPE_SYS
	s_wait_loadcnt 0x0
	global_inv scope:SCOPE_SYS
	v_cmp_eq_u32_e32 vcc_lo, 0, v1
	v_mov_b32_e32 v1, 0
	s_or_not1_b32 s3, vcc_lo, exec_lo
.LBB1_60:                               ;   in Loop: Header=BB1_58 Depth=2
	s_wait_xcnt 0x0
	s_or_b32 exec_lo, exec_lo, s6
	s_and_saveexec_b32 s6, s3
	s_cbranch_execz .LBB1_62
; %bb.61:                               ;   in Loop: Header=BB1_58 Depth=2
	s_wait_loadcnt 0x0
	v_cmp_eq_u32_e32 vcc_lo, s12, v7
	v_cmp_eq_u32_e64 s0, s12, v9
	s_and_b32 s0, vcc_lo, s0
	s_delay_alu instid0(SALU_CYCLE_1)
	s_or_not1_b32 s0, s0, exec_lo
.LBB1_62:                               ;   in Loop: Header=BB1_58 Depth=2
	s_or_b32 exec_lo, exec_lo, s6
	s_delay_alu instid0(SALU_CYCLE_1) | instskip(NEXT) | instid1(SALU_CYCLE_1)
	s_and_b32 s0, exec_lo, s0
	s_or_b32 s1, s0, s1
	s_delay_alu instid0(SALU_CYCLE_1)
	s_and_not1_b32 exec_lo, exec_lo, s1
	s_cbranch_execnz .LBB1_58
; %bb.63:                               ;   in Loop: Header=BB1_58 Depth=2
	s_or_b32 exec_lo, exec_lo, s1
	s_wait_loadcnt 0x0
	v_dual_mov_b32 v7, v8 :: v_dual_mov_b32 v1, 0
	s_mov_b32 s1, 0
	s_delay_alu instid0(VALU_DEP_1) | instskip(SKIP_1) | instid1(SALU_CYCLE_1)
	v_cmp_eq_u64_e32 vcc_lo, s[12:13], v[6:7]
	s_or_b32 s14, vcc_lo, s14
	s_and_not1_b32 exec_lo, exec_lo, s14
	s_cbranch_execnz .LBB1_58
; %bb.64:                               ;   in Loop: Header=BB1_1 Depth=1
	s_or_b32 exec_lo, exec_lo, s14
	s_add_co_i32 s6, s2, 9
	s_mov_b32 s14, 0
	s_mul_hi_u32 s0, s6, 0x10624dd3
	s_mov_b32 s15, s12
	s_lshr_b32 s0, s0, 6
	s_mov_b32 s17, s5
	s_mul_i32 s3, s0, 0x3e8
	s_or_b64 s[0:1], s[14:15], s[12:13]
	s_sub_co_i32 s3, s6, s3
	v_lshl_add_u64 v[6:7], s[4:5], 4, v[12:13]
	s_lshl_b32 s16, s3, 12
	v_dual_mov_b32 v2, s0 :: v_dual_mov_b32 v3, s1
	v_add_nc_u64_e32 v[14:15], s[16:17], v[10:11]
	v_dual_mov_b32 v5, s12 :: v_dual_mov_b32 v1, 0
	s_lshl_b32 s4, s3, 8
	s_mov_b32 s7, s5
	s_mov_b32 s1, s14
	global_store_b128 v[6:7], v[2:5], off th:TH_STORE_NT
.LBB1_65:                               ;   Parent Loop BB1_1 Depth=1
                                        ; =>  This Inner Loop Header: Depth=2
	s_wait_loadcnt 0x0
	global_load_b128 v[6:9], v[14:15], off th:TH_LOAD_NT
	v_add_nc_u32_e32 v1, 1, v1
	s_mov_b32 s0, -1
	s_mov_b32 s3, -1
	s_mov_b32 s12, exec_lo
	s_wait_xcnt 0x0
	v_cmpx_eq_u32_e32 0xf4240, v1
	s_cbranch_execz .LBB1_67
; %bb.66:                               ;   in Loop: Header=BB1_65 Depth=2
	s_wait_loadcnt 0x0
	s_wait_storecnt 0x0
	global_load_b32 v1, v4, s[10:11] scope:SCOPE_SYS
	s_wait_loadcnt 0x0
	global_inv scope:SCOPE_SYS
	v_cmp_eq_u32_e32 vcc_lo, 0, v1
	v_mov_b32_e32 v1, 0
	s_or_not1_b32 s3, vcc_lo, exec_lo
.LBB1_67:                               ;   in Loop: Header=BB1_65 Depth=2
	s_wait_xcnt 0x0
	s_or_b32 exec_lo, exec_lo, s12
	s_and_saveexec_b32 s12, s3
	s_cbranch_execz .LBB1_69
; %bb.68:                               ;   in Loop: Header=BB1_65 Depth=2
	s_wait_loadcnt 0x0
	v_cmp_eq_u32_e32 vcc_lo, s6, v7
	v_cmp_eq_u32_e64 s0, s6, v9
	s_and_b32 s0, vcc_lo, s0
	s_delay_alu instid0(SALU_CYCLE_1)
	s_or_not1_b32 s0, s0, exec_lo
.LBB1_69:                               ;   in Loop: Header=BB1_65 Depth=2
	s_or_b32 exec_lo, exec_lo, s12
	s_delay_alu instid0(SALU_CYCLE_1) | instskip(NEXT) | instid1(SALU_CYCLE_1)
	s_and_b32 s0, exec_lo, s0
	s_or_b32 s1, s0, s1
	s_delay_alu instid0(SALU_CYCLE_1)
	s_and_not1_b32 exec_lo, exec_lo, s1
	s_cbranch_execnz .LBB1_65
; %bb.70:                               ;   in Loop: Header=BB1_65 Depth=2
	s_or_b32 exec_lo, exec_lo, s1
	s_wait_loadcnt 0x0
	v_dual_mov_b32 v7, v8 :: v_dual_mov_b32 v1, 0
	s_mov_b32 s1, 0
	s_delay_alu instid0(VALU_DEP_1) | instskip(SKIP_1) | instid1(SALU_CYCLE_1)
	v_cmp_eq_u64_e32 vcc_lo, s[6:7], v[6:7]
	s_or_b32 s14, vcc_lo, s14
	s_and_not1_b32 exec_lo, exec_lo, s14
	s_cbranch_execnz .LBB1_65
; %bb.71:                               ;   in Loop: Header=BB1_1 Depth=1
	s_or_b32 exec_lo, exec_lo, s14
	s_add_co_i32 s12, s2, 10
	s_mov_b32 s14, 0
	s_mul_hi_u32 s0, s12, 0x10624dd3
	s_mov_b32 s15, s6
	s_lshr_b32 s0, s0, 6
	s_mov_b32 s17, s5
	s_mul_i32 s3, s0, 0x3e8
	s_or_b64 s[0:1], s[14:15], s[6:7]
	s_sub_co_i32 s3, s12, s3
	v_lshl_add_u64 v[6:7], s[4:5], 4, v[12:13]
	s_lshl_b32 s16, s3, 12
	v_dual_mov_b32 v2, s0 :: v_dual_mov_b32 v3, s1
	v_add_nc_u64_e32 v[14:15], s[16:17], v[10:11]
	v_dual_mov_b32 v5, s6 :: v_dual_mov_b32 v1, 0
	s_lshl_b32 s4, s3, 8
	s_mov_b32 s13, s5
	s_mov_b32 s1, s14
	global_store_b128 v[6:7], v[2:5], off th:TH_STORE_NT
.LBB1_72:                               ;   Parent Loop BB1_1 Depth=1
                                        ; =>  This Inner Loop Header: Depth=2
	s_wait_loadcnt 0x0
	global_load_b128 v[6:9], v[14:15], off th:TH_LOAD_NT
	v_add_nc_u32_e32 v1, 1, v1
	s_mov_b32 s0, -1
	s_mov_b32 s3, -1
	s_mov_b32 s6, exec_lo
	s_wait_xcnt 0x0
	v_cmpx_eq_u32_e32 0xf4240, v1
	s_cbranch_execz .LBB1_74
; %bb.73:                               ;   in Loop: Header=BB1_72 Depth=2
	s_wait_loadcnt 0x0
	s_wait_storecnt 0x0
	global_load_b32 v1, v4, s[10:11] scope:SCOPE_SYS
	s_wait_loadcnt 0x0
	global_inv scope:SCOPE_SYS
	v_cmp_eq_u32_e32 vcc_lo, 0, v1
	v_mov_b32_e32 v1, 0
	s_or_not1_b32 s3, vcc_lo, exec_lo
.LBB1_74:                               ;   in Loop: Header=BB1_72 Depth=2
	s_wait_xcnt 0x0
	s_or_b32 exec_lo, exec_lo, s6
	s_and_saveexec_b32 s6, s3
	s_cbranch_execz .LBB1_76
; %bb.75:                               ;   in Loop: Header=BB1_72 Depth=2
	s_wait_loadcnt 0x0
	v_cmp_eq_u32_e32 vcc_lo, s12, v7
	v_cmp_eq_u32_e64 s0, s12, v9
	s_and_b32 s0, vcc_lo, s0
	s_delay_alu instid0(SALU_CYCLE_1)
	s_or_not1_b32 s0, s0, exec_lo
.LBB1_76:                               ;   in Loop: Header=BB1_72 Depth=2
	s_or_b32 exec_lo, exec_lo, s6
	s_delay_alu instid0(SALU_CYCLE_1) | instskip(NEXT) | instid1(SALU_CYCLE_1)
	s_and_b32 s0, exec_lo, s0
	s_or_b32 s1, s0, s1
	s_delay_alu instid0(SALU_CYCLE_1)
	s_and_not1_b32 exec_lo, exec_lo, s1
	s_cbranch_execnz .LBB1_72
; %bb.77:                               ;   in Loop: Header=BB1_72 Depth=2
	s_or_b32 exec_lo, exec_lo, s1
	s_wait_loadcnt 0x0
	v_dual_mov_b32 v7, v8 :: v_dual_mov_b32 v1, 0
	s_mov_b32 s1, 0
	s_delay_alu instid0(VALU_DEP_1) | instskip(SKIP_1) | instid1(SALU_CYCLE_1)
	v_cmp_eq_u64_e32 vcc_lo, s[12:13], v[6:7]
	s_or_b32 s14, vcc_lo, s14
	s_and_not1_b32 exec_lo, exec_lo, s14
	s_cbranch_execnz .LBB1_72
; %bb.78:                               ;   in Loop: Header=BB1_1 Depth=1
	s_or_b32 exec_lo, exec_lo, s14
	s_add_co_i32 s6, s2, 11
	s_mov_b32 s14, 0
	s_mul_hi_u32 s0, s6, 0x10624dd3
	s_mov_b32 s15, s12
	s_lshr_b32 s0, s0, 6
	s_mov_b32 s17, s5
	s_mul_i32 s3, s0, 0x3e8
	s_or_b64 s[0:1], s[14:15], s[12:13]
	s_sub_co_i32 s3, s6, s3
	v_lshl_add_u64 v[6:7], s[4:5], 4, v[12:13]
	s_lshl_b32 s16, s3, 12
	v_dual_mov_b32 v2, s0 :: v_dual_mov_b32 v3, s1
	v_add_nc_u64_e32 v[14:15], s[16:17], v[10:11]
	v_dual_mov_b32 v5, s12 :: v_dual_mov_b32 v1, 0
	s_lshl_b32 s4, s3, 8
	s_mov_b32 s7, s5
	s_mov_b32 s1, s14
	global_store_b128 v[6:7], v[2:5], off th:TH_STORE_NT
.LBB1_79:                               ;   Parent Loop BB1_1 Depth=1
                                        ; =>  This Inner Loop Header: Depth=2
	s_wait_loadcnt 0x0
	global_load_b128 v[6:9], v[14:15], off th:TH_LOAD_NT
	v_add_nc_u32_e32 v1, 1, v1
	s_mov_b32 s0, -1
	s_mov_b32 s3, -1
	s_mov_b32 s12, exec_lo
	s_wait_xcnt 0x0
	v_cmpx_eq_u32_e32 0xf4240, v1
	s_cbranch_execz .LBB1_81
; %bb.80:                               ;   in Loop: Header=BB1_79 Depth=2
	s_wait_loadcnt 0x0
	s_wait_storecnt 0x0
	global_load_b32 v1, v4, s[10:11] scope:SCOPE_SYS
	s_wait_loadcnt 0x0
	global_inv scope:SCOPE_SYS
	v_cmp_eq_u32_e32 vcc_lo, 0, v1
	v_mov_b32_e32 v1, 0
	s_or_not1_b32 s3, vcc_lo, exec_lo
.LBB1_81:                               ;   in Loop: Header=BB1_79 Depth=2
	s_wait_xcnt 0x0
	s_or_b32 exec_lo, exec_lo, s12
	s_and_saveexec_b32 s12, s3
	s_cbranch_execz .LBB1_83
; %bb.82:                               ;   in Loop: Header=BB1_79 Depth=2
	s_wait_loadcnt 0x0
	v_cmp_eq_u32_e32 vcc_lo, s6, v7
	v_cmp_eq_u32_e64 s0, s6, v9
	s_and_b32 s0, vcc_lo, s0
	s_delay_alu instid0(SALU_CYCLE_1)
	s_or_not1_b32 s0, s0, exec_lo
.LBB1_83:                               ;   in Loop: Header=BB1_79 Depth=2
	s_or_b32 exec_lo, exec_lo, s12
	s_delay_alu instid0(SALU_CYCLE_1) | instskip(NEXT) | instid1(SALU_CYCLE_1)
	s_and_b32 s0, exec_lo, s0
	s_or_b32 s1, s0, s1
	s_delay_alu instid0(SALU_CYCLE_1)
	s_and_not1_b32 exec_lo, exec_lo, s1
	s_cbranch_execnz .LBB1_79
; %bb.84:                               ;   in Loop: Header=BB1_79 Depth=2
	s_or_b32 exec_lo, exec_lo, s1
	s_wait_loadcnt 0x0
	v_dual_mov_b32 v7, v8 :: v_dual_mov_b32 v1, 0
	s_mov_b32 s1, 0
	s_delay_alu instid0(VALU_DEP_1) | instskip(SKIP_1) | instid1(SALU_CYCLE_1)
	v_cmp_eq_u64_e32 vcc_lo, s[6:7], v[6:7]
	s_or_b32 s14, vcc_lo, s14
	s_and_not1_b32 exec_lo, exec_lo, s14
	s_cbranch_execnz .LBB1_79
; %bb.85:                               ;   in Loop: Header=BB1_1 Depth=1
	s_or_b32 exec_lo, exec_lo, s14
	s_add_co_i32 s12, s2, 12
	s_mov_b32 s14, 0
	s_mul_hi_u32 s0, s12, 0x10624dd3
	s_mov_b32 s15, s6
	s_lshr_b32 s0, s0, 6
	s_mov_b32 s17, s5
	s_mul_i32 s3, s0, 0x3e8
	s_or_b64 s[0:1], s[14:15], s[6:7]
	s_sub_co_i32 s3, s12, s3
	v_lshl_add_u64 v[6:7], s[4:5], 4, v[12:13]
	s_lshl_b32 s16, s3, 12
	v_dual_mov_b32 v2, s0 :: v_dual_mov_b32 v3, s1
	v_add_nc_u64_e32 v[14:15], s[16:17], v[10:11]
	v_dual_mov_b32 v5, s6 :: v_dual_mov_b32 v1, 0
	s_lshl_b32 s4, s3, 8
	s_mov_b32 s13, s5
	s_mov_b32 s1, s14
	global_store_b128 v[6:7], v[2:5], off th:TH_STORE_NT
.LBB1_86:                               ;   Parent Loop BB1_1 Depth=1
                                        ; =>  This Inner Loop Header: Depth=2
	s_wait_loadcnt 0x0
	global_load_b128 v[6:9], v[14:15], off th:TH_LOAD_NT
	v_add_nc_u32_e32 v1, 1, v1
	s_mov_b32 s0, -1
	s_mov_b32 s3, -1
	s_mov_b32 s6, exec_lo
	s_wait_xcnt 0x0
	v_cmpx_eq_u32_e32 0xf4240, v1
	s_cbranch_execz .LBB1_88
; %bb.87:                               ;   in Loop: Header=BB1_86 Depth=2
	s_wait_loadcnt 0x0
	s_wait_storecnt 0x0
	global_load_b32 v1, v4, s[10:11] scope:SCOPE_SYS
	s_wait_loadcnt 0x0
	global_inv scope:SCOPE_SYS
	v_cmp_eq_u32_e32 vcc_lo, 0, v1
	v_mov_b32_e32 v1, 0
	s_or_not1_b32 s3, vcc_lo, exec_lo
.LBB1_88:                               ;   in Loop: Header=BB1_86 Depth=2
	s_wait_xcnt 0x0
	s_or_b32 exec_lo, exec_lo, s6
	s_and_saveexec_b32 s6, s3
	s_cbranch_execz .LBB1_90
; %bb.89:                               ;   in Loop: Header=BB1_86 Depth=2
	s_wait_loadcnt 0x0
	v_cmp_eq_u32_e32 vcc_lo, s12, v7
	v_cmp_eq_u32_e64 s0, s12, v9
	s_and_b32 s0, vcc_lo, s0
	s_delay_alu instid0(SALU_CYCLE_1)
	s_or_not1_b32 s0, s0, exec_lo
.LBB1_90:                               ;   in Loop: Header=BB1_86 Depth=2
	s_or_b32 exec_lo, exec_lo, s6
	s_delay_alu instid0(SALU_CYCLE_1) | instskip(NEXT) | instid1(SALU_CYCLE_1)
	s_and_b32 s0, exec_lo, s0
	s_or_b32 s1, s0, s1
	s_delay_alu instid0(SALU_CYCLE_1)
	s_and_not1_b32 exec_lo, exec_lo, s1
	s_cbranch_execnz .LBB1_86
; %bb.91:                               ;   in Loop: Header=BB1_86 Depth=2
	s_or_b32 exec_lo, exec_lo, s1
	s_wait_loadcnt 0x0
	v_dual_mov_b32 v7, v8 :: v_dual_mov_b32 v1, 0
	s_mov_b32 s1, 0
	s_delay_alu instid0(VALU_DEP_1) | instskip(SKIP_1) | instid1(SALU_CYCLE_1)
	v_cmp_eq_u64_e32 vcc_lo, s[12:13], v[6:7]
	s_or_b32 s14, vcc_lo, s14
	s_and_not1_b32 exec_lo, exec_lo, s14
	s_cbranch_execnz .LBB1_86
; %bb.92:                               ;   in Loop: Header=BB1_1 Depth=1
	s_or_b32 exec_lo, exec_lo, s14
	s_add_co_i32 s6, s2, 13
	s_mov_b32 s14, 0
	s_mul_hi_u32 s0, s6, 0x10624dd3
	s_mov_b32 s15, s12
	s_lshr_b32 s0, s0, 6
	s_mov_b32 s17, s5
	s_mul_i32 s3, s0, 0x3e8
	s_or_b64 s[0:1], s[14:15], s[12:13]
	s_sub_co_i32 s3, s6, s3
	v_lshl_add_u64 v[6:7], s[4:5], 4, v[12:13]
	s_lshl_b32 s16, s3, 12
	v_dual_mov_b32 v2, s0 :: v_dual_mov_b32 v3, s1
	v_add_nc_u64_e32 v[14:15], s[16:17], v[10:11]
	v_dual_mov_b32 v5, s12 :: v_dual_mov_b32 v1, 0
	s_lshl_b32 s4, s3, 8
	s_mov_b32 s7, s5
	s_mov_b32 s1, s14
	global_store_b128 v[6:7], v[2:5], off th:TH_STORE_NT
.LBB1_93:                               ;   Parent Loop BB1_1 Depth=1
                                        ; =>  This Inner Loop Header: Depth=2
	s_wait_loadcnt 0x0
	global_load_b128 v[6:9], v[14:15], off th:TH_LOAD_NT
	v_add_nc_u32_e32 v1, 1, v1
	s_mov_b32 s0, -1
	s_mov_b32 s3, -1
	s_mov_b32 s12, exec_lo
	s_wait_xcnt 0x0
	v_cmpx_eq_u32_e32 0xf4240, v1
	s_cbranch_execz .LBB1_95
; %bb.94:                               ;   in Loop: Header=BB1_93 Depth=2
	s_wait_loadcnt 0x0
	s_wait_storecnt 0x0
	global_load_b32 v1, v4, s[10:11] scope:SCOPE_SYS
	s_wait_loadcnt 0x0
	global_inv scope:SCOPE_SYS
	v_cmp_eq_u32_e32 vcc_lo, 0, v1
	v_mov_b32_e32 v1, 0
	s_or_not1_b32 s3, vcc_lo, exec_lo
.LBB1_95:                               ;   in Loop: Header=BB1_93 Depth=2
	s_wait_xcnt 0x0
	s_or_b32 exec_lo, exec_lo, s12
	s_and_saveexec_b32 s12, s3
	s_cbranch_execz .LBB1_97
; %bb.96:                               ;   in Loop: Header=BB1_93 Depth=2
	s_wait_loadcnt 0x0
	v_cmp_eq_u32_e32 vcc_lo, s6, v7
	v_cmp_eq_u32_e64 s0, s6, v9
	s_and_b32 s0, vcc_lo, s0
	s_delay_alu instid0(SALU_CYCLE_1)
	s_or_not1_b32 s0, s0, exec_lo
.LBB1_97:                               ;   in Loop: Header=BB1_93 Depth=2
	s_or_b32 exec_lo, exec_lo, s12
	s_delay_alu instid0(SALU_CYCLE_1) | instskip(NEXT) | instid1(SALU_CYCLE_1)
	s_and_b32 s0, exec_lo, s0
	s_or_b32 s1, s0, s1
	s_delay_alu instid0(SALU_CYCLE_1)
	s_and_not1_b32 exec_lo, exec_lo, s1
	s_cbranch_execnz .LBB1_93
; %bb.98:                               ;   in Loop: Header=BB1_93 Depth=2
	s_or_b32 exec_lo, exec_lo, s1
	s_wait_loadcnt 0x0
	v_dual_mov_b32 v7, v8 :: v_dual_mov_b32 v1, 0
	s_mov_b32 s1, 0
	s_delay_alu instid0(VALU_DEP_1) | instskip(SKIP_1) | instid1(SALU_CYCLE_1)
	v_cmp_eq_u64_e32 vcc_lo, s[6:7], v[6:7]
	s_or_b32 s14, vcc_lo, s14
	s_and_not1_b32 exec_lo, exec_lo, s14
	s_cbranch_execnz .LBB1_93
; %bb.99:                               ;   in Loop: Header=BB1_1 Depth=1
	s_or_b32 exec_lo, exec_lo, s14
	s_add_co_i32 s12, s2, 14
	s_mov_b32 s14, 0
	s_mul_hi_u32 s0, s12, 0x10624dd3
	s_mov_b32 s15, s6
	s_lshr_b32 s0, s0, 6
	s_mov_b32 s17, s5
	s_mul_i32 s3, s0, 0x3e8
	s_or_b64 s[0:1], s[14:15], s[6:7]
	s_sub_co_i32 s3, s12, s3
	v_lshl_add_u64 v[6:7], s[4:5], 4, v[12:13]
	s_lshl_b32 s16, s3, 12
	v_dual_mov_b32 v2, s0 :: v_dual_mov_b32 v3, s1
	v_add_nc_u64_e32 v[14:15], s[16:17], v[10:11]
	v_dual_mov_b32 v5, s6 :: v_dual_mov_b32 v1, 0
	s_lshl_b32 s4, s3, 8
	s_mov_b32 s13, s5
	s_mov_b32 s1, s14
	global_store_b128 v[6:7], v[2:5], off th:TH_STORE_NT
.LBB1_100:                              ;   Parent Loop BB1_1 Depth=1
                                        ; =>  This Inner Loop Header: Depth=2
	s_wait_loadcnt 0x0
	global_load_b128 v[6:9], v[14:15], off th:TH_LOAD_NT
	v_add_nc_u32_e32 v1, 1, v1
	s_mov_b32 s0, -1
	s_mov_b32 s3, -1
	s_mov_b32 s6, exec_lo
	s_wait_xcnt 0x0
	v_cmpx_eq_u32_e32 0xf4240, v1
	s_cbranch_execz .LBB1_102
; %bb.101:                              ;   in Loop: Header=BB1_100 Depth=2
	s_wait_loadcnt 0x0
	s_wait_storecnt 0x0
	global_load_b32 v1, v4, s[10:11] scope:SCOPE_SYS
	s_wait_loadcnt 0x0
	global_inv scope:SCOPE_SYS
	v_cmp_eq_u32_e32 vcc_lo, 0, v1
	v_mov_b32_e32 v1, 0
	s_or_not1_b32 s3, vcc_lo, exec_lo
.LBB1_102:                              ;   in Loop: Header=BB1_100 Depth=2
	s_wait_xcnt 0x0
	s_or_b32 exec_lo, exec_lo, s6
	s_and_saveexec_b32 s6, s3
	s_cbranch_execz .LBB1_104
; %bb.103:                              ;   in Loop: Header=BB1_100 Depth=2
	s_wait_loadcnt 0x0
	v_cmp_eq_u32_e32 vcc_lo, s12, v7
	v_cmp_eq_u32_e64 s0, s12, v9
	s_and_b32 s0, vcc_lo, s0
	s_delay_alu instid0(SALU_CYCLE_1)
	s_or_not1_b32 s0, s0, exec_lo
.LBB1_104:                              ;   in Loop: Header=BB1_100 Depth=2
	s_or_b32 exec_lo, exec_lo, s6
	s_delay_alu instid0(SALU_CYCLE_1) | instskip(NEXT) | instid1(SALU_CYCLE_1)
	s_and_b32 s0, exec_lo, s0
	s_or_b32 s1, s0, s1
	s_delay_alu instid0(SALU_CYCLE_1)
	s_and_not1_b32 exec_lo, exec_lo, s1
	s_cbranch_execnz .LBB1_100
; %bb.105:                              ;   in Loop: Header=BB1_100 Depth=2
	s_or_b32 exec_lo, exec_lo, s1
	s_wait_loadcnt 0x0
	v_dual_mov_b32 v7, v8 :: v_dual_mov_b32 v1, 0
	s_mov_b32 s1, 0
	s_delay_alu instid0(VALU_DEP_1) | instskip(SKIP_1) | instid1(SALU_CYCLE_1)
	v_cmp_eq_u64_e32 vcc_lo, s[12:13], v[6:7]
	s_or_b32 s14, vcc_lo, s14
	s_and_not1_b32 exec_lo, exec_lo, s14
	s_cbranch_execnz .LBB1_100
; %bb.106:                              ;   in Loop: Header=BB1_1 Depth=1
	s_or_b32 exec_lo, exec_lo, s14
	s_add_co_i32 s6, s2, 15
	s_mov_b32 s14, 0
	s_mul_hi_u32 s0, s6, 0x10624dd3
	s_mov_b32 s15, s12
	s_lshr_b32 s0, s0, 6
	s_mov_b32 s17, s5
	s_mul_i32 s3, s0, 0x3e8
	s_or_b64 s[0:1], s[14:15], s[12:13]
	s_sub_co_i32 s3, s6, s3
	v_lshl_add_u64 v[6:7], s[4:5], 4, v[12:13]
	s_lshl_b32 s16, s3, 12
	v_dual_mov_b32 v2, s0 :: v_dual_mov_b32 v3, s1
	v_add_nc_u64_e32 v[14:15], s[16:17], v[10:11]
	v_dual_mov_b32 v5, s12 :: v_dual_mov_b32 v1, 0
	s_lshl_b32 s4, s3, 8
	s_mov_b32 s7, s5
	s_mov_b32 s1, s14
	global_store_b128 v[6:7], v[2:5], off th:TH_STORE_NT
.LBB1_107:                              ;   Parent Loop BB1_1 Depth=1
                                        ; =>  This Inner Loop Header: Depth=2
	s_wait_loadcnt 0x0
	global_load_b128 v[6:9], v[14:15], off th:TH_LOAD_NT
	v_add_nc_u32_e32 v1, 1, v1
	s_mov_b32 s0, -1
	s_mov_b32 s3, -1
	s_mov_b32 s12, exec_lo
	s_wait_xcnt 0x0
	v_cmpx_eq_u32_e32 0xf4240, v1
	s_cbranch_execz .LBB1_109
; %bb.108:                              ;   in Loop: Header=BB1_107 Depth=2
	s_wait_loadcnt 0x0
	s_wait_storecnt 0x0
	global_load_b32 v1, v4, s[10:11] scope:SCOPE_SYS
	s_wait_loadcnt 0x0
	global_inv scope:SCOPE_SYS
	v_cmp_eq_u32_e32 vcc_lo, 0, v1
	v_mov_b32_e32 v1, 0
	s_or_not1_b32 s3, vcc_lo, exec_lo
.LBB1_109:                              ;   in Loop: Header=BB1_107 Depth=2
	s_wait_xcnt 0x0
	s_or_b32 exec_lo, exec_lo, s12
	s_and_saveexec_b32 s12, s3
	s_cbranch_execz .LBB1_111
; %bb.110:                              ;   in Loop: Header=BB1_107 Depth=2
	s_wait_loadcnt 0x0
	v_cmp_eq_u32_e32 vcc_lo, s6, v7
	v_cmp_eq_u32_e64 s0, s6, v9
	s_and_b32 s0, vcc_lo, s0
	s_delay_alu instid0(SALU_CYCLE_1)
	s_or_not1_b32 s0, s0, exec_lo
.LBB1_111:                              ;   in Loop: Header=BB1_107 Depth=2
	s_or_b32 exec_lo, exec_lo, s12
	s_delay_alu instid0(SALU_CYCLE_1) | instskip(NEXT) | instid1(SALU_CYCLE_1)
	s_and_b32 s0, exec_lo, s0
	s_or_b32 s1, s0, s1
	s_delay_alu instid0(SALU_CYCLE_1)
	s_and_not1_b32 exec_lo, exec_lo, s1
	s_cbranch_execnz .LBB1_107
; %bb.112:                              ;   in Loop: Header=BB1_107 Depth=2
	s_or_b32 exec_lo, exec_lo, s1
	s_wait_loadcnt 0x0
	v_dual_mov_b32 v7, v8 :: v_dual_mov_b32 v1, 0
	s_mov_b32 s1, 0
	s_delay_alu instid0(VALU_DEP_1) | instskip(SKIP_1) | instid1(SALU_CYCLE_1)
	v_cmp_eq_u64_e32 vcc_lo, s[6:7], v[6:7]
	s_or_b32 s14, vcc_lo, s14
	s_and_not1_b32 exec_lo, exec_lo, s14
	s_cbranch_execnz .LBB1_107
; %bb.113:                              ;   in Loop: Header=BB1_1 Depth=1
	s_or_b32 exec_lo, exec_lo, s14
	s_add_co_i32 s12, s2, 16
	s_mov_b32 s14, 0
	s_mul_hi_u32 s0, s12, 0x10624dd3
	s_mov_b32 s15, s6
	s_lshr_b32 s0, s0, 6
	s_mov_b32 s17, s5
	s_mul_i32 s3, s0, 0x3e8
	s_or_b64 s[0:1], s[14:15], s[6:7]
	s_sub_co_i32 s3, s12, s3
	v_lshl_add_u64 v[6:7], s[4:5], 4, v[12:13]
	s_lshl_b32 s16, s3, 12
	v_dual_mov_b32 v2, s0 :: v_dual_mov_b32 v3, s1
	v_add_nc_u64_e32 v[14:15], s[16:17], v[10:11]
	v_dual_mov_b32 v5, s6 :: v_dual_mov_b32 v1, 0
	s_lshl_b32 s4, s3, 8
	s_mov_b32 s13, s5
	s_mov_b32 s1, s14
	global_store_b128 v[6:7], v[2:5], off th:TH_STORE_NT
.LBB1_114:                              ;   Parent Loop BB1_1 Depth=1
                                        ; =>  This Inner Loop Header: Depth=2
	s_wait_loadcnt 0x0
	global_load_b128 v[6:9], v[14:15], off th:TH_LOAD_NT
	v_add_nc_u32_e32 v1, 1, v1
	s_mov_b32 s0, -1
	s_mov_b32 s3, -1
	s_mov_b32 s6, exec_lo
	s_wait_xcnt 0x0
	v_cmpx_eq_u32_e32 0xf4240, v1
	s_cbranch_execz .LBB1_116
; %bb.115:                              ;   in Loop: Header=BB1_114 Depth=2
	s_wait_loadcnt 0x0
	s_wait_storecnt 0x0
	global_load_b32 v1, v4, s[10:11] scope:SCOPE_SYS
	s_wait_loadcnt 0x0
	global_inv scope:SCOPE_SYS
	v_cmp_eq_u32_e32 vcc_lo, 0, v1
	v_mov_b32_e32 v1, 0
	s_or_not1_b32 s3, vcc_lo, exec_lo
.LBB1_116:                              ;   in Loop: Header=BB1_114 Depth=2
	s_wait_xcnt 0x0
	s_or_b32 exec_lo, exec_lo, s6
	s_and_saveexec_b32 s6, s3
	s_cbranch_execz .LBB1_118
; %bb.117:                              ;   in Loop: Header=BB1_114 Depth=2
	s_wait_loadcnt 0x0
	v_cmp_eq_u32_e32 vcc_lo, s12, v7
	v_cmp_eq_u32_e64 s0, s12, v9
	s_and_b32 s0, vcc_lo, s0
	s_delay_alu instid0(SALU_CYCLE_1)
	s_or_not1_b32 s0, s0, exec_lo
.LBB1_118:                              ;   in Loop: Header=BB1_114 Depth=2
	s_or_b32 exec_lo, exec_lo, s6
	s_delay_alu instid0(SALU_CYCLE_1) | instskip(NEXT) | instid1(SALU_CYCLE_1)
	s_and_b32 s0, exec_lo, s0
	s_or_b32 s1, s0, s1
	s_delay_alu instid0(SALU_CYCLE_1)
	s_and_not1_b32 exec_lo, exec_lo, s1
	s_cbranch_execnz .LBB1_114
; %bb.119:                              ;   in Loop: Header=BB1_114 Depth=2
	s_or_b32 exec_lo, exec_lo, s1
	s_wait_loadcnt 0x0
	v_dual_mov_b32 v7, v8 :: v_dual_mov_b32 v1, 0
	s_mov_b32 s1, 0
	s_delay_alu instid0(VALU_DEP_1) | instskip(SKIP_1) | instid1(SALU_CYCLE_1)
	v_cmp_eq_u64_e32 vcc_lo, s[12:13], v[6:7]
	s_or_b32 s14, vcc_lo, s14
	s_and_not1_b32 exec_lo, exec_lo, s14
	s_cbranch_execnz .LBB1_114
; %bb.120:                              ;   in Loop: Header=BB1_1 Depth=1
	s_or_b32 exec_lo, exec_lo, s14
	s_add_co_i32 s6, s2, 17
	s_mov_b32 s14, 0
	s_mul_hi_u32 s0, s6, 0x10624dd3
	s_mov_b32 s15, s12
	s_lshr_b32 s0, s0, 6
	s_mov_b32 s17, s5
	s_mul_i32 s3, s0, 0x3e8
	s_or_b64 s[0:1], s[14:15], s[12:13]
	s_sub_co_i32 s3, s6, s3
	v_lshl_add_u64 v[6:7], s[4:5], 4, v[12:13]
	s_lshl_b32 s16, s3, 12
	v_dual_mov_b32 v2, s0 :: v_dual_mov_b32 v3, s1
	v_add_nc_u64_e32 v[14:15], s[16:17], v[10:11]
	v_dual_mov_b32 v5, s12 :: v_dual_mov_b32 v1, 0
	s_lshl_b32 s4, s3, 8
	s_mov_b32 s7, s5
	s_mov_b32 s1, s14
	global_store_b128 v[6:7], v[2:5], off th:TH_STORE_NT
.LBB1_121:                              ;   Parent Loop BB1_1 Depth=1
                                        ; =>  This Inner Loop Header: Depth=2
	s_wait_loadcnt 0x0
	global_load_b128 v[6:9], v[14:15], off th:TH_LOAD_NT
	v_add_nc_u32_e32 v1, 1, v1
	s_mov_b32 s0, -1
	s_mov_b32 s3, -1
	s_mov_b32 s12, exec_lo
	s_wait_xcnt 0x0
	v_cmpx_eq_u32_e32 0xf4240, v1
	s_cbranch_execz .LBB1_123
; %bb.122:                              ;   in Loop: Header=BB1_121 Depth=2
	s_wait_loadcnt 0x0
	s_wait_storecnt 0x0
	global_load_b32 v1, v4, s[10:11] scope:SCOPE_SYS
	s_wait_loadcnt 0x0
	global_inv scope:SCOPE_SYS
	v_cmp_eq_u32_e32 vcc_lo, 0, v1
	v_mov_b32_e32 v1, 0
	s_or_not1_b32 s3, vcc_lo, exec_lo
.LBB1_123:                              ;   in Loop: Header=BB1_121 Depth=2
	s_wait_xcnt 0x0
	s_or_b32 exec_lo, exec_lo, s12
	s_and_saveexec_b32 s12, s3
	s_cbranch_execz .LBB1_125
; %bb.124:                              ;   in Loop: Header=BB1_121 Depth=2
	s_wait_loadcnt 0x0
	v_cmp_eq_u32_e32 vcc_lo, s6, v7
	v_cmp_eq_u32_e64 s0, s6, v9
	s_and_b32 s0, vcc_lo, s0
	s_delay_alu instid0(SALU_CYCLE_1)
	s_or_not1_b32 s0, s0, exec_lo
.LBB1_125:                              ;   in Loop: Header=BB1_121 Depth=2
	s_or_b32 exec_lo, exec_lo, s12
	s_delay_alu instid0(SALU_CYCLE_1) | instskip(NEXT) | instid1(SALU_CYCLE_1)
	s_and_b32 s0, exec_lo, s0
	s_or_b32 s1, s0, s1
	s_delay_alu instid0(SALU_CYCLE_1)
	s_and_not1_b32 exec_lo, exec_lo, s1
	s_cbranch_execnz .LBB1_121
; %bb.126:                              ;   in Loop: Header=BB1_121 Depth=2
	s_or_b32 exec_lo, exec_lo, s1
	s_wait_loadcnt 0x0
	v_dual_mov_b32 v7, v8 :: v_dual_mov_b32 v1, 0
	s_mov_b32 s1, 0
	s_delay_alu instid0(VALU_DEP_1) | instskip(SKIP_1) | instid1(SALU_CYCLE_1)
	v_cmp_eq_u64_e32 vcc_lo, s[6:7], v[6:7]
	s_or_b32 s14, vcc_lo, s14
	s_and_not1_b32 exec_lo, exec_lo, s14
	s_cbranch_execnz .LBB1_121
; %bb.127:                              ;   in Loop: Header=BB1_1 Depth=1
	s_or_b32 exec_lo, exec_lo, s14
	s_add_co_i32 s12, s2, 18
	s_mov_b32 s14, 0
	s_mul_hi_u32 s0, s12, 0x10624dd3
	s_mov_b32 s15, s6
	s_lshr_b32 s0, s0, 6
	s_mov_b32 s17, s5
	s_mul_i32 s3, s0, 0x3e8
	s_or_b64 s[0:1], s[14:15], s[6:7]
	s_sub_co_i32 s3, s12, s3
	v_lshl_add_u64 v[6:7], s[4:5], 4, v[12:13]
	s_lshl_b32 s16, s3, 12
	v_dual_mov_b32 v2, s0 :: v_dual_mov_b32 v3, s1
	v_add_nc_u64_e32 v[14:15], s[16:17], v[10:11]
	v_dual_mov_b32 v5, s6 :: v_dual_mov_b32 v1, 0
	s_lshl_b32 s4, s3, 8
	s_mov_b32 s13, s5
	s_mov_b32 s1, s14
	global_store_b128 v[6:7], v[2:5], off th:TH_STORE_NT
.LBB1_128:                              ;   Parent Loop BB1_1 Depth=1
                                        ; =>  This Inner Loop Header: Depth=2
	s_wait_loadcnt 0x0
	global_load_b128 v[6:9], v[14:15], off th:TH_LOAD_NT
	v_add_nc_u32_e32 v1, 1, v1
	s_mov_b32 s0, -1
	s_mov_b32 s3, -1
	s_mov_b32 s6, exec_lo
	s_wait_xcnt 0x0
	v_cmpx_eq_u32_e32 0xf4240, v1
	s_cbranch_execz .LBB1_130
; %bb.129:                              ;   in Loop: Header=BB1_128 Depth=2
	s_wait_loadcnt 0x0
	s_wait_storecnt 0x0
	global_load_b32 v1, v4, s[10:11] scope:SCOPE_SYS
	s_wait_loadcnt 0x0
	global_inv scope:SCOPE_SYS
	v_cmp_eq_u32_e32 vcc_lo, 0, v1
	v_mov_b32_e32 v1, 0
	s_or_not1_b32 s3, vcc_lo, exec_lo
.LBB1_130:                              ;   in Loop: Header=BB1_128 Depth=2
	s_wait_xcnt 0x0
	s_or_b32 exec_lo, exec_lo, s6
	s_and_saveexec_b32 s6, s3
	s_cbranch_execz .LBB1_132
; %bb.131:                              ;   in Loop: Header=BB1_128 Depth=2
	s_wait_loadcnt 0x0
	v_cmp_eq_u32_e32 vcc_lo, s12, v7
	v_cmp_eq_u32_e64 s0, s12, v9
	s_and_b32 s0, vcc_lo, s0
	s_delay_alu instid0(SALU_CYCLE_1)
	s_or_not1_b32 s0, s0, exec_lo
.LBB1_132:                              ;   in Loop: Header=BB1_128 Depth=2
	s_or_b32 exec_lo, exec_lo, s6
	s_delay_alu instid0(SALU_CYCLE_1) | instskip(NEXT) | instid1(SALU_CYCLE_1)
	s_and_b32 s0, exec_lo, s0
	s_or_b32 s1, s0, s1
	s_delay_alu instid0(SALU_CYCLE_1)
	s_and_not1_b32 exec_lo, exec_lo, s1
	s_cbranch_execnz .LBB1_128
; %bb.133:                              ;   in Loop: Header=BB1_128 Depth=2
	s_or_b32 exec_lo, exec_lo, s1
	s_wait_loadcnt 0x0
	v_dual_mov_b32 v7, v8 :: v_dual_mov_b32 v1, 0
	s_mov_b32 s1, 0
	s_delay_alu instid0(VALU_DEP_1) | instskip(SKIP_1) | instid1(SALU_CYCLE_1)
	v_cmp_eq_u64_e32 vcc_lo, s[12:13], v[6:7]
	s_or_b32 s14, vcc_lo, s14
	s_and_not1_b32 exec_lo, exec_lo, s14
	s_cbranch_execnz .LBB1_128
; %bb.134:                              ;   in Loop: Header=BB1_1 Depth=1
	s_or_b32 exec_lo, exec_lo, s14
	s_add_co_i32 s6, s2, 19
	s_mov_b32 s14, 0
	s_mul_hi_u32 s0, s6, 0x10624dd3
	s_mov_b32 s15, s12
	s_lshr_b32 s0, s0, 6
	s_mov_b32 s17, s5
	s_mul_i32 s3, s0, 0x3e8
	s_or_b64 s[0:1], s[14:15], s[12:13]
	s_sub_co_i32 s3, s6, s3
	v_lshl_add_u64 v[6:7], s[4:5], 4, v[12:13]
	s_lshl_b32 s16, s3, 12
	v_dual_mov_b32 v2, s0 :: v_dual_mov_b32 v3, s1
	v_add_nc_u64_e32 v[14:15], s[16:17], v[10:11]
	v_dual_mov_b32 v5, s12 :: v_dual_mov_b32 v1, 0
	s_lshl_b32 s4, s3, 8
	s_mov_b32 s7, s5
	s_mov_b32 s1, s14
	global_store_b128 v[6:7], v[2:5], off th:TH_STORE_NT
.LBB1_135:                              ;   Parent Loop BB1_1 Depth=1
                                        ; =>  This Inner Loop Header: Depth=2
	s_wait_loadcnt 0x0
	global_load_b128 v[6:9], v[14:15], off th:TH_LOAD_NT
	v_add_nc_u32_e32 v1, 1, v1
	s_mov_b32 s0, -1
	s_mov_b32 s3, -1
	s_mov_b32 s12, exec_lo
	s_wait_xcnt 0x0
	v_cmpx_eq_u32_e32 0xf4240, v1
	s_cbranch_execz .LBB1_137
; %bb.136:                              ;   in Loop: Header=BB1_135 Depth=2
	s_wait_loadcnt 0x0
	s_wait_storecnt 0x0
	global_load_b32 v1, v4, s[10:11] scope:SCOPE_SYS
	s_wait_loadcnt 0x0
	global_inv scope:SCOPE_SYS
	v_cmp_eq_u32_e32 vcc_lo, 0, v1
	v_mov_b32_e32 v1, 0
	s_or_not1_b32 s3, vcc_lo, exec_lo
.LBB1_137:                              ;   in Loop: Header=BB1_135 Depth=2
	s_wait_xcnt 0x0
	s_or_b32 exec_lo, exec_lo, s12
	s_and_saveexec_b32 s12, s3
	s_cbranch_execz .LBB1_139
; %bb.138:                              ;   in Loop: Header=BB1_135 Depth=2
	s_wait_loadcnt 0x0
	v_cmp_eq_u32_e32 vcc_lo, s6, v7
	v_cmp_eq_u32_e64 s0, s6, v9
	s_and_b32 s0, vcc_lo, s0
	s_delay_alu instid0(SALU_CYCLE_1)
	s_or_not1_b32 s0, s0, exec_lo
.LBB1_139:                              ;   in Loop: Header=BB1_135 Depth=2
	s_or_b32 exec_lo, exec_lo, s12
	s_delay_alu instid0(SALU_CYCLE_1) | instskip(NEXT) | instid1(SALU_CYCLE_1)
	s_and_b32 s0, exec_lo, s0
	s_or_b32 s1, s0, s1
	s_delay_alu instid0(SALU_CYCLE_1)
	s_and_not1_b32 exec_lo, exec_lo, s1
	s_cbranch_execnz .LBB1_135
; %bb.140:                              ;   in Loop: Header=BB1_135 Depth=2
	s_or_b32 exec_lo, exec_lo, s1
	s_wait_loadcnt 0x0
	v_dual_mov_b32 v7, v8 :: v_dual_mov_b32 v1, 0
	s_mov_b32 s1, 0
	s_delay_alu instid0(VALU_DEP_1) | instskip(SKIP_1) | instid1(SALU_CYCLE_1)
	v_cmp_eq_u64_e32 vcc_lo, s[6:7], v[6:7]
	s_or_b32 s14, vcc_lo, s14
	s_and_not1_b32 exec_lo, exec_lo, s14
	s_cbranch_execnz .LBB1_135
; %bb.141:                              ;   in Loop: Header=BB1_1 Depth=1
	s_or_b32 exec_lo, exec_lo, s14
	s_add_co_i32 s12, s2, 20
	s_mov_b32 s14, 0
	s_mul_hi_u32 s0, s12, 0x10624dd3
	s_mov_b32 s15, s6
	s_lshr_b32 s0, s0, 6
	s_mov_b32 s17, s5
	s_mul_i32 s3, s0, 0x3e8
	s_or_b64 s[0:1], s[14:15], s[6:7]
	s_sub_co_i32 s3, s12, s3
	v_lshl_add_u64 v[6:7], s[4:5], 4, v[12:13]
	s_lshl_b32 s16, s3, 12
	v_dual_mov_b32 v2, s0 :: v_dual_mov_b32 v3, s1
	v_add_nc_u64_e32 v[14:15], s[16:17], v[10:11]
	v_dual_mov_b32 v5, s6 :: v_dual_mov_b32 v1, 0
	s_lshl_b32 s4, s3, 8
	s_mov_b32 s13, s5
	s_mov_b32 s1, s14
	global_store_b128 v[6:7], v[2:5], off th:TH_STORE_NT
.LBB1_142:                              ;   Parent Loop BB1_1 Depth=1
                                        ; =>  This Inner Loop Header: Depth=2
	s_wait_loadcnt 0x0
	global_load_b128 v[6:9], v[14:15], off th:TH_LOAD_NT
	v_add_nc_u32_e32 v1, 1, v1
	s_mov_b32 s0, -1
	s_mov_b32 s3, -1
	s_mov_b32 s6, exec_lo
	s_wait_xcnt 0x0
	v_cmpx_eq_u32_e32 0xf4240, v1
	s_cbranch_execz .LBB1_144
; %bb.143:                              ;   in Loop: Header=BB1_142 Depth=2
	s_wait_loadcnt 0x0
	s_wait_storecnt 0x0
	global_load_b32 v1, v4, s[10:11] scope:SCOPE_SYS
	s_wait_loadcnt 0x0
	global_inv scope:SCOPE_SYS
	v_cmp_eq_u32_e32 vcc_lo, 0, v1
	v_mov_b32_e32 v1, 0
	s_or_not1_b32 s3, vcc_lo, exec_lo
.LBB1_144:                              ;   in Loop: Header=BB1_142 Depth=2
	s_wait_xcnt 0x0
	s_or_b32 exec_lo, exec_lo, s6
	s_and_saveexec_b32 s6, s3
	s_cbranch_execz .LBB1_146
; %bb.145:                              ;   in Loop: Header=BB1_142 Depth=2
	s_wait_loadcnt 0x0
	v_cmp_eq_u32_e32 vcc_lo, s12, v7
	v_cmp_eq_u32_e64 s0, s12, v9
	s_and_b32 s0, vcc_lo, s0
	s_delay_alu instid0(SALU_CYCLE_1)
	s_or_not1_b32 s0, s0, exec_lo
.LBB1_146:                              ;   in Loop: Header=BB1_142 Depth=2
	s_or_b32 exec_lo, exec_lo, s6
	s_delay_alu instid0(SALU_CYCLE_1) | instskip(NEXT) | instid1(SALU_CYCLE_1)
	s_and_b32 s0, exec_lo, s0
	s_or_b32 s1, s0, s1
	s_delay_alu instid0(SALU_CYCLE_1)
	s_and_not1_b32 exec_lo, exec_lo, s1
	s_cbranch_execnz .LBB1_142
; %bb.147:                              ;   in Loop: Header=BB1_142 Depth=2
	s_or_b32 exec_lo, exec_lo, s1
	s_wait_loadcnt 0x0
	v_dual_mov_b32 v7, v8 :: v_dual_mov_b32 v1, 0
	s_mov_b32 s1, 0
	s_delay_alu instid0(VALU_DEP_1) | instskip(SKIP_1) | instid1(SALU_CYCLE_1)
	v_cmp_eq_u64_e32 vcc_lo, s[12:13], v[6:7]
	s_or_b32 s14, vcc_lo, s14
	s_and_not1_b32 exec_lo, exec_lo, s14
	s_cbranch_execnz .LBB1_142
; %bb.148:                              ;   in Loop: Header=BB1_1 Depth=1
	s_or_b32 exec_lo, exec_lo, s14
	s_add_co_i32 s6, s2, 21
	s_mov_b32 s14, 0
	s_mul_hi_u32 s0, s6, 0x10624dd3
	s_mov_b32 s15, s12
	s_lshr_b32 s0, s0, 6
	s_mov_b32 s17, s5
	s_mul_i32 s3, s0, 0x3e8
	s_or_b64 s[0:1], s[14:15], s[12:13]
	s_sub_co_i32 s3, s6, s3
	v_lshl_add_u64 v[6:7], s[4:5], 4, v[12:13]
	s_lshl_b32 s16, s3, 12
	v_dual_mov_b32 v2, s0 :: v_dual_mov_b32 v3, s1
	v_add_nc_u64_e32 v[14:15], s[16:17], v[10:11]
	v_dual_mov_b32 v5, s12 :: v_dual_mov_b32 v1, 0
	s_lshl_b32 s4, s3, 8
	s_mov_b32 s7, s5
	s_mov_b32 s1, s14
	global_store_b128 v[6:7], v[2:5], off th:TH_STORE_NT
.LBB1_149:                              ;   Parent Loop BB1_1 Depth=1
                                        ; =>  This Inner Loop Header: Depth=2
	s_wait_loadcnt 0x0
	global_load_b128 v[6:9], v[14:15], off th:TH_LOAD_NT
	v_add_nc_u32_e32 v1, 1, v1
	s_mov_b32 s0, -1
	s_mov_b32 s3, -1
	s_mov_b32 s12, exec_lo
	s_wait_xcnt 0x0
	v_cmpx_eq_u32_e32 0xf4240, v1
	s_cbranch_execz .LBB1_151
; %bb.150:                              ;   in Loop: Header=BB1_149 Depth=2
	s_wait_loadcnt 0x0
	s_wait_storecnt 0x0
	global_load_b32 v1, v4, s[10:11] scope:SCOPE_SYS
	s_wait_loadcnt 0x0
	global_inv scope:SCOPE_SYS
	v_cmp_eq_u32_e32 vcc_lo, 0, v1
	v_mov_b32_e32 v1, 0
	s_or_not1_b32 s3, vcc_lo, exec_lo
.LBB1_151:                              ;   in Loop: Header=BB1_149 Depth=2
	s_wait_xcnt 0x0
	s_or_b32 exec_lo, exec_lo, s12
	s_and_saveexec_b32 s12, s3
	s_cbranch_execz .LBB1_153
; %bb.152:                              ;   in Loop: Header=BB1_149 Depth=2
	s_wait_loadcnt 0x0
	v_cmp_eq_u32_e32 vcc_lo, s6, v7
	v_cmp_eq_u32_e64 s0, s6, v9
	s_and_b32 s0, vcc_lo, s0
	s_delay_alu instid0(SALU_CYCLE_1)
	s_or_not1_b32 s0, s0, exec_lo
.LBB1_153:                              ;   in Loop: Header=BB1_149 Depth=2
	s_or_b32 exec_lo, exec_lo, s12
	s_delay_alu instid0(SALU_CYCLE_1) | instskip(NEXT) | instid1(SALU_CYCLE_1)
	s_and_b32 s0, exec_lo, s0
	s_or_b32 s1, s0, s1
	s_delay_alu instid0(SALU_CYCLE_1)
	s_and_not1_b32 exec_lo, exec_lo, s1
	s_cbranch_execnz .LBB1_149
; %bb.154:                              ;   in Loop: Header=BB1_149 Depth=2
	s_or_b32 exec_lo, exec_lo, s1
	s_wait_loadcnt 0x0
	v_dual_mov_b32 v7, v8 :: v_dual_mov_b32 v1, 0
	s_mov_b32 s1, 0
	s_delay_alu instid0(VALU_DEP_1) | instskip(SKIP_1) | instid1(SALU_CYCLE_1)
	v_cmp_eq_u64_e32 vcc_lo, s[6:7], v[6:7]
	s_or_b32 s14, vcc_lo, s14
	s_and_not1_b32 exec_lo, exec_lo, s14
	s_cbranch_execnz .LBB1_149
; %bb.155:                              ;   in Loop: Header=BB1_1 Depth=1
	s_or_b32 exec_lo, exec_lo, s14
	s_add_co_i32 s12, s2, 22
	s_mov_b32 s14, 0
	s_mul_hi_u32 s0, s12, 0x10624dd3
	s_mov_b32 s15, s6
	s_lshr_b32 s0, s0, 6
	s_mov_b32 s17, s5
	s_mul_i32 s3, s0, 0x3e8
	s_or_b64 s[0:1], s[14:15], s[6:7]
	s_sub_co_i32 s3, s12, s3
	v_lshl_add_u64 v[6:7], s[4:5], 4, v[12:13]
	s_lshl_b32 s16, s3, 12
	v_dual_mov_b32 v2, s0 :: v_dual_mov_b32 v3, s1
	v_add_nc_u64_e32 v[14:15], s[16:17], v[10:11]
	v_dual_mov_b32 v5, s6 :: v_dual_mov_b32 v1, 0
	s_lshl_b32 s4, s3, 8
	s_mov_b32 s13, s5
	s_mov_b32 s1, s14
	global_store_b128 v[6:7], v[2:5], off th:TH_STORE_NT
.LBB1_156:                              ;   Parent Loop BB1_1 Depth=1
                                        ; =>  This Inner Loop Header: Depth=2
	s_wait_loadcnt 0x0
	global_load_b128 v[6:9], v[14:15], off th:TH_LOAD_NT
	v_add_nc_u32_e32 v1, 1, v1
	s_mov_b32 s0, -1
	s_mov_b32 s3, -1
	s_mov_b32 s6, exec_lo
	s_wait_xcnt 0x0
	v_cmpx_eq_u32_e32 0xf4240, v1
	s_cbranch_execz .LBB1_158
; %bb.157:                              ;   in Loop: Header=BB1_156 Depth=2
	s_wait_loadcnt 0x0
	s_wait_storecnt 0x0
	global_load_b32 v1, v4, s[10:11] scope:SCOPE_SYS
	s_wait_loadcnt 0x0
	global_inv scope:SCOPE_SYS
	v_cmp_eq_u32_e32 vcc_lo, 0, v1
	v_mov_b32_e32 v1, 0
	s_or_not1_b32 s3, vcc_lo, exec_lo
.LBB1_158:                              ;   in Loop: Header=BB1_156 Depth=2
	s_wait_xcnt 0x0
	s_or_b32 exec_lo, exec_lo, s6
	s_and_saveexec_b32 s6, s3
	s_cbranch_execz .LBB1_160
; %bb.159:                              ;   in Loop: Header=BB1_156 Depth=2
	s_wait_loadcnt 0x0
	v_cmp_eq_u32_e32 vcc_lo, s12, v7
	v_cmp_eq_u32_e64 s0, s12, v9
	s_and_b32 s0, vcc_lo, s0
	s_delay_alu instid0(SALU_CYCLE_1)
	s_or_not1_b32 s0, s0, exec_lo
.LBB1_160:                              ;   in Loop: Header=BB1_156 Depth=2
	s_or_b32 exec_lo, exec_lo, s6
	s_delay_alu instid0(SALU_CYCLE_1) | instskip(NEXT) | instid1(SALU_CYCLE_1)
	s_and_b32 s0, exec_lo, s0
	s_or_b32 s1, s0, s1
	s_delay_alu instid0(SALU_CYCLE_1)
	s_and_not1_b32 exec_lo, exec_lo, s1
	s_cbranch_execnz .LBB1_156
; %bb.161:                              ;   in Loop: Header=BB1_156 Depth=2
	s_or_b32 exec_lo, exec_lo, s1
	s_wait_loadcnt 0x0
	v_dual_mov_b32 v7, v8 :: v_dual_mov_b32 v1, 0
	s_mov_b32 s1, 0
	s_delay_alu instid0(VALU_DEP_1) | instskip(SKIP_1) | instid1(SALU_CYCLE_1)
	v_cmp_eq_u64_e32 vcc_lo, s[12:13], v[6:7]
	s_or_b32 s14, vcc_lo, s14
	s_and_not1_b32 exec_lo, exec_lo, s14
	s_cbranch_execnz .LBB1_156
; %bb.162:                              ;   in Loop: Header=BB1_1 Depth=1
	s_or_b32 exec_lo, exec_lo, s14
	s_add_co_i32 s6, s2, 23
	s_mov_b32 s14, 0
	s_mul_hi_u32 s0, s6, 0x10624dd3
	s_mov_b32 s15, s12
	s_lshr_b32 s0, s0, 6
	s_mov_b32 s17, s5
	s_mul_i32 s3, s0, 0x3e8
	s_or_b64 s[0:1], s[14:15], s[12:13]
	s_sub_co_i32 s3, s6, s3
	v_lshl_add_u64 v[6:7], s[4:5], 4, v[12:13]
	s_lshl_b32 s16, s3, 12
	v_dual_mov_b32 v2, s0 :: v_dual_mov_b32 v3, s1
	v_add_nc_u64_e32 v[14:15], s[16:17], v[10:11]
	v_dual_mov_b32 v5, s12 :: v_dual_mov_b32 v1, 0
	s_lshl_b32 s4, s3, 8
	s_mov_b32 s7, s5
	s_mov_b32 s1, s14
	global_store_b128 v[6:7], v[2:5], off th:TH_STORE_NT
.LBB1_163:                              ;   Parent Loop BB1_1 Depth=1
                                        ; =>  This Inner Loop Header: Depth=2
	s_wait_loadcnt 0x0
	global_load_b128 v[6:9], v[14:15], off th:TH_LOAD_NT
	v_add_nc_u32_e32 v1, 1, v1
	s_mov_b32 s0, -1
	s_mov_b32 s3, -1
	s_mov_b32 s12, exec_lo
	s_wait_xcnt 0x0
	v_cmpx_eq_u32_e32 0xf4240, v1
	s_cbranch_execz .LBB1_165
; %bb.164:                              ;   in Loop: Header=BB1_163 Depth=2
	s_wait_loadcnt 0x0
	s_wait_storecnt 0x0
	global_load_b32 v1, v4, s[10:11] scope:SCOPE_SYS
	s_wait_loadcnt 0x0
	global_inv scope:SCOPE_SYS
	v_cmp_eq_u32_e32 vcc_lo, 0, v1
	v_mov_b32_e32 v1, 0
	s_or_not1_b32 s3, vcc_lo, exec_lo
.LBB1_165:                              ;   in Loop: Header=BB1_163 Depth=2
	s_wait_xcnt 0x0
	s_or_b32 exec_lo, exec_lo, s12
	s_and_saveexec_b32 s12, s3
	s_cbranch_execz .LBB1_167
; %bb.166:                              ;   in Loop: Header=BB1_163 Depth=2
	s_wait_loadcnt 0x0
	v_cmp_eq_u32_e32 vcc_lo, s6, v7
	v_cmp_eq_u32_e64 s0, s6, v9
	s_and_b32 s0, vcc_lo, s0
	s_delay_alu instid0(SALU_CYCLE_1)
	s_or_not1_b32 s0, s0, exec_lo
.LBB1_167:                              ;   in Loop: Header=BB1_163 Depth=2
	s_or_b32 exec_lo, exec_lo, s12
	s_delay_alu instid0(SALU_CYCLE_1) | instskip(NEXT) | instid1(SALU_CYCLE_1)
	s_and_b32 s0, exec_lo, s0
	s_or_b32 s1, s0, s1
	s_delay_alu instid0(SALU_CYCLE_1)
	s_and_not1_b32 exec_lo, exec_lo, s1
	s_cbranch_execnz .LBB1_163
; %bb.168:                              ;   in Loop: Header=BB1_163 Depth=2
	s_or_b32 exec_lo, exec_lo, s1
	s_wait_loadcnt 0x0
	v_dual_mov_b32 v7, v8 :: v_dual_mov_b32 v1, 0
	s_mov_b32 s1, 0
	s_delay_alu instid0(VALU_DEP_1) | instskip(SKIP_1) | instid1(SALU_CYCLE_1)
	v_cmp_eq_u64_e32 vcc_lo, s[6:7], v[6:7]
	s_or_b32 s14, vcc_lo, s14
	s_and_not1_b32 exec_lo, exec_lo, s14
	s_cbranch_execnz .LBB1_163
; %bb.169:                              ;   in Loop: Header=BB1_1 Depth=1
	s_or_b32 exec_lo, exec_lo, s14
	s_add_co_i32 s12, s2, 24
	s_mov_b32 s14, 0
	s_mul_hi_u32 s0, s12, 0x10624dd3
	s_mov_b32 s15, s6
	s_lshr_b32 s0, s0, 6
	s_mov_b32 s17, s5
	s_mul_i32 s3, s0, 0x3e8
	s_or_b64 s[0:1], s[14:15], s[6:7]
	s_sub_co_i32 s3, s12, s3
	v_lshl_add_u64 v[6:7], s[4:5], 4, v[12:13]
	s_lshl_b32 s16, s3, 12
	v_dual_mov_b32 v2, s0 :: v_dual_mov_b32 v3, s1
	v_add_nc_u64_e32 v[14:15], s[16:17], v[10:11]
	v_dual_mov_b32 v5, s6 :: v_dual_mov_b32 v1, 0
	s_lshl_b32 s4, s3, 8
	s_mov_b32 s13, s5
	s_mov_b32 s1, s14
	global_store_b128 v[6:7], v[2:5], off th:TH_STORE_NT
.LBB1_170:                              ;   Parent Loop BB1_1 Depth=1
                                        ; =>  This Inner Loop Header: Depth=2
	s_wait_loadcnt 0x0
	global_load_b128 v[6:9], v[14:15], off th:TH_LOAD_NT
	v_add_nc_u32_e32 v1, 1, v1
	s_mov_b32 s0, -1
	s_mov_b32 s3, -1
	s_mov_b32 s6, exec_lo
	s_wait_xcnt 0x0
	v_cmpx_eq_u32_e32 0xf4240, v1
	s_cbranch_execz .LBB1_172
; %bb.171:                              ;   in Loop: Header=BB1_170 Depth=2
	s_wait_loadcnt 0x0
	s_wait_storecnt 0x0
	global_load_b32 v1, v4, s[10:11] scope:SCOPE_SYS
	s_wait_loadcnt 0x0
	global_inv scope:SCOPE_SYS
	v_cmp_eq_u32_e32 vcc_lo, 0, v1
	v_mov_b32_e32 v1, 0
	s_or_not1_b32 s3, vcc_lo, exec_lo
.LBB1_172:                              ;   in Loop: Header=BB1_170 Depth=2
	s_wait_xcnt 0x0
	s_or_b32 exec_lo, exec_lo, s6
	s_and_saveexec_b32 s6, s3
	s_cbranch_execz .LBB1_174
; %bb.173:                              ;   in Loop: Header=BB1_170 Depth=2
	s_wait_loadcnt 0x0
	v_cmp_eq_u32_e32 vcc_lo, s12, v7
	v_cmp_eq_u32_e64 s0, s12, v9
	s_and_b32 s0, vcc_lo, s0
	s_delay_alu instid0(SALU_CYCLE_1)
	s_or_not1_b32 s0, s0, exec_lo
.LBB1_174:                              ;   in Loop: Header=BB1_170 Depth=2
	s_or_b32 exec_lo, exec_lo, s6
	s_delay_alu instid0(SALU_CYCLE_1) | instskip(NEXT) | instid1(SALU_CYCLE_1)
	s_and_b32 s0, exec_lo, s0
	s_or_b32 s1, s0, s1
	s_delay_alu instid0(SALU_CYCLE_1)
	s_and_not1_b32 exec_lo, exec_lo, s1
	s_cbranch_execnz .LBB1_170
; %bb.175:                              ;   in Loop: Header=BB1_170 Depth=2
	s_or_b32 exec_lo, exec_lo, s1
	s_wait_loadcnt 0x0
	v_dual_mov_b32 v7, v8 :: v_dual_mov_b32 v1, 0
	s_mov_b32 s1, 0
	s_delay_alu instid0(VALU_DEP_1) | instskip(SKIP_1) | instid1(SALU_CYCLE_1)
	v_cmp_eq_u64_e32 vcc_lo, s[12:13], v[6:7]
	s_or_b32 s14, vcc_lo, s14
	s_and_not1_b32 exec_lo, exec_lo, s14
	s_cbranch_execnz .LBB1_170
; %bb.176:                              ;   in Loop: Header=BB1_1 Depth=1
	s_or_b32 exec_lo, exec_lo, s14
	s_add_co_i32 s6, s2, 25
	s_mov_b32 s14, 0
	s_mul_hi_u32 s0, s6, 0x10624dd3
	s_mov_b32 s15, s12
	s_lshr_b32 s0, s0, 6
	s_mov_b32 s17, s5
	s_mul_i32 s3, s0, 0x3e8
	s_or_b64 s[0:1], s[14:15], s[12:13]
	s_sub_co_i32 s3, s6, s3
	v_lshl_add_u64 v[6:7], s[4:5], 4, v[12:13]
	s_lshl_b32 s16, s3, 12
	v_dual_mov_b32 v2, s0 :: v_dual_mov_b32 v3, s1
	v_add_nc_u64_e32 v[14:15], s[16:17], v[10:11]
	v_dual_mov_b32 v5, s12 :: v_dual_mov_b32 v1, 0
	s_lshl_b32 s4, s3, 8
	s_mov_b32 s7, s5
	s_mov_b32 s1, s14
	global_store_b128 v[6:7], v[2:5], off th:TH_STORE_NT
.LBB1_177:                              ;   Parent Loop BB1_1 Depth=1
                                        ; =>  This Inner Loop Header: Depth=2
	s_wait_loadcnt 0x0
	global_load_b128 v[6:9], v[14:15], off th:TH_LOAD_NT
	v_add_nc_u32_e32 v1, 1, v1
	s_mov_b32 s0, -1
	s_mov_b32 s3, -1
	s_mov_b32 s12, exec_lo
	s_wait_xcnt 0x0
	v_cmpx_eq_u32_e32 0xf4240, v1
	s_cbranch_execz .LBB1_179
; %bb.178:                              ;   in Loop: Header=BB1_177 Depth=2
	s_wait_loadcnt 0x0
	s_wait_storecnt 0x0
	global_load_b32 v1, v4, s[10:11] scope:SCOPE_SYS
	s_wait_loadcnt 0x0
	global_inv scope:SCOPE_SYS
	v_cmp_eq_u32_e32 vcc_lo, 0, v1
	v_mov_b32_e32 v1, 0
	s_or_not1_b32 s3, vcc_lo, exec_lo
.LBB1_179:                              ;   in Loop: Header=BB1_177 Depth=2
	s_wait_xcnt 0x0
	s_or_b32 exec_lo, exec_lo, s12
	s_and_saveexec_b32 s12, s3
	s_cbranch_execz .LBB1_181
; %bb.180:                              ;   in Loop: Header=BB1_177 Depth=2
	s_wait_loadcnt 0x0
	v_cmp_eq_u32_e32 vcc_lo, s6, v7
	v_cmp_eq_u32_e64 s0, s6, v9
	s_and_b32 s0, vcc_lo, s0
	s_delay_alu instid0(SALU_CYCLE_1)
	s_or_not1_b32 s0, s0, exec_lo
.LBB1_181:                              ;   in Loop: Header=BB1_177 Depth=2
	s_or_b32 exec_lo, exec_lo, s12
	s_delay_alu instid0(SALU_CYCLE_1) | instskip(NEXT) | instid1(SALU_CYCLE_1)
	s_and_b32 s0, exec_lo, s0
	s_or_b32 s1, s0, s1
	s_delay_alu instid0(SALU_CYCLE_1)
	s_and_not1_b32 exec_lo, exec_lo, s1
	s_cbranch_execnz .LBB1_177
; %bb.182:                              ;   in Loop: Header=BB1_177 Depth=2
	s_or_b32 exec_lo, exec_lo, s1
	s_wait_loadcnt 0x0
	v_dual_mov_b32 v7, v8 :: v_dual_mov_b32 v1, 0
	s_mov_b32 s1, 0
	s_delay_alu instid0(VALU_DEP_1) | instskip(SKIP_1) | instid1(SALU_CYCLE_1)
	v_cmp_eq_u64_e32 vcc_lo, s[6:7], v[6:7]
	s_or_b32 s14, vcc_lo, s14
	s_and_not1_b32 exec_lo, exec_lo, s14
	s_cbranch_execnz .LBB1_177
; %bb.183:                              ;   in Loop: Header=BB1_1 Depth=1
	s_or_b32 exec_lo, exec_lo, s14
	s_add_co_i32 s12, s2, 26
	s_mov_b32 s14, 0
	s_mul_hi_u32 s0, s12, 0x10624dd3
	s_mov_b32 s15, s6
	s_lshr_b32 s0, s0, 6
	s_mov_b32 s17, s5
	s_mul_i32 s3, s0, 0x3e8
	s_or_b64 s[0:1], s[14:15], s[6:7]
	s_sub_co_i32 s3, s12, s3
	v_lshl_add_u64 v[6:7], s[4:5], 4, v[12:13]
	s_lshl_b32 s16, s3, 12
	v_dual_mov_b32 v2, s0 :: v_dual_mov_b32 v3, s1
	v_add_nc_u64_e32 v[14:15], s[16:17], v[10:11]
	v_dual_mov_b32 v5, s6 :: v_dual_mov_b32 v1, 0
	s_lshl_b32 s4, s3, 8
	s_mov_b32 s13, s5
	s_mov_b32 s1, s14
	global_store_b128 v[6:7], v[2:5], off th:TH_STORE_NT
.LBB1_184:                              ;   Parent Loop BB1_1 Depth=1
                                        ; =>  This Inner Loop Header: Depth=2
	s_wait_loadcnt 0x0
	global_load_b128 v[6:9], v[14:15], off th:TH_LOAD_NT
	v_add_nc_u32_e32 v1, 1, v1
	s_mov_b32 s0, -1
	s_mov_b32 s3, -1
	s_mov_b32 s6, exec_lo
	s_wait_xcnt 0x0
	v_cmpx_eq_u32_e32 0xf4240, v1
	s_cbranch_execz .LBB1_186
; %bb.185:                              ;   in Loop: Header=BB1_184 Depth=2
	s_wait_loadcnt 0x0
	s_wait_storecnt 0x0
	global_load_b32 v1, v4, s[10:11] scope:SCOPE_SYS
	s_wait_loadcnt 0x0
	global_inv scope:SCOPE_SYS
	v_cmp_eq_u32_e32 vcc_lo, 0, v1
	v_mov_b32_e32 v1, 0
	s_or_not1_b32 s3, vcc_lo, exec_lo
.LBB1_186:                              ;   in Loop: Header=BB1_184 Depth=2
	s_wait_xcnt 0x0
	s_or_b32 exec_lo, exec_lo, s6
	s_and_saveexec_b32 s6, s3
	s_cbranch_execz .LBB1_188
; %bb.187:                              ;   in Loop: Header=BB1_184 Depth=2
	s_wait_loadcnt 0x0
	v_cmp_eq_u32_e32 vcc_lo, s12, v7
	v_cmp_eq_u32_e64 s0, s12, v9
	s_and_b32 s0, vcc_lo, s0
	s_delay_alu instid0(SALU_CYCLE_1)
	s_or_not1_b32 s0, s0, exec_lo
.LBB1_188:                              ;   in Loop: Header=BB1_184 Depth=2
	s_or_b32 exec_lo, exec_lo, s6
	s_delay_alu instid0(SALU_CYCLE_1) | instskip(NEXT) | instid1(SALU_CYCLE_1)
	s_and_b32 s0, exec_lo, s0
	s_or_b32 s1, s0, s1
	s_delay_alu instid0(SALU_CYCLE_1)
	s_and_not1_b32 exec_lo, exec_lo, s1
	s_cbranch_execnz .LBB1_184
; %bb.189:                              ;   in Loop: Header=BB1_184 Depth=2
	s_or_b32 exec_lo, exec_lo, s1
	s_wait_loadcnt 0x0
	v_dual_mov_b32 v7, v8 :: v_dual_mov_b32 v1, 0
	s_mov_b32 s1, 0
	s_delay_alu instid0(VALU_DEP_1) | instskip(SKIP_1) | instid1(SALU_CYCLE_1)
	v_cmp_eq_u64_e32 vcc_lo, s[12:13], v[6:7]
	s_or_b32 s14, vcc_lo, s14
	s_and_not1_b32 exec_lo, exec_lo, s14
	s_cbranch_execnz .LBB1_184
; %bb.190:                              ;   in Loop: Header=BB1_1 Depth=1
	s_or_b32 exec_lo, exec_lo, s14
	s_add_co_i32 s6, s2, 27
	s_mov_b32 s14, 0
	s_mul_hi_u32 s0, s6, 0x10624dd3
	s_mov_b32 s15, s12
	s_lshr_b32 s0, s0, 6
	s_mov_b32 s17, s5
	s_mul_i32 s3, s0, 0x3e8
	s_or_b64 s[0:1], s[14:15], s[12:13]
	s_sub_co_i32 s3, s6, s3
	v_lshl_add_u64 v[6:7], s[4:5], 4, v[12:13]
	s_lshl_b32 s16, s3, 12
	v_dual_mov_b32 v2, s0 :: v_dual_mov_b32 v3, s1
	v_add_nc_u64_e32 v[14:15], s[16:17], v[10:11]
	v_dual_mov_b32 v5, s12 :: v_dual_mov_b32 v1, 0
	s_lshl_b32 s4, s3, 8
	s_mov_b32 s7, s5
	s_mov_b32 s1, s14
	global_store_b128 v[6:7], v[2:5], off th:TH_STORE_NT
.LBB1_191:                              ;   Parent Loop BB1_1 Depth=1
                                        ; =>  This Inner Loop Header: Depth=2
	s_wait_loadcnt 0x0
	global_load_b128 v[6:9], v[14:15], off th:TH_LOAD_NT
	v_add_nc_u32_e32 v1, 1, v1
	s_mov_b32 s0, -1
	s_mov_b32 s3, -1
	s_mov_b32 s12, exec_lo
	s_wait_xcnt 0x0
	v_cmpx_eq_u32_e32 0xf4240, v1
	s_cbranch_execz .LBB1_193
; %bb.192:                              ;   in Loop: Header=BB1_191 Depth=2
	s_wait_loadcnt 0x0
	s_wait_storecnt 0x0
	global_load_b32 v1, v4, s[10:11] scope:SCOPE_SYS
	s_wait_loadcnt 0x0
	global_inv scope:SCOPE_SYS
	v_cmp_eq_u32_e32 vcc_lo, 0, v1
	v_mov_b32_e32 v1, 0
	s_or_not1_b32 s3, vcc_lo, exec_lo
.LBB1_193:                              ;   in Loop: Header=BB1_191 Depth=2
	s_wait_xcnt 0x0
	s_or_b32 exec_lo, exec_lo, s12
	s_and_saveexec_b32 s12, s3
	s_cbranch_execz .LBB1_195
; %bb.194:                              ;   in Loop: Header=BB1_191 Depth=2
	s_wait_loadcnt 0x0
	v_cmp_eq_u32_e32 vcc_lo, s6, v7
	v_cmp_eq_u32_e64 s0, s6, v9
	s_and_b32 s0, vcc_lo, s0
	s_delay_alu instid0(SALU_CYCLE_1)
	s_or_not1_b32 s0, s0, exec_lo
.LBB1_195:                              ;   in Loop: Header=BB1_191 Depth=2
	s_or_b32 exec_lo, exec_lo, s12
	s_delay_alu instid0(SALU_CYCLE_1) | instskip(NEXT) | instid1(SALU_CYCLE_1)
	s_and_b32 s0, exec_lo, s0
	s_or_b32 s1, s0, s1
	s_delay_alu instid0(SALU_CYCLE_1)
	s_and_not1_b32 exec_lo, exec_lo, s1
	s_cbranch_execnz .LBB1_191
; %bb.196:                              ;   in Loop: Header=BB1_191 Depth=2
	s_or_b32 exec_lo, exec_lo, s1
	s_wait_loadcnt 0x0
	v_dual_mov_b32 v7, v8 :: v_dual_mov_b32 v1, 0
	s_mov_b32 s1, 0
	s_delay_alu instid0(VALU_DEP_1) | instskip(SKIP_1) | instid1(SALU_CYCLE_1)
	v_cmp_eq_u64_e32 vcc_lo, s[6:7], v[6:7]
	s_or_b32 s14, vcc_lo, s14
	s_and_not1_b32 exec_lo, exec_lo, s14
	s_cbranch_execnz .LBB1_191
; %bb.197:                              ;   in Loop: Header=BB1_1 Depth=1
	s_or_b32 exec_lo, exec_lo, s14
	s_add_co_i32 s12, s2, 28
	s_mov_b32 s14, 0
	s_mul_hi_u32 s0, s12, 0x10624dd3
	s_mov_b32 s15, s6
	s_lshr_b32 s0, s0, 6
	s_mov_b32 s17, s5
	s_mul_i32 s3, s0, 0x3e8
	s_or_b64 s[0:1], s[14:15], s[6:7]
	s_sub_co_i32 s3, s12, s3
	v_lshl_add_u64 v[6:7], s[4:5], 4, v[12:13]
	s_lshl_b32 s16, s3, 12
	v_dual_mov_b32 v2, s0 :: v_dual_mov_b32 v3, s1
	v_add_nc_u64_e32 v[14:15], s[16:17], v[10:11]
	v_dual_mov_b32 v5, s6 :: v_dual_mov_b32 v1, 0
	s_lshl_b32 s4, s3, 8
	s_mov_b32 s13, s5
	s_mov_b32 s1, s14
	global_store_b128 v[6:7], v[2:5], off th:TH_STORE_NT
.LBB1_198:                              ;   Parent Loop BB1_1 Depth=1
                                        ; =>  This Inner Loop Header: Depth=2
	s_wait_loadcnt 0x0
	global_load_b128 v[6:9], v[14:15], off th:TH_LOAD_NT
	v_add_nc_u32_e32 v1, 1, v1
	s_mov_b32 s0, -1
	s_mov_b32 s3, -1
	s_mov_b32 s6, exec_lo
	s_wait_xcnt 0x0
	v_cmpx_eq_u32_e32 0xf4240, v1
	s_cbranch_execz .LBB1_200
; %bb.199:                              ;   in Loop: Header=BB1_198 Depth=2
	s_wait_loadcnt 0x0
	s_wait_storecnt 0x0
	global_load_b32 v1, v4, s[10:11] scope:SCOPE_SYS
	s_wait_loadcnt 0x0
	global_inv scope:SCOPE_SYS
	v_cmp_eq_u32_e32 vcc_lo, 0, v1
	v_mov_b32_e32 v1, 0
	s_or_not1_b32 s3, vcc_lo, exec_lo
.LBB1_200:                              ;   in Loop: Header=BB1_198 Depth=2
	s_wait_xcnt 0x0
	s_or_b32 exec_lo, exec_lo, s6
	s_and_saveexec_b32 s6, s3
	s_cbranch_execz .LBB1_202
; %bb.201:                              ;   in Loop: Header=BB1_198 Depth=2
	s_wait_loadcnt 0x0
	v_cmp_eq_u32_e32 vcc_lo, s12, v7
	v_cmp_eq_u32_e64 s0, s12, v9
	s_and_b32 s0, vcc_lo, s0
	s_delay_alu instid0(SALU_CYCLE_1)
	s_or_not1_b32 s0, s0, exec_lo
.LBB1_202:                              ;   in Loop: Header=BB1_198 Depth=2
	s_or_b32 exec_lo, exec_lo, s6
	s_delay_alu instid0(SALU_CYCLE_1) | instskip(NEXT) | instid1(SALU_CYCLE_1)
	s_and_b32 s0, exec_lo, s0
	s_or_b32 s1, s0, s1
	s_delay_alu instid0(SALU_CYCLE_1)
	s_and_not1_b32 exec_lo, exec_lo, s1
	s_cbranch_execnz .LBB1_198
; %bb.203:                              ;   in Loop: Header=BB1_198 Depth=2
	s_or_b32 exec_lo, exec_lo, s1
	s_wait_loadcnt 0x0
	v_dual_mov_b32 v7, v8 :: v_dual_mov_b32 v1, 0
	s_mov_b32 s1, 0
	s_delay_alu instid0(VALU_DEP_1) | instskip(SKIP_1) | instid1(SALU_CYCLE_1)
	v_cmp_eq_u64_e32 vcc_lo, s[12:13], v[6:7]
	s_or_b32 s14, vcc_lo, s14
	s_and_not1_b32 exec_lo, exec_lo, s14
	s_cbranch_execnz .LBB1_198
; %bb.204:                              ;   in Loop: Header=BB1_1 Depth=1
	s_or_b32 exec_lo, exec_lo, s14
	s_add_co_i32 s6, s2, 29
	s_mov_b32 s14, 0
	s_mul_hi_u32 s0, s6, 0x10624dd3
	s_mov_b32 s15, s12
	s_lshr_b32 s0, s0, 6
	s_mov_b32 s17, s5
	s_mul_i32 s3, s0, 0x3e8
	s_or_b64 s[0:1], s[14:15], s[12:13]
	s_sub_co_i32 s3, s6, s3
	v_lshl_add_u64 v[6:7], s[4:5], 4, v[12:13]
	s_lshl_b32 s16, s3, 12
	v_dual_mov_b32 v2, s0 :: v_dual_mov_b32 v3, s1
	v_add_nc_u64_e32 v[14:15], s[16:17], v[10:11]
	v_dual_mov_b32 v5, s12 :: v_dual_mov_b32 v1, 0
	s_lshl_b32 s4, s3, 8
	s_mov_b32 s7, s5
	s_mov_b32 s1, s14
	global_store_b128 v[6:7], v[2:5], off th:TH_STORE_NT
.LBB1_205:                              ;   Parent Loop BB1_1 Depth=1
                                        ; =>  This Inner Loop Header: Depth=2
	s_wait_loadcnt 0x0
	global_load_b128 v[6:9], v[14:15], off th:TH_LOAD_NT
	v_add_nc_u32_e32 v1, 1, v1
	s_mov_b32 s0, -1
	s_mov_b32 s3, -1
	s_mov_b32 s12, exec_lo
	s_wait_xcnt 0x0
	v_cmpx_eq_u32_e32 0xf4240, v1
	s_cbranch_execz .LBB1_207
; %bb.206:                              ;   in Loop: Header=BB1_205 Depth=2
	s_wait_loadcnt 0x0
	s_wait_storecnt 0x0
	global_load_b32 v1, v4, s[10:11] scope:SCOPE_SYS
	s_wait_loadcnt 0x0
	global_inv scope:SCOPE_SYS
	v_cmp_eq_u32_e32 vcc_lo, 0, v1
	v_mov_b32_e32 v1, 0
	s_or_not1_b32 s3, vcc_lo, exec_lo
.LBB1_207:                              ;   in Loop: Header=BB1_205 Depth=2
	s_wait_xcnt 0x0
	s_or_b32 exec_lo, exec_lo, s12
	s_and_saveexec_b32 s12, s3
	s_cbranch_execz .LBB1_209
; %bb.208:                              ;   in Loop: Header=BB1_205 Depth=2
	s_wait_loadcnt 0x0
	v_cmp_eq_u32_e32 vcc_lo, s6, v7
	v_cmp_eq_u32_e64 s0, s6, v9
	s_and_b32 s0, vcc_lo, s0
	s_delay_alu instid0(SALU_CYCLE_1)
	s_or_not1_b32 s0, s0, exec_lo
.LBB1_209:                              ;   in Loop: Header=BB1_205 Depth=2
	s_or_b32 exec_lo, exec_lo, s12
	s_delay_alu instid0(SALU_CYCLE_1) | instskip(NEXT) | instid1(SALU_CYCLE_1)
	s_and_b32 s0, exec_lo, s0
	s_or_b32 s1, s0, s1
	s_delay_alu instid0(SALU_CYCLE_1)
	s_and_not1_b32 exec_lo, exec_lo, s1
	s_cbranch_execnz .LBB1_205
; %bb.210:                              ;   in Loop: Header=BB1_205 Depth=2
	s_or_b32 exec_lo, exec_lo, s1
	s_wait_loadcnt 0x0
	v_dual_mov_b32 v7, v8 :: v_dual_mov_b32 v1, 0
	s_mov_b32 s1, 0
	s_delay_alu instid0(VALU_DEP_1) | instskip(SKIP_1) | instid1(SALU_CYCLE_1)
	v_cmp_eq_u64_e32 vcc_lo, s[6:7], v[6:7]
	s_or_b32 s14, vcc_lo, s14
	s_and_not1_b32 exec_lo, exec_lo, s14
	s_cbranch_execnz .LBB1_205
; %bb.211:                              ;   in Loop: Header=BB1_1 Depth=1
	s_or_b32 exec_lo, exec_lo, s14
	s_add_co_i32 s12, s2, 30
	s_mov_b32 s14, 0
	s_mul_hi_u32 s0, s12, 0x10624dd3
	s_mov_b32 s15, s6
	s_lshr_b32 s0, s0, 6
	s_mov_b32 s17, s5
	s_mul_i32 s3, s0, 0x3e8
	s_or_b64 s[0:1], s[14:15], s[6:7]
	s_sub_co_i32 s3, s12, s3
	v_lshl_add_u64 v[6:7], s[4:5], 4, v[12:13]
	s_lshl_b32 s16, s3, 12
	v_dual_mov_b32 v2, s0 :: v_dual_mov_b32 v3, s1
	v_add_nc_u64_e32 v[14:15], s[16:17], v[10:11]
	v_dual_mov_b32 v5, s6 :: v_dual_mov_b32 v1, 0
	s_lshl_b32 s4, s3, 8
	s_mov_b32 s13, s5
	s_mov_b32 s1, s14
	global_store_b128 v[6:7], v[2:5], off th:TH_STORE_NT
.LBB1_212:                              ;   Parent Loop BB1_1 Depth=1
                                        ; =>  This Inner Loop Header: Depth=2
	s_wait_loadcnt 0x0
	global_load_b128 v[6:9], v[14:15], off th:TH_LOAD_NT
	v_add_nc_u32_e32 v1, 1, v1
	s_mov_b32 s0, -1
	s_mov_b32 s3, -1
	s_mov_b32 s6, exec_lo
	s_wait_xcnt 0x0
	v_cmpx_eq_u32_e32 0xf4240, v1
	s_cbranch_execz .LBB1_214
; %bb.213:                              ;   in Loop: Header=BB1_212 Depth=2
	s_wait_loadcnt 0x0
	s_wait_storecnt 0x0
	global_load_b32 v1, v4, s[10:11] scope:SCOPE_SYS
	s_wait_loadcnt 0x0
	global_inv scope:SCOPE_SYS
	v_cmp_eq_u32_e32 vcc_lo, 0, v1
	v_mov_b32_e32 v1, 0
	s_or_not1_b32 s3, vcc_lo, exec_lo
.LBB1_214:                              ;   in Loop: Header=BB1_212 Depth=2
	s_wait_xcnt 0x0
	s_or_b32 exec_lo, exec_lo, s6
	s_and_saveexec_b32 s6, s3
	s_cbranch_execz .LBB1_216
; %bb.215:                              ;   in Loop: Header=BB1_212 Depth=2
	s_wait_loadcnt 0x0
	v_cmp_eq_u32_e32 vcc_lo, s12, v7
	v_cmp_eq_u32_e64 s0, s12, v9
	s_and_b32 s0, vcc_lo, s0
	s_delay_alu instid0(SALU_CYCLE_1)
	s_or_not1_b32 s0, s0, exec_lo
.LBB1_216:                              ;   in Loop: Header=BB1_212 Depth=2
	s_or_b32 exec_lo, exec_lo, s6
	s_delay_alu instid0(SALU_CYCLE_1) | instskip(NEXT) | instid1(SALU_CYCLE_1)
	s_and_b32 s0, exec_lo, s0
	s_or_b32 s1, s0, s1
	s_delay_alu instid0(SALU_CYCLE_1)
	s_and_not1_b32 exec_lo, exec_lo, s1
	s_cbranch_execnz .LBB1_212
; %bb.217:                              ;   in Loop: Header=BB1_212 Depth=2
	s_or_b32 exec_lo, exec_lo, s1
	s_wait_loadcnt 0x0
	v_dual_mov_b32 v7, v8 :: v_dual_mov_b32 v1, 0
	s_mov_b32 s1, 0
	s_delay_alu instid0(VALU_DEP_1) | instskip(SKIP_1) | instid1(SALU_CYCLE_1)
	v_cmp_eq_u64_e32 vcc_lo, s[12:13], v[6:7]
	s_or_b32 s14, vcc_lo, s14
	s_and_not1_b32 exec_lo, exec_lo, s14
	s_cbranch_execnz .LBB1_212
; %bb.218:                              ;   in Loop: Header=BB1_1 Depth=1
	s_or_b32 exec_lo, exec_lo, s14
	s_add_co_i32 s6, s2, 31
	s_mov_b32 s14, 0
	s_mul_hi_u32 s0, s6, 0x10624dd3
	s_mov_b32 s15, s12
	s_lshr_b32 s0, s0, 6
	s_mov_b32 s17, s5
	s_mul_i32 s3, s0, 0x3e8
	s_or_b64 s[0:1], s[14:15], s[12:13]
	s_sub_co_i32 s3, s6, s3
	v_lshl_add_u64 v[6:7], s[4:5], 4, v[12:13]
	s_lshl_b32 s16, s3, 12
	v_dual_mov_b32 v2, s0 :: v_dual_mov_b32 v3, s1
	v_add_nc_u64_e32 v[14:15], s[16:17], v[10:11]
	v_dual_mov_b32 v5, s12 :: v_dual_mov_b32 v1, 0
	s_lshl_b32 s4, s3, 8
	s_mov_b32 s7, s5
	s_mov_b32 s1, s14
	global_store_b128 v[6:7], v[2:5], off th:TH_STORE_NT
.LBB1_219:                              ;   Parent Loop BB1_1 Depth=1
                                        ; =>  This Inner Loop Header: Depth=2
	s_wait_loadcnt 0x0
	global_load_b128 v[6:9], v[14:15], off th:TH_LOAD_NT
	v_add_nc_u32_e32 v1, 1, v1
	s_mov_b32 s0, -1
	s_mov_b32 s3, -1
	s_mov_b32 s12, exec_lo
	s_wait_xcnt 0x0
	v_cmpx_eq_u32_e32 0xf4240, v1
	s_cbranch_execz .LBB1_221
; %bb.220:                              ;   in Loop: Header=BB1_219 Depth=2
	s_wait_loadcnt 0x0
	s_wait_storecnt 0x0
	global_load_b32 v1, v4, s[10:11] scope:SCOPE_SYS
	s_wait_loadcnt 0x0
	global_inv scope:SCOPE_SYS
	v_cmp_eq_u32_e32 vcc_lo, 0, v1
	v_mov_b32_e32 v1, 0
	s_or_not1_b32 s3, vcc_lo, exec_lo
.LBB1_221:                              ;   in Loop: Header=BB1_219 Depth=2
	s_wait_xcnt 0x0
	s_or_b32 exec_lo, exec_lo, s12
	s_and_saveexec_b32 s12, s3
	s_cbranch_execz .LBB1_223
; %bb.222:                              ;   in Loop: Header=BB1_219 Depth=2
	s_wait_loadcnt 0x0
	v_cmp_eq_u32_e32 vcc_lo, s6, v7
	v_cmp_eq_u32_e64 s0, s6, v9
	s_and_b32 s0, vcc_lo, s0
	s_delay_alu instid0(SALU_CYCLE_1)
	s_or_not1_b32 s0, s0, exec_lo
.LBB1_223:                              ;   in Loop: Header=BB1_219 Depth=2
	s_or_b32 exec_lo, exec_lo, s12
	s_delay_alu instid0(SALU_CYCLE_1) | instskip(NEXT) | instid1(SALU_CYCLE_1)
	s_and_b32 s0, exec_lo, s0
	s_or_b32 s1, s0, s1
	s_delay_alu instid0(SALU_CYCLE_1)
	s_and_not1_b32 exec_lo, exec_lo, s1
	s_cbranch_execnz .LBB1_219
; %bb.224:                              ;   in Loop: Header=BB1_219 Depth=2
	s_or_b32 exec_lo, exec_lo, s1
	s_wait_loadcnt 0x0
	v_dual_mov_b32 v7, v8 :: v_dual_mov_b32 v1, 0
	s_mov_b32 s1, 0
	s_delay_alu instid0(VALU_DEP_1) | instskip(SKIP_1) | instid1(SALU_CYCLE_1)
	v_cmp_eq_u64_e32 vcc_lo, s[6:7], v[6:7]
	s_or_b32 s14, vcc_lo, s14
	s_and_not1_b32 exec_lo, exec_lo, s14
	s_cbranch_execnz .LBB1_219
; %bb.225:                              ;   in Loop: Header=BB1_1 Depth=1
	s_or_b32 exec_lo, exec_lo, s14
	s_add_co_i32 s12, s2, 32
	s_mov_b32 s14, 0
	s_mul_hi_u32 s0, s12, 0x10624dd3
	s_mov_b32 s15, s6
	s_lshr_b32 s0, s0, 6
	s_mov_b32 s17, s5
	s_mul_i32 s3, s0, 0x3e8
	s_or_b64 s[0:1], s[14:15], s[6:7]
	s_sub_co_i32 s3, s12, s3
	v_lshl_add_u64 v[6:7], s[4:5], 4, v[12:13]
	s_lshl_b32 s16, s3, 12
	v_dual_mov_b32 v2, s0 :: v_dual_mov_b32 v3, s1
	v_add_nc_u64_e32 v[14:15], s[16:17], v[10:11]
	v_dual_mov_b32 v5, s6 :: v_dual_mov_b32 v1, 0
	s_lshl_b32 s4, s3, 8
	s_mov_b32 s13, s5
	s_mov_b32 s1, s14
	global_store_b128 v[6:7], v[2:5], off th:TH_STORE_NT
.LBB1_226:                              ;   Parent Loop BB1_1 Depth=1
                                        ; =>  This Inner Loop Header: Depth=2
	s_wait_loadcnt 0x0
	global_load_b128 v[6:9], v[14:15], off th:TH_LOAD_NT
	v_add_nc_u32_e32 v1, 1, v1
	s_mov_b32 s0, -1
	s_mov_b32 s3, -1
	s_mov_b32 s6, exec_lo
	s_wait_xcnt 0x0
	v_cmpx_eq_u32_e32 0xf4240, v1
	s_cbranch_execz .LBB1_228
; %bb.227:                              ;   in Loop: Header=BB1_226 Depth=2
	s_wait_loadcnt 0x0
	s_wait_storecnt 0x0
	global_load_b32 v1, v4, s[10:11] scope:SCOPE_SYS
	s_wait_loadcnt 0x0
	global_inv scope:SCOPE_SYS
	v_cmp_eq_u32_e32 vcc_lo, 0, v1
	v_mov_b32_e32 v1, 0
	s_or_not1_b32 s3, vcc_lo, exec_lo
.LBB1_228:                              ;   in Loop: Header=BB1_226 Depth=2
	s_wait_xcnt 0x0
	s_or_b32 exec_lo, exec_lo, s6
	s_and_saveexec_b32 s6, s3
	s_cbranch_execz .LBB1_230
; %bb.229:                              ;   in Loop: Header=BB1_226 Depth=2
	s_wait_loadcnt 0x0
	v_cmp_eq_u32_e32 vcc_lo, s12, v7
	v_cmp_eq_u32_e64 s0, s12, v9
	s_and_b32 s0, vcc_lo, s0
	s_delay_alu instid0(SALU_CYCLE_1)
	s_or_not1_b32 s0, s0, exec_lo
.LBB1_230:                              ;   in Loop: Header=BB1_226 Depth=2
	s_or_b32 exec_lo, exec_lo, s6
	s_delay_alu instid0(SALU_CYCLE_1) | instskip(NEXT) | instid1(SALU_CYCLE_1)
	s_and_b32 s0, exec_lo, s0
	s_or_b32 s1, s0, s1
	s_delay_alu instid0(SALU_CYCLE_1)
	s_and_not1_b32 exec_lo, exec_lo, s1
	s_cbranch_execnz .LBB1_226
; %bb.231:                              ;   in Loop: Header=BB1_226 Depth=2
	s_or_b32 exec_lo, exec_lo, s1
	s_wait_loadcnt 0x0
	v_dual_mov_b32 v7, v8 :: v_dual_mov_b32 v1, 0
	s_mov_b32 s1, 0
	s_delay_alu instid0(VALU_DEP_1) | instskip(SKIP_1) | instid1(SALU_CYCLE_1)
	v_cmp_eq_u64_e32 vcc_lo, s[12:13], v[6:7]
	s_or_b32 s14, vcc_lo, s14
	s_and_not1_b32 exec_lo, exec_lo, s14
	s_cbranch_execnz .LBB1_226
; %bb.232:                              ;   in Loop: Header=BB1_1 Depth=1
	s_or_b32 exec_lo, exec_lo, s14
	s_add_co_i32 s6, s2, 33
	s_mov_b32 s14, 0
	s_mul_hi_u32 s0, s6, 0x10624dd3
	s_mov_b32 s15, s12
	s_lshr_b32 s0, s0, 6
	s_mov_b32 s17, s5
	s_mul_i32 s3, s0, 0x3e8
	s_or_b64 s[0:1], s[14:15], s[12:13]
	s_sub_co_i32 s3, s6, s3
	v_lshl_add_u64 v[6:7], s[4:5], 4, v[12:13]
	s_lshl_b32 s16, s3, 12
	v_dual_mov_b32 v2, s0 :: v_dual_mov_b32 v3, s1
	v_add_nc_u64_e32 v[14:15], s[16:17], v[10:11]
	v_dual_mov_b32 v5, s12 :: v_dual_mov_b32 v1, 0
	s_lshl_b32 s4, s3, 8
	s_mov_b32 s7, s5
	s_mov_b32 s1, s14
	global_store_b128 v[6:7], v[2:5], off th:TH_STORE_NT
.LBB1_233:                              ;   Parent Loop BB1_1 Depth=1
                                        ; =>  This Inner Loop Header: Depth=2
	s_wait_loadcnt 0x0
	global_load_b128 v[6:9], v[14:15], off th:TH_LOAD_NT
	v_add_nc_u32_e32 v1, 1, v1
	s_mov_b32 s0, -1
	s_mov_b32 s3, -1
	s_mov_b32 s12, exec_lo
	s_wait_xcnt 0x0
	v_cmpx_eq_u32_e32 0xf4240, v1
	s_cbranch_execz .LBB1_235
; %bb.234:                              ;   in Loop: Header=BB1_233 Depth=2
	s_wait_loadcnt 0x0
	s_wait_storecnt 0x0
	global_load_b32 v1, v4, s[10:11] scope:SCOPE_SYS
	s_wait_loadcnt 0x0
	global_inv scope:SCOPE_SYS
	v_cmp_eq_u32_e32 vcc_lo, 0, v1
	v_mov_b32_e32 v1, 0
	s_or_not1_b32 s3, vcc_lo, exec_lo
.LBB1_235:                              ;   in Loop: Header=BB1_233 Depth=2
	s_wait_xcnt 0x0
	s_or_b32 exec_lo, exec_lo, s12
	s_and_saveexec_b32 s12, s3
	s_cbranch_execz .LBB1_237
; %bb.236:                              ;   in Loop: Header=BB1_233 Depth=2
	s_wait_loadcnt 0x0
	v_cmp_eq_u32_e32 vcc_lo, s6, v7
	v_cmp_eq_u32_e64 s0, s6, v9
	s_and_b32 s0, vcc_lo, s0
	s_delay_alu instid0(SALU_CYCLE_1)
	s_or_not1_b32 s0, s0, exec_lo
.LBB1_237:                              ;   in Loop: Header=BB1_233 Depth=2
	s_or_b32 exec_lo, exec_lo, s12
	s_delay_alu instid0(SALU_CYCLE_1) | instskip(NEXT) | instid1(SALU_CYCLE_1)
	s_and_b32 s0, exec_lo, s0
	s_or_b32 s1, s0, s1
	s_delay_alu instid0(SALU_CYCLE_1)
	s_and_not1_b32 exec_lo, exec_lo, s1
	s_cbranch_execnz .LBB1_233
; %bb.238:                              ;   in Loop: Header=BB1_233 Depth=2
	s_or_b32 exec_lo, exec_lo, s1
	s_wait_loadcnt 0x0
	v_dual_mov_b32 v7, v8 :: v_dual_mov_b32 v1, 0
	s_mov_b32 s1, 0
	s_delay_alu instid0(VALU_DEP_1) | instskip(SKIP_1) | instid1(SALU_CYCLE_1)
	v_cmp_eq_u64_e32 vcc_lo, s[6:7], v[6:7]
	s_or_b32 s14, vcc_lo, s14
	s_and_not1_b32 exec_lo, exec_lo, s14
	s_cbranch_execnz .LBB1_233
; %bb.239:                              ;   in Loop: Header=BB1_1 Depth=1
	s_or_b32 exec_lo, exec_lo, s14
	s_add_co_i32 s12, s2, 34
	s_mov_b32 s14, 0
	s_mul_hi_u32 s0, s12, 0x10624dd3
	s_mov_b32 s15, s6
	s_lshr_b32 s0, s0, 6
	s_mov_b32 s17, s5
	s_mul_i32 s3, s0, 0x3e8
	s_or_b64 s[0:1], s[14:15], s[6:7]
	s_sub_co_i32 s3, s12, s3
	v_lshl_add_u64 v[6:7], s[4:5], 4, v[12:13]
	s_lshl_b32 s16, s3, 12
	v_dual_mov_b32 v2, s0 :: v_dual_mov_b32 v3, s1
	v_add_nc_u64_e32 v[14:15], s[16:17], v[10:11]
	v_dual_mov_b32 v5, s6 :: v_dual_mov_b32 v1, 0
	s_lshl_b32 s4, s3, 8
	s_mov_b32 s13, s5
	s_mov_b32 s1, s14
	global_store_b128 v[6:7], v[2:5], off th:TH_STORE_NT
.LBB1_240:                              ;   Parent Loop BB1_1 Depth=1
                                        ; =>  This Inner Loop Header: Depth=2
	s_wait_loadcnt 0x0
	global_load_b128 v[6:9], v[14:15], off th:TH_LOAD_NT
	v_add_nc_u32_e32 v1, 1, v1
	s_mov_b32 s0, -1
	s_mov_b32 s3, -1
	s_mov_b32 s6, exec_lo
	s_wait_xcnt 0x0
	v_cmpx_eq_u32_e32 0xf4240, v1
	s_cbranch_execz .LBB1_242
; %bb.241:                              ;   in Loop: Header=BB1_240 Depth=2
	s_wait_loadcnt 0x0
	s_wait_storecnt 0x0
	global_load_b32 v1, v4, s[10:11] scope:SCOPE_SYS
	s_wait_loadcnt 0x0
	global_inv scope:SCOPE_SYS
	v_cmp_eq_u32_e32 vcc_lo, 0, v1
	v_mov_b32_e32 v1, 0
	s_or_not1_b32 s3, vcc_lo, exec_lo
.LBB1_242:                              ;   in Loop: Header=BB1_240 Depth=2
	s_wait_xcnt 0x0
	s_or_b32 exec_lo, exec_lo, s6
	s_and_saveexec_b32 s6, s3
	s_cbranch_execz .LBB1_244
; %bb.243:                              ;   in Loop: Header=BB1_240 Depth=2
	s_wait_loadcnt 0x0
	v_cmp_eq_u32_e32 vcc_lo, s12, v7
	v_cmp_eq_u32_e64 s0, s12, v9
	s_and_b32 s0, vcc_lo, s0
	s_delay_alu instid0(SALU_CYCLE_1)
	s_or_not1_b32 s0, s0, exec_lo
.LBB1_244:                              ;   in Loop: Header=BB1_240 Depth=2
	s_or_b32 exec_lo, exec_lo, s6
	s_delay_alu instid0(SALU_CYCLE_1) | instskip(NEXT) | instid1(SALU_CYCLE_1)
	s_and_b32 s0, exec_lo, s0
	s_or_b32 s1, s0, s1
	s_delay_alu instid0(SALU_CYCLE_1)
	s_and_not1_b32 exec_lo, exec_lo, s1
	s_cbranch_execnz .LBB1_240
; %bb.245:                              ;   in Loop: Header=BB1_240 Depth=2
	s_or_b32 exec_lo, exec_lo, s1
	s_wait_loadcnt 0x0
	v_dual_mov_b32 v7, v8 :: v_dual_mov_b32 v1, 0
	s_mov_b32 s1, 0
	s_delay_alu instid0(VALU_DEP_1) | instskip(SKIP_1) | instid1(SALU_CYCLE_1)
	v_cmp_eq_u64_e32 vcc_lo, s[12:13], v[6:7]
	s_or_b32 s14, vcc_lo, s14
	s_and_not1_b32 exec_lo, exec_lo, s14
	s_cbranch_execnz .LBB1_240
; %bb.246:                              ;   in Loop: Header=BB1_1 Depth=1
	s_or_b32 exec_lo, exec_lo, s14
	s_add_co_i32 s6, s2, 35
	s_mov_b32 s14, 0
	s_mul_hi_u32 s0, s6, 0x10624dd3
	s_mov_b32 s15, s12
	s_lshr_b32 s0, s0, 6
	s_mov_b32 s17, s5
	s_mul_i32 s3, s0, 0x3e8
	s_or_b64 s[0:1], s[14:15], s[12:13]
	s_sub_co_i32 s3, s6, s3
	v_lshl_add_u64 v[6:7], s[4:5], 4, v[12:13]
	s_lshl_b32 s16, s3, 12
	v_dual_mov_b32 v2, s0 :: v_dual_mov_b32 v3, s1
	v_add_nc_u64_e32 v[14:15], s[16:17], v[10:11]
	v_dual_mov_b32 v5, s12 :: v_dual_mov_b32 v1, 0
	s_lshl_b32 s4, s3, 8
	s_mov_b32 s7, s5
	s_mov_b32 s1, s14
	global_store_b128 v[6:7], v[2:5], off th:TH_STORE_NT
.LBB1_247:                              ;   Parent Loop BB1_1 Depth=1
                                        ; =>  This Inner Loop Header: Depth=2
	s_wait_loadcnt 0x0
	global_load_b128 v[6:9], v[14:15], off th:TH_LOAD_NT
	v_add_nc_u32_e32 v1, 1, v1
	s_mov_b32 s0, -1
	s_mov_b32 s3, -1
	s_mov_b32 s12, exec_lo
	s_wait_xcnt 0x0
	v_cmpx_eq_u32_e32 0xf4240, v1
	s_cbranch_execz .LBB1_249
; %bb.248:                              ;   in Loop: Header=BB1_247 Depth=2
	s_wait_loadcnt 0x0
	s_wait_storecnt 0x0
	global_load_b32 v1, v4, s[10:11] scope:SCOPE_SYS
	s_wait_loadcnt 0x0
	global_inv scope:SCOPE_SYS
	v_cmp_eq_u32_e32 vcc_lo, 0, v1
	v_mov_b32_e32 v1, 0
	s_or_not1_b32 s3, vcc_lo, exec_lo
.LBB1_249:                              ;   in Loop: Header=BB1_247 Depth=2
	s_wait_xcnt 0x0
	s_or_b32 exec_lo, exec_lo, s12
	s_and_saveexec_b32 s12, s3
	s_cbranch_execz .LBB1_251
; %bb.250:                              ;   in Loop: Header=BB1_247 Depth=2
	s_wait_loadcnt 0x0
	v_cmp_eq_u32_e32 vcc_lo, s6, v7
	v_cmp_eq_u32_e64 s0, s6, v9
	s_and_b32 s0, vcc_lo, s0
	s_delay_alu instid0(SALU_CYCLE_1)
	s_or_not1_b32 s0, s0, exec_lo
.LBB1_251:                              ;   in Loop: Header=BB1_247 Depth=2
	s_or_b32 exec_lo, exec_lo, s12
	s_delay_alu instid0(SALU_CYCLE_1) | instskip(NEXT) | instid1(SALU_CYCLE_1)
	s_and_b32 s0, exec_lo, s0
	s_or_b32 s1, s0, s1
	s_delay_alu instid0(SALU_CYCLE_1)
	s_and_not1_b32 exec_lo, exec_lo, s1
	s_cbranch_execnz .LBB1_247
; %bb.252:                              ;   in Loop: Header=BB1_247 Depth=2
	s_or_b32 exec_lo, exec_lo, s1
	s_wait_loadcnt 0x0
	v_dual_mov_b32 v7, v8 :: v_dual_mov_b32 v1, 0
	s_mov_b32 s1, 0
	s_delay_alu instid0(VALU_DEP_1) | instskip(SKIP_1) | instid1(SALU_CYCLE_1)
	v_cmp_eq_u64_e32 vcc_lo, s[6:7], v[6:7]
	s_or_b32 s14, vcc_lo, s14
	s_and_not1_b32 exec_lo, exec_lo, s14
	s_cbranch_execnz .LBB1_247
; %bb.253:                              ;   in Loop: Header=BB1_1 Depth=1
	s_or_b32 exec_lo, exec_lo, s14
	s_add_co_i32 s12, s2, 36
	s_mov_b32 s14, 0
	s_mul_hi_u32 s0, s12, 0x10624dd3
	s_mov_b32 s15, s6
	s_lshr_b32 s0, s0, 6
	s_mov_b32 s17, s5
	s_mul_i32 s3, s0, 0x3e8
	s_or_b64 s[0:1], s[14:15], s[6:7]
	s_sub_co_i32 s3, s12, s3
	v_lshl_add_u64 v[6:7], s[4:5], 4, v[12:13]
	s_lshl_b32 s16, s3, 12
	v_dual_mov_b32 v2, s0 :: v_dual_mov_b32 v3, s1
	v_add_nc_u64_e32 v[14:15], s[16:17], v[10:11]
	v_dual_mov_b32 v5, s6 :: v_dual_mov_b32 v1, 0
	s_lshl_b32 s4, s3, 8
	s_mov_b32 s13, s5
	s_mov_b32 s1, s14
	global_store_b128 v[6:7], v[2:5], off th:TH_STORE_NT
.LBB1_254:                              ;   Parent Loop BB1_1 Depth=1
                                        ; =>  This Inner Loop Header: Depth=2
	s_wait_loadcnt 0x0
	global_load_b128 v[6:9], v[14:15], off th:TH_LOAD_NT
	v_add_nc_u32_e32 v1, 1, v1
	s_mov_b32 s0, -1
	s_mov_b32 s3, -1
	s_mov_b32 s6, exec_lo
	s_wait_xcnt 0x0
	v_cmpx_eq_u32_e32 0xf4240, v1
	s_cbranch_execz .LBB1_256
; %bb.255:                              ;   in Loop: Header=BB1_254 Depth=2
	s_wait_loadcnt 0x0
	s_wait_storecnt 0x0
	global_load_b32 v1, v4, s[10:11] scope:SCOPE_SYS
	s_wait_loadcnt 0x0
	global_inv scope:SCOPE_SYS
	v_cmp_eq_u32_e32 vcc_lo, 0, v1
	v_mov_b32_e32 v1, 0
	s_or_not1_b32 s3, vcc_lo, exec_lo
.LBB1_256:                              ;   in Loop: Header=BB1_254 Depth=2
	s_wait_xcnt 0x0
	s_or_b32 exec_lo, exec_lo, s6
	s_and_saveexec_b32 s6, s3
	s_cbranch_execz .LBB1_258
; %bb.257:                              ;   in Loop: Header=BB1_254 Depth=2
	s_wait_loadcnt 0x0
	v_cmp_eq_u32_e32 vcc_lo, s12, v7
	v_cmp_eq_u32_e64 s0, s12, v9
	s_and_b32 s0, vcc_lo, s0
	s_delay_alu instid0(SALU_CYCLE_1)
	s_or_not1_b32 s0, s0, exec_lo
.LBB1_258:                              ;   in Loop: Header=BB1_254 Depth=2
	s_or_b32 exec_lo, exec_lo, s6
	s_delay_alu instid0(SALU_CYCLE_1) | instskip(NEXT) | instid1(SALU_CYCLE_1)
	s_and_b32 s0, exec_lo, s0
	s_or_b32 s1, s0, s1
	s_delay_alu instid0(SALU_CYCLE_1)
	s_and_not1_b32 exec_lo, exec_lo, s1
	s_cbranch_execnz .LBB1_254
; %bb.259:                              ;   in Loop: Header=BB1_254 Depth=2
	s_or_b32 exec_lo, exec_lo, s1
	s_wait_loadcnt 0x0
	v_dual_mov_b32 v7, v8 :: v_dual_mov_b32 v1, 0
	s_mov_b32 s1, 0
	s_delay_alu instid0(VALU_DEP_1) | instskip(SKIP_1) | instid1(SALU_CYCLE_1)
	v_cmp_eq_u64_e32 vcc_lo, s[12:13], v[6:7]
	s_or_b32 s14, vcc_lo, s14
	s_and_not1_b32 exec_lo, exec_lo, s14
	s_cbranch_execnz .LBB1_254
; %bb.260:                              ;   in Loop: Header=BB1_1 Depth=1
	s_or_b32 exec_lo, exec_lo, s14
	s_add_co_i32 s6, s2, 37
	s_mov_b32 s14, 0
	s_mul_hi_u32 s0, s6, 0x10624dd3
	s_mov_b32 s15, s12
	s_lshr_b32 s0, s0, 6
	s_mov_b32 s17, s5
	s_mul_i32 s3, s0, 0x3e8
	s_or_b64 s[0:1], s[14:15], s[12:13]
	s_sub_co_i32 s3, s6, s3
	v_lshl_add_u64 v[6:7], s[4:5], 4, v[12:13]
	s_lshl_b32 s16, s3, 12
	v_dual_mov_b32 v2, s0 :: v_dual_mov_b32 v3, s1
	v_add_nc_u64_e32 v[14:15], s[16:17], v[10:11]
	v_dual_mov_b32 v5, s12 :: v_dual_mov_b32 v1, 0
	s_lshl_b32 s4, s3, 8
	s_mov_b32 s7, s5
	s_mov_b32 s1, s14
	global_store_b128 v[6:7], v[2:5], off th:TH_STORE_NT
.LBB1_261:                              ;   Parent Loop BB1_1 Depth=1
                                        ; =>  This Inner Loop Header: Depth=2
	s_wait_loadcnt 0x0
	global_load_b128 v[6:9], v[14:15], off th:TH_LOAD_NT
	v_add_nc_u32_e32 v1, 1, v1
	s_mov_b32 s0, -1
	s_mov_b32 s3, -1
	s_mov_b32 s12, exec_lo
	s_wait_xcnt 0x0
	v_cmpx_eq_u32_e32 0xf4240, v1
	s_cbranch_execz .LBB1_263
; %bb.262:                              ;   in Loop: Header=BB1_261 Depth=2
	s_wait_loadcnt 0x0
	s_wait_storecnt 0x0
	global_load_b32 v1, v4, s[10:11] scope:SCOPE_SYS
	s_wait_loadcnt 0x0
	global_inv scope:SCOPE_SYS
	v_cmp_eq_u32_e32 vcc_lo, 0, v1
	v_mov_b32_e32 v1, 0
	s_or_not1_b32 s3, vcc_lo, exec_lo
.LBB1_263:                              ;   in Loop: Header=BB1_261 Depth=2
	s_wait_xcnt 0x0
	s_or_b32 exec_lo, exec_lo, s12
	s_and_saveexec_b32 s12, s3
	s_cbranch_execz .LBB1_265
; %bb.264:                              ;   in Loop: Header=BB1_261 Depth=2
	s_wait_loadcnt 0x0
	v_cmp_eq_u32_e32 vcc_lo, s6, v7
	v_cmp_eq_u32_e64 s0, s6, v9
	s_and_b32 s0, vcc_lo, s0
	s_delay_alu instid0(SALU_CYCLE_1)
	s_or_not1_b32 s0, s0, exec_lo
.LBB1_265:                              ;   in Loop: Header=BB1_261 Depth=2
	s_or_b32 exec_lo, exec_lo, s12
	s_delay_alu instid0(SALU_CYCLE_1) | instskip(NEXT) | instid1(SALU_CYCLE_1)
	s_and_b32 s0, exec_lo, s0
	s_or_b32 s1, s0, s1
	s_delay_alu instid0(SALU_CYCLE_1)
	s_and_not1_b32 exec_lo, exec_lo, s1
	s_cbranch_execnz .LBB1_261
; %bb.266:                              ;   in Loop: Header=BB1_261 Depth=2
	s_or_b32 exec_lo, exec_lo, s1
	s_wait_loadcnt 0x0
	v_dual_mov_b32 v7, v8 :: v_dual_mov_b32 v1, 0
	s_mov_b32 s1, 0
	s_delay_alu instid0(VALU_DEP_1) | instskip(SKIP_1) | instid1(SALU_CYCLE_1)
	v_cmp_eq_u64_e32 vcc_lo, s[6:7], v[6:7]
	s_or_b32 s14, vcc_lo, s14
	s_and_not1_b32 exec_lo, exec_lo, s14
	s_cbranch_execnz .LBB1_261
; %bb.267:                              ;   in Loop: Header=BB1_1 Depth=1
	s_or_b32 exec_lo, exec_lo, s14
	s_add_co_i32 s12, s2, 38
	s_mov_b32 s14, 0
	s_mul_hi_u32 s0, s12, 0x10624dd3
	s_mov_b32 s15, s6
	s_lshr_b32 s0, s0, 6
	s_mov_b32 s17, s5
	s_mul_i32 s3, s0, 0x3e8
	s_or_b64 s[0:1], s[14:15], s[6:7]
	s_sub_co_i32 s3, s12, s3
	v_lshl_add_u64 v[6:7], s[4:5], 4, v[12:13]
	s_lshl_b32 s16, s3, 12
	v_dual_mov_b32 v2, s0 :: v_dual_mov_b32 v3, s1
	v_add_nc_u64_e32 v[14:15], s[16:17], v[10:11]
	v_dual_mov_b32 v5, s6 :: v_dual_mov_b32 v1, 0
	s_lshl_b32 s4, s3, 8
	s_mov_b32 s13, s5
	s_mov_b32 s1, s14
	global_store_b128 v[6:7], v[2:5], off th:TH_STORE_NT
.LBB1_268:                              ;   Parent Loop BB1_1 Depth=1
                                        ; =>  This Inner Loop Header: Depth=2
	s_wait_loadcnt 0x0
	global_load_b128 v[6:9], v[14:15], off th:TH_LOAD_NT
	v_add_nc_u32_e32 v1, 1, v1
	s_mov_b32 s0, -1
	s_mov_b32 s3, -1
	s_mov_b32 s6, exec_lo
	s_wait_xcnt 0x0
	v_cmpx_eq_u32_e32 0xf4240, v1
	s_cbranch_execz .LBB1_270
; %bb.269:                              ;   in Loop: Header=BB1_268 Depth=2
	s_wait_loadcnt 0x0
	s_wait_storecnt 0x0
	global_load_b32 v1, v4, s[10:11] scope:SCOPE_SYS
	s_wait_loadcnt 0x0
	global_inv scope:SCOPE_SYS
	v_cmp_eq_u32_e32 vcc_lo, 0, v1
	v_mov_b32_e32 v1, 0
	s_or_not1_b32 s3, vcc_lo, exec_lo
.LBB1_270:                              ;   in Loop: Header=BB1_268 Depth=2
	s_wait_xcnt 0x0
	s_or_b32 exec_lo, exec_lo, s6
	s_and_saveexec_b32 s6, s3
	s_cbranch_execz .LBB1_272
; %bb.271:                              ;   in Loop: Header=BB1_268 Depth=2
	s_wait_loadcnt 0x0
	v_cmp_eq_u32_e32 vcc_lo, s12, v7
	v_cmp_eq_u32_e64 s0, s12, v9
	s_and_b32 s0, vcc_lo, s0
	s_delay_alu instid0(SALU_CYCLE_1)
	s_or_not1_b32 s0, s0, exec_lo
.LBB1_272:                              ;   in Loop: Header=BB1_268 Depth=2
	s_or_b32 exec_lo, exec_lo, s6
	s_delay_alu instid0(SALU_CYCLE_1) | instskip(NEXT) | instid1(SALU_CYCLE_1)
	s_and_b32 s0, exec_lo, s0
	s_or_b32 s1, s0, s1
	s_delay_alu instid0(SALU_CYCLE_1)
	s_and_not1_b32 exec_lo, exec_lo, s1
	s_cbranch_execnz .LBB1_268
; %bb.273:                              ;   in Loop: Header=BB1_268 Depth=2
	s_or_b32 exec_lo, exec_lo, s1
	s_wait_loadcnt 0x0
	v_dual_mov_b32 v7, v8 :: v_dual_mov_b32 v1, 0
	s_mov_b32 s1, 0
	s_delay_alu instid0(VALU_DEP_1) | instskip(SKIP_1) | instid1(SALU_CYCLE_1)
	v_cmp_eq_u64_e32 vcc_lo, s[12:13], v[6:7]
	s_or_b32 s14, vcc_lo, s14
	s_and_not1_b32 exec_lo, exec_lo, s14
	s_cbranch_execnz .LBB1_268
; %bb.274:                              ;   in Loop: Header=BB1_1 Depth=1
	s_or_b32 exec_lo, exec_lo, s14
	s_add_co_i32 s6, s2, 39
	s_mov_b32 s14, 0
	s_mul_hi_u32 s0, s6, 0x10624dd3
	s_mov_b32 s15, s12
	s_lshr_b32 s0, s0, 6
	s_mov_b32 s17, s5
	s_mul_i32 s3, s0, 0x3e8
	s_or_b64 s[0:1], s[14:15], s[12:13]
	s_sub_co_i32 s3, s6, s3
	v_lshl_add_u64 v[6:7], s[4:5], 4, v[12:13]
	s_lshl_b32 s16, s3, 12
	v_dual_mov_b32 v2, s0 :: v_dual_mov_b32 v3, s1
	v_add_nc_u64_e32 v[14:15], s[16:17], v[10:11]
	v_dual_mov_b32 v5, s12 :: v_dual_mov_b32 v1, 0
	s_lshl_b32 s4, s3, 8
	s_mov_b32 s7, s5
	s_mov_b32 s1, s14
	global_store_b128 v[6:7], v[2:5], off th:TH_STORE_NT
.LBB1_275:                              ;   Parent Loop BB1_1 Depth=1
                                        ; =>  This Inner Loop Header: Depth=2
	s_wait_loadcnt 0x0
	global_load_b128 v[6:9], v[14:15], off th:TH_LOAD_NT
	v_add_nc_u32_e32 v1, 1, v1
	s_mov_b32 s0, -1
	s_mov_b32 s3, -1
	s_mov_b32 s12, exec_lo
	s_wait_xcnt 0x0
	v_cmpx_eq_u32_e32 0xf4240, v1
	s_cbranch_execz .LBB1_277
; %bb.276:                              ;   in Loop: Header=BB1_275 Depth=2
	s_wait_loadcnt 0x0
	s_wait_storecnt 0x0
	global_load_b32 v1, v4, s[10:11] scope:SCOPE_SYS
	s_wait_loadcnt 0x0
	global_inv scope:SCOPE_SYS
	v_cmp_eq_u32_e32 vcc_lo, 0, v1
	v_mov_b32_e32 v1, 0
	s_or_not1_b32 s3, vcc_lo, exec_lo
.LBB1_277:                              ;   in Loop: Header=BB1_275 Depth=2
	s_wait_xcnt 0x0
	s_or_b32 exec_lo, exec_lo, s12
	s_and_saveexec_b32 s12, s3
	s_cbranch_execz .LBB1_279
; %bb.278:                              ;   in Loop: Header=BB1_275 Depth=2
	s_wait_loadcnt 0x0
	v_cmp_eq_u32_e32 vcc_lo, s6, v7
	v_cmp_eq_u32_e64 s0, s6, v9
	s_and_b32 s0, vcc_lo, s0
	s_delay_alu instid0(SALU_CYCLE_1)
	s_or_not1_b32 s0, s0, exec_lo
.LBB1_279:                              ;   in Loop: Header=BB1_275 Depth=2
	s_or_b32 exec_lo, exec_lo, s12
	s_delay_alu instid0(SALU_CYCLE_1) | instskip(NEXT) | instid1(SALU_CYCLE_1)
	s_and_b32 s0, exec_lo, s0
	s_or_b32 s1, s0, s1
	s_delay_alu instid0(SALU_CYCLE_1)
	s_and_not1_b32 exec_lo, exec_lo, s1
	s_cbranch_execnz .LBB1_275
; %bb.280:                              ;   in Loop: Header=BB1_275 Depth=2
	s_or_b32 exec_lo, exec_lo, s1
	s_wait_loadcnt 0x0
	v_dual_mov_b32 v7, v8 :: v_dual_mov_b32 v1, 0
	s_mov_b32 s1, 0
	s_delay_alu instid0(VALU_DEP_1) | instskip(SKIP_1) | instid1(SALU_CYCLE_1)
	v_cmp_eq_u64_e32 vcc_lo, s[6:7], v[6:7]
	s_or_b32 s14, vcc_lo, s14
	s_and_not1_b32 exec_lo, exec_lo, s14
	s_cbranch_execnz .LBB1_275
; %bb.281:                              ;   in Loop: Header=BB1_1 Depth=1
	s_or_b32 exec_lo, exec_lo, s14
	s_add_co_i32 s12, s2, 40
	s_mov_b32 s14, 0
	s_mul_hi_u32 s0, s12, 0x10624dd3
	s_mov_b32 s15, s6
	s_lshr_b32 s0, s0, 6
	s_mov_b32 s17, s5
	s_mul_i32 s3, s0, 0x3e8
	s_or_b64 s[0:1], s[14:15], s[6:7]
	s_sub_co_i32 s3, s12, s3
	v_lshl_add_u64 v[6:7], s[4:5], 4, v[12:13]
	s_lshl_b32 s16, s3, 12
	v_dual_mov_b32 v2, s0 :: v_dual_mov_b32 v3, s1
	v_add_nc_u64_e32 v[14:15], s[16:17], v[10:11]
	v_dual_mov_b32 v5, s6 :: v_dual_mov_b32 v1, 0
	s_lshl_b32 s4, s3, 8
	s_mov_b32 s13, s5
	s_mov_b32 s1, s14
	global_store_b128 v[6:7], v[2:5], off th:TH_STORE_NT
.LBB1_282:                              ;   Parent Loop BB1_1 Depth=1
                                        ; =>  This Inner Loop Header: Depth=2
	s_wait_loadcnt 0x0
	global_load_b128 v[6:9], v[14:15], off th:TH_LOAD_NT
	v_add_nc_u32_e32 v1, 1, v1
	s_mov_b32 s0, -1
	s_mov_b32 s3, -1
	s_mov_b32 s6, exec_lo
	s_wait_xcnt 0x0
	v_cmpx_eq_u32_e32 0xf4240, v1
	s_cbranch_execz .LBB1_284
; %bb.283:                              ;   in Loop: Header=BB1_282 Depth=2
	s_wait_loadcnt 0x0
	s_wait_storecnt 0x0
	global_load_b32 v1, v4, s[10:11] scope:SCOPE_SYS
	s_wait_loadcnt 0x0
	global_inv scope:SCOPE_SYS
	v_cmp_eq_u32_e32 vcc_lo, 0, v1
	v_mov_b32_e32 v1, 0
	s_or_not1_b32 s3, vcc_lo, exec_lo
.LBB1_284:                              ;   in Loop: Header=BB1_282 Depth=2
	s_wait_xcnt 0x0
	s_or_b32 exec_lo, exec_lo, s6
	s_and_saveexec_b32 s6, s3
	s_cbranch_execz .LBB1_286
; %bb.285:                              ;   in Loop: Header=BB1_282 Depth=2
	s_wait_loadcnt 0x0
	v_cmp_eq_u32_e32 vcc_lo, s12, v7
	v_cmp_eq_u32_e64 s0, s12, v9
	s_and_b32 s0, vcc_lo, s0
	s_delay_alu instid0(SALU_CYCLE_1)
	s_or_not1_b32 s0, s0, exec_lo
.LBB1_286:                              ;   in Loop: Header=BB1_282 Depth=2
	s_or_b32 exec_lo, exec_lo, s6
	s_delay_alu instid0(SALU_CYCLE_1) | instskip(NEXT) | instid1(SALU_CYCLE_1)
	s_and_b32 s0, exec_lo, s0
	s_or_b32 s1, s0, s1
	s_delay_alu instid0(SALU_CYCLE_1)
	s_and_not1_b32 exec_lo, exec_lo, s1
	s_cbranch_execnz .LBB1_282
; %bb.287:                              ;   in Loop: Header=BB1_282 Depth=2
	s_or_b32 exec_lo, exec_lo, s1
	s_wait_loadcnt 0x0
	v_dual_mov_b32 v7, v8 :: v_dual_mov_b32 v1, 0
	s_mov_b32 s1, 0
	s_delay_alu instid0(VALU_DEP_1) | instskip(SKIP_1) | instid1(SALU_CYCLE_1)
	v_cmp_eq_u64_e32 vcc_lo, s[12:13], v[6:7]
	s_or_b32 s14, vcc_lo, s14
	s_and_not1_b32 exec_lo, exec_lo, s14
	s_cbranch_execnz .LBB1_282
; %bb.288:                              ;   in Loop: Header=BB1_1 Depth=1
	s_or_b32 exec_lo, exec_lo, s14
	s_add_co_i32 s6, s2, 41
	s_mov_b32 s14, 0
	s_mul_hi_u32 s0, s6, 0x10624dd3
	s_mov_b32 s15, s12
	s_lshr_b32 s0, s0, 6
	s_mov_b32 s17, s5
	s_mul_i32 s3, s0, 0x3e8
	s_or_b64 s[0:1], s[14:15], s[12:13]
	s_sub_co_i32 s3, s6, s3
	v_lshl_add_u64 v[6:7], s[4:5], 4, v[12:13]
	s_lshl_b32 s16, s3, 12
	v_dual_mov_b32 v2, s0 :: v_dual_mov_b32 v3, s1
	v_add_nc_u64_e32 v[14:15], s[16:17], v[10:11]
	v_dual_mov_b32 v5, s12 :: v_dual_mov_b32 v1, 0
	s_lshl_b32 s4, s3, 8
	s_mov_b32 s7, s5
	s_mov_b32 s1, s14
	global_store_b128 v[6:7], v[2:5], off th:TH_STORE_NT
.LBB1_289:                              ;   Parent Loop BB1_1 Depth=1
                                        ; =>  This Inner Loop Header: Depth=2
	s_wait_loadcnt 0x0
	global_load_b128 v[6:9], v[14:15], off th:TH_LOAD_NT
	v_add_nc_u32_e32 v1, 1, v1
	s_mov_b32 s0, -1
	s_mov_b32 s3, -1
	s_mov_b32 s12, exec_lo
	s_wait_xcnt 0x0
	v_cmpx_eq_u32_e32 0xf4240, v1
	s_cbranch_execz .LBB1_291
; %bb.290:                              ;   in Loop: Header=BB1_289 Depth=2
	s_wait_loadcnt 0x0
	s_wait_storecnt 0x0
	global_load_b32 v1, v4, s[10:11] scope:SCOPE_SYS
	s_wait_loadcnt 0x0
	global_inv scope:SCOPE_SYS
	v_cmp_eq_u32_e32 vcc_lo, 0, v1
	v_mov_b32_e32 v1, 0
	s_or_not1_b32 s3, vcc_lo, exec_lo
.LBB1_291:                              ;   in Loop: Header=BB1_289 Depth=2
	s_wait_xcnt 0x0
	s_or_b32 exec_lo, exec_lo, s12
	s_and_saveexec_b32 s12, s3
	s_cbranch_execz .LBB1_293
; %bb.292:                              ;   in Loop: Header=BB1_289 Depth=2
	s_wait_loadcnt 0x0
	v_cmp_eq_u32_e32 vcc_lo, s6, v7
	v_cmp_eq_u32_e64 s0, s6, v9
	s_and_b32 s0, vcc_lo, s0
	s_delay_alu instid0(SALU_CYCLE_1)
	s_or_not1_b32 s0, s0, exec_lo
.LBB1_293:                              ;   in Loop: Header=BB1_289 Depth=2
	s_or_b32 exec_lo, exec_lo, s12
	s_delay_alu instid0(SALU_CYCLE_1) | instskip(NEXT) | instid1(SALU_CYCLE_1)
	s_and_b32 s0, exec_lo, s0
	s_or_b32 s1, s0, s1
	s_delay_alu instid0(SALU_CYCLE_1)
	s_and_not1_b32 exec_lo, exec_lo, s1
	s_cbranch_execnz .LBB1_289
; %bb.294:                              ;   in Loop: Header=BB1_289 Depth=2
	s_or_b32 exec_lo, exec_lo, s1
	s_wait_loadcnt 0x0
	v_dual_mov_b32 v7, v8 :: v_dual_mov_b32 v1, 0
	s_mov_b32 s1, 0
	s_delay_alu instid0(VALU_DEP_1) | instskip(SKIP_1) | instid1(SALU_CYCLE_1)
	v_cmp_eq_u64_e32 vcc_lo, s[6:7], v[6:7]
	s_or_b32 s14, vcc_lo, s14
	s_and_not1_b32 exec_lo, exec_lo, s14
	s_cbranch_execnz .LBB1_289
; %bb.295:                              ;   in Loop: Header=BB1_1 Depth=1
	s_or_b32 exec_lo, exec_lo, s14
	s_add_co_i32 s12, s2, 42
	s_mov_b32 s14, 0
	s_mul_hi_u32 s0, s12, 0x10624dd3
	s_mov_b32 s15, s6
	s_lshr_b32 s0, s0, 6
	s_mov_b32 s17, s5
	s_mul_i32 s3, s0, 0x3e8
	s_or_b64 s[0:1], s[14:15], s[6:7]
	s_sub_co_i32 s3, s12, s3
	v_lshl_add_u64 v[6:7], s[4:5], 4, v[12:13]
	s_lshl_b32 s16, s3, 12
	v_dual_mov_b32 v2, s0 :: v_dual_mov_b32 v3, s1
	v_add_nc_u64_e32 v[14:15], s[16:17], v[10:11]
	v_dual_mov_b32 v5, s6 :: v_dual_mov_b32 v1, 0
	s_lshl_b32 s4, s3, 8
	s_mov_b32 s13, s5
	s_mov_b32 s1, s14
	global_store_b128 v[6:7], v[2:5], off th:TH_STORE_NT
.LBB1_296:                              ;   Parent Loop BB1_1 Depth=1
                                        ; =>  This Inner Loop Header: Depth=2
	s_wait_loadcnt 0x0
	global_load_b128 v[6:9], v[14:15], off th:TH_LOAD_NT
	v_add_nc_u32_e32 v1, 1, v1
	s_mov_b32 s0, -1
	s_mov_b32 s3, -1
	s_mov_b32 s6, exec_lo
	s_wait_xcnt 0x0
	v_cmpx_eq_u32_e32 0xf4240, v1
	s_cbranch_execz .LBB1_298
; %bb.297:                              ;   in Loop: Header=BB1_296 Depth=2
	s_wait_loadcnt 0x0
	s_wait_storecnt 0x0
	global_load_b32 v1, v4, s[10:11] scope:SCOPE_SYS
	s_wait_loadcnt 0x0
	global_inv scope:SCOPE_SYS
	v_cmp_eq_u32_e32 vcc_lo, 0, v1
	v_mov_b32_e32 v1, 0
	s_or_not1_b32 s3, vcc_lo, exec_lo
.LBB1_298:                              ;   in Loop: Header=BB1_296 Depth=2
	s_wait_xcnt 0x0
	s_or_b32 exec_lo, exec_lo, s6
	s_and_saveexec_b32 s6, s3
	s_cbranch_execz .LBB1_300
; %bb.299:                              ;   in Loop: Header=BB1_296 Depth=2
	s_wait_loadcnt 0x0
	v_cmp_eq_u32_e32 vcc_lo, s12, v7
	v_cmp_eq_u32_e64 s0, s12, v9
	s_and_b32 s0, vcc_lo, s0
	s_delay_alu instid0(SALU_CYCLE_1)
	s_or_not1_b32 s0, s0, exec_lo
.LBB1_300:                              ;   in Loop: Header=BB1_296 Depth=2
	s_or_b32 exec_lo, exec_lo, s6
	s_delay_alu instid0(SALU_CYCLE_1) | instskip(NEXT) | instid1(SALU_CYCLE_1)
	s_and_b32 s0, exec_lo, s0
	s_or_b32 s1, s0, s1
	s_delay_alu instid0(SALU_CYCLE_1)
	s_and_not1_b32 exec_lo, exec_lo, s1
	s_cbranch_execnz .LBB1_296
; %bb.301:                              ;   in Loop: Header=BB1_296 Depth=2
	s_or_b32 exec_lo, exec_lo, s1
	s_wait_loadcnt 0x0
	v_dual_mov_b32 v7, v8 :: v_dual_mov_b32 v1, 0
	s_mov_b32 s1, 0
	s_delay_alu instid0(VALU_DEP_1) | instskip(SKIP_1) | instid1(SALU_CYCLE_1)
	v_cmp_eq_u64_e32 vcc_lo, s[12:13], v[6:7]
	s_or_b32 s14, vcc_lo, s14
	s_and_not1_b32 exec_lo, exec_lo, s14
	s_cbranch_execnz .LBB1_296
; %bb.302:                              ;   in Loop: Header=BB1_1 Depth=1
	s_or_b32 exec_lo, exec_lo, s14
	s_add_co_i32 s6, s2, 43
	s_mov_b32 s14, 0
	s_mul_hi_u32 s0, s6, 0x10624dd3
	s_mov_b32 s15, s12
	s_lshr_b32 s0, s0, 6
	s_mov_b32 s17, s5
	s_mul_i32 s3, s0, 0x3e8
	s_or_b64 s[0:1], s[14:15], s[12:13]
	s_sub_co_i32 s3, s6, s3
	v_lshl_add_u64 v[6:7], s[4:5], 4, v[12:13]
	s_lshl_b32 s16, s3, 12
	v_dual_mov_b32 v2, s0 :: v_dual_mov_b32 v3, s1
	v_add_nc_u64_e32 v[14:15], s[16:17], v[10:11]
	v_dual_mov_b32 v5, s12 :: v_dual_mov_b32 v1, 0
	s_lshl_b32 s4, s3, 8
	s_mov_b32 s7, s5
	s_mov_b32 s1, s14
	global_store_b128 v[6:7], v[2:5], off th:TH_STORE_NT
.LBB1_303:                              ;   Parent Loop BB1_1 Depth=1
                                        ; =>  This Inner Loop Header: Depth=2
	s_wait_loadcnt 0x0
	global_load_b128 v[6:9], v[14:15], off th:TH_LOAD_NT
	v_add_nc_u32_e32 v1, 1, v1
	s_mov_b32 s0, -1
	s_mov_b32 s3, -1
	s_mov_b32 s12, exec_lo
	s_wait_xcnt 0x0
	v_cmpx_eq_u32_e32 0xf4240, v1
	s_cbranch_execz .LBB1_305
; %bb.304:                              ;   in Loop: Header=BB1_303 Depth=2
	s_wait_loadcnt 0x0
	s_wait_storecnt 0x0
	global_load_b32 v1, v4, s[10:11] scope:SCOPE_SYS
	s_wait_loadcnt 0x0
	global_inv scope:SCOPE_SYS
	v_cmp_eq_u32_e32 vcc_lo, 0, v1
	v_mov_b32_e32 v1, 0
	s_or_not1_b32 s3, vcc_lo, exec_lo
.LBB1_305:                              ;   in Loop: Header=BB1_303 Depth=2
	s_wait_xcnt 0x0
	s_or_b32 exec_lo, exec_lo, s12
	s_and_saveexec_b32 s12, s3
	s_cbranch_execz .LBB1_307
; %bb.306:                              ;   in Loop: Header=BB1_303 Depth=2
	s_wait_loadcnt 0x0
	v_cmp_eq_u32_e32 vcc_lo, s6, v7
	v_cmp_eq_u32_e64 s0, s6, v9
	s_and_b32 s0, vcc_lo, s0
	s_delay_alu instid0(SALU_CYCLE_1)
	s_or_not1_b32 s0, s0, exec_lo
.LBB1_307:                              ;   in Loop: Header=BB1_303 Depth=2
	s_or_b32 exec_lo, exec_lo, s12
	s_delay_alu instid0(SALU_CYCLE_1) | instskip(NEXT) | instid1(SALU_CYCLE_1)
	s_and_b32 s0, exec_lo, s0
	s_or_b32 s1, s0, s1
	s_delay_alu instid0(SALU_CYCLE_1)
	s_and_not1_b32 exec_lo, exec_lo, s1
	s_cbranch_execnz .LBB1_303
; %bb.308:                              ;   in Loop: Header=BB1_303 Depth=2
	s_or_b32 exec_lo, exec_lo, s1
	s_wait_loadcnt 0x0
	v_dual_mov_b32 v7, v8 :: v_dual_mov_b32 v1, 0
	s_mov_b32 s1, 0
	s_delay_alu instid0(VALU_DEP_1) | instskip(SKIP_1) | instid1(SALU_CYCLE_1)
	v_cmp_eq_u64_e32 vcc_lo, s[6:7], v[6:7]
	s_or_b32 s14, vcc_lo, s14
	s_and_not1_b32 exec_lo, exec_lo, s14
	s_cbranch_execnz .LBB1_303
; %bb.309:                              ;   in Loop: Header=BB1_1 Depth=1
	s_or_b32 exec_lo, exec_lo, s14
	s_add_co_i32 s12, s2, 44
	s_mov_b32 s14, 0
	s_mul_hi_u32 s0, s12, 0x10624dd3
	s_mov_b32 s15, s6
	s_lshr_b32 s0, s0, 6
	s_mov_b32 s17, s5
	s_mul_i32 s3, s0, 0x3e8
	s_or_b64 s[0:1], s[14:15], s[6:7]
	s_sub_co_i32 s3, s12, s3
	v_lshl_add_u64 v[6:7], s[4:5], 4, v[12:13]
	s_lshl_b32 s16, s3, 12
	v_dual_mov_b32 v2, s0 :: v_dual_mov_b32 v3, s1
	v_add_nc_u64_e32 v[14:15], s[16:17], v[10:11]
	v_dual_mov_b32 v5, s6 :: v_dual_mov_b32 v1, 0
	s_lshl_b32 s4, s3, 8
	s_mov_b32 s13, s5
	s_mov_b32 s1, s14
	global_store_b128 v[6:7], v[2:5], off th:TH_STORE_NT
.LBB1_310:                              ;   Parent Loop BB1_1 Depth=1
                                        ; =>  This Inner Loop Header: Depth=2
	s_wait_loadcnt 0x0
	global_load_b128 v[6:9], v[14:15], off th:TH_LOAD_NT
	v_add_nc_u32_e32 v1, 1, v1
	s_mov_b32 s0, -1
	s_mov_b32 s3, -1
	s_mov_b32 s6, exec_lo
	s_wait_xcnt 0x0
	v_cmpx_eq_u32_e32 0xf4240, v1
	s_cbranch_execz .LBB1_312
; %bb.311:                              ;   in Loop: Header=BB1_310 Depth=2
	s_wait_loadcnt 0x0
	s_wait_storecnt 0x0
	global_load_b32 v1, v4, s[10:11] scope:SCOPE_SYS
	s_wait_loadcnt 0x0
	global_inv scope:SCOPE_SYS
	v_cmp_eq_u32_e32 vcc_lo, 0, v1
	v_mov_b32_e32 v1, 0
	s_or_not1_b32 s3, vcc_lo, exec_lo
.LBB1_312:                              ;   in Loop: Header=BB1_310 Depth=2
	s_wait_xcnt 0x0
	s_or_b32 exec_lo, exec_lo, s6
	s_and_saveexec_b32 s6, s3
	s_cbranch_execz .LBB1_314
; %bb.313:                              ;   in Loop: Header=BB1_310 Depth=2
	s_wait_loadcnt 0x0
	v_cmp_eq_u32_e32 vcc_lo, s12, v7
	v_cmp_eq_u32_e64 s0, s12, v9
	s_and_b32 s0, vcc_lo, s0
	s_delay_alu instid0(SALU_CYCLE_1)
	s_or_not1_b32 s0, s0, exec_lo
.LBB1_314:                              ;   in Loop: Header=BB1_310 Depth=2
	s_or_b32 exec_lo, exec_lo, s6
	s_delay_alu instid0(SALU_CYCLE_1) | instskip(NEXT) | instid1(SALU_CYCLE_1)
	s_and_b32 s0, exec_lo, s0
	s_or_b32 s1, s0, s1
	s_delay_alu instid0(SALU_CYCLE_1)
	s_and_not1_b32 exec_lo, exec_lo, s1
	s_cbranch_execnz .LBB1_310
; %bb.315:                              ;   in Loop: Header=BB1_310 Depth=2
	s_or_b32 exec_lo, exec_lo, s1
	s_wait_loadcnt 0x0
	v_dual_mov_b32 v7, v8 :: v_dual_mov_b32 v1, 0
	s_mov_b32 s1, 0
	s_delay_alu instid0(VALU_DEP_1) | instskip(SKIP_1) | instid1(SALU_CYCLE_1)
	v_cmp_eq_u64_e32 vcc_lo, s[12:13], v[6:7]
	s_or_b32 s14, vcc_lo, s14
	s_and_not1_b32 exec_lo, exec_lo, s14
	s_cbranch_execnz .LBB1_310
; %bb.316:                              ;   in Loop: Header=BB1_1 Depth=1
	s_or_b32 exec_lo, exec_lo, s14
	s_add_co_i32 s6, s2, 45
	s_mov_b32 s14, 0
	s_mul_hi_u32 s0, s6, 0x10624dd3
	s_mov_b32 s15, s12
	s_lshr_b32 s0, s0, 6
	s_mov_b32 s17, s5
	s_mul_i32 s3, s0, 0x3e8
	s_or_b64 s[0:1], s[14:15], s[12:13]
	s_sub_co_i32 s3, s6, s3
	v_lshl_add_u64 v[6:7], s[4:5], 4, v[12:13]
	s_lshl_b32 s16, s3, 12
	v_dual_mov_b32 v2, s0 :: v_dual_mov_b32 v3, s1
	v_add_nc_u64_e32 v[14:15], s[16:17], v[10:11]
	v_dual_mov_b32 v5, s12 :: v_dual_mov_b32 v1, 0
	s_lshl_b32 s4, s3, 8
	s_mov_b32 s7, s5
	s_mov_b32 s1, s14
	global_store_b128 v[6:7], v[2:5], off th:TH_STORE_NT
.LBB1_317:                              ;   Parent Loop BB1_1 Depth=1
                                        ; =>  This Inner Loop Header: Depth=2
	s_wait_loadcnt 0x0
	global_load_b128 v[6:9], v[14:15], off th:TH_LOAD_NT
	v_add_nc_u32_e32 v1, 1, v1
	s_mov_b32 s0, -1
	s_mov_b32 s3, -1
	s_mov_b32 s12, exec_lo
	s_wait_xcnt 0x0
	v_cmpx_eq_u32_e32 0xf4240, v1
	s_cbranch_execz .LBB1_319
; %bb.318:                              ;   in Loop: Header=BB1_317 Depth=2
	s_wait_loadcnt 0x0
	s_wait_storecnt 0x0
	global_load_b32 v1, v4, s[10:11] scope:SCOPE_SYS
	s_wait_loadcnt 0x0
	global_inv scope:SCOPE_SYS
	v_cmp_eq_u32_e32 vcc_lo, 0, v1
	v_mov_b32_e32 v1, 0
	s_or_not1_b32 s3, vcc_lo, exec_lo
.LBB1_319:                              ;   in Loop: Header=BB1_317 Depth=2
	s_wait_xcnt 0x0
	s_or_b32 exec_lo, exec_lo, s12
	s_and_saveexec_b32 s12, s3
	s_cbranch_execz .LBB1_321
; %bb.320:                              ;   in Loop: Header=BB1_317 Depth=2
	s_wait_loadcnt 0x0
	v_cmp_eq_u32_e32 vcc_lo, s6, v7
	v_cmp_eq_u32_e64 s0, s6, v9
	s_and_b32 s0, vcc_lo, s0
	s_delay_alu instid0(SALU_CYCLE_1)
	s_or_not1_b32 s0, s0, exec_lo
.LBB1_321:                              ;   in Loop: Header=BB1_317 Depth=2
	s_or_b32 exec_lo, exec_lo, s12
	s_delay_alu instid0(SALU_CYCLE_1) | instskip(NEXT) | instid1(SALU_CYCLE_1)
	s_and_b32 s0, exec_lo, s0
	s_or_b32 s1, s0, s1
	s_delay_alu instid0(SALU_CYCLE_1)
	s_and_not1_b32 exec_lo, exec_lo, s1
	s_cbranch_execnz .LBB1_317
; %bb.322:                              ;   in Loop: Header=BB1_317 Depth=2
	s_or_b32 exec_lo, exec_lo, s1
	s_wait_loadcnt 0x0
	v_dual_mov_b32 v7, v8 :: v_dual_mov_b32 v1, 0
	s_mov_b32 s1, 0
	s_delay_alu instid0(VALU_DEP_1) | instskip(SKIP_1) | instid1(SALU_CYCLE_1)
	v_cmp_eq_u64_e32 vcc_lo, s[6:7], v[6:7]
	s_or_b32 s14, vcc_lo, s14
	s_and_not1_b32 exec_lo, exec_lo, s14
	s_cbranch_execnz .LBB1_317
; %bb.323:                              ;   in Loop: Header=BB1_1 Depth=1
	s_or_b32 exec_lo, exec_lo, s14
	s_add_co_i32 s12, s2, 46
	s_mov_b32 s14, 0
	s_mul_hi_u32 s0, s12, 0x10624dd3
	s_mov_b32 s15, s6
	s_lshr_b32 s0, s0, 6
	s_mov_b32 s17, s5
	s_mul_i32 s3, s0, 0x3e8
	s_or_b64 s[0:1], s[14:15], s[6:7]
	s_sub_co_i32 s3, s12, s3
	v_lshl_add_u64 v[6:7], s[4:5], 4, v[12:13]
	s_lshl_b32 s16, s3, 12
	v_dual_mov_b32 v2, s0 :: v_dual_mov_b32 v3, s1
	v_add_nc_u64_e32 v[14:15], s[16:17], v[10:11]
	v_dual_mov_b32 v5, s6 :: v_dual_mov_b32 v1, 0
	s_lshl_b32 s4, s3, 8
	s_mov_b32 s13, s5
	s_mov_b32 s1, s14
	global_store_b128 v[6:7], v[2:5], off th:TH_STORE_NT
.LBB1_324:                              ;   Parent Loop BB1_1 Depth=1
                                        ; =>  This Inner Loop Header: Depth=2
	s_wait_loadcnt 0x0
	global_load_b128 v[6:9], v[14:15], off th:TH_LOAD_NT
	v_add_nc_u32_e32 v1, 1, v1
	s_mov_b32 s0, -1
	s_mov_b32 s3, -1
	s_mov_b32 s6, exec_lo
	s_wait_xcnt 0x0
	v_cmpx_eq_u32_e32 0xf4240, v1
	s_cbranch_execz .LBB1_326
; %bb.325:                              ;   in Loop: Header=BB1_324 Depth=2
	s_wait_loadcnt 0x0
	s_wait_storecnt 0x0
	global_load_b32 v1, v4, s[10:11] scope:SCOPE_SYS
	s_wait_loadcnt 0x0
	global_inv scope:SCOPE_SYS
	v_cmp_eq_u32_e32 vcc_lo, 0, v1
	v_mov_b32_e32 v1, 0
	s_or_not1_b32 s3, vcc_lo, exec_lo
.LBB1_326:                              ;   in Loop: Header=BB1_324 Depth=2
	s_wait_xcnt 0x0
	s_or_b32 exec_lo, exec_lo, s6
	s_and_saveexec_b32 s6, s3
	s_cbranch_execz .LBB1_328
; %bb.327:                              ;   in Loop: Header=BB1_324 Depth=2
	s_wait_loadcnt 0x0
	v_cmp_eq_u32_e32 vcc_lo, s12, v7
	v_cmp_eq_u32_e64 s0, s12, v9
	s_and_b32 s0, vcc_lo, s0
	s_delay_alu instid0(SALU_CYCLE_1)
	s_or_not1_b32 s0, s0, exec_lo
.LBB1_328:                              ;   in Loop: Header=BB1_324 Depth=2
	s_or_b32 exec_lo, exec_lo, s6
	s_delay_alu instid0(SALU_CYCLE_1) | instskip(NEXT) | instid1(SALU_CYCLE_1)
	s_and_b32 s0, exec_lo, s0
	s_or_b32 s1, s0, s1
	s_delay_alu instid0(SALU_CYCLE_1)
	s_and_not1_b32 exec_lo, exec_lo, s1
	s_cbranch_execnz .LBB1_324
; %bb.329:                              ;   in Loop: Header=BB1_324 Depth=2
	s_or_b32 exec_lo, exec_lo, s1
	s_wait_loadcnt 0x0
	v_dual_mov_b32 v7, v8 :: v_dual_mov_b32 v1, 0
	s_mov_b32 s1, 0
	s_delay_alu instid0(VALU_DEP_1) | instskip(SKIP_1) | instid1(SALU_CYCLE_1)
	v_cmp_eq_u64_e32 vcc_lo, s[12:13], v[6:7]
	s_or_b32 s14, vcc_lo, s14
	s_and_not1_b32 exec_lo, exec_lo, s14
	s_cbranch_execnz .LBB1_324
; %bb.330:                              ;   in Loop: Header=BB1_1 Depth=1
	s_or_b32 exec_lo, exec_lo, s14
	s_add_co_i32 s6, s2, 47
	s_mov_b32 s14, 0
	s_mul_hi_u32 s0, s6, 0x10624dd3
	s_mov_b32 s15, s12
	s_lshr_b32 s0, s0, 6
	s_mov_b32 s17, s5
	s_mul_i32 s3, s0, 0x3e8
	s_or_b64 s[0:1], s[14:15], s[12:13]
	s_sub_co_i32 s3, s6, s3
	v_lshl_add_u64 v[6:7], s[4:5], 4, v[12:13]
	s_lshl_b32 s16, s3, 12
	v_dual_mov_b32 v2, s0 :: v_dual_mov_b32 v3, s1
	v_add_nc_u64_e32 v[14:15], s[16:17], v[10:11]
	v_dual_mov_b32 v5, s12 :: v_dual_mov_b32 v1, 0
	s_lshl_b32 s4, s3, 8
	s_mov_b32 s7, s5
	s_mov_b32 s1, s14
	global_store_b128 v[6:7], v[2:5], off th:TH_STORE_NT
.LBB1_331:                              ;   Parent Loop BB1_1 Depth=1
                                        ; =>  This Inner Loop Header: Depth=2
	s_wait_loadcnt 0x0
	global_load_b128 v[6:9], v[14:15], off th:TH_LOAD_NT
	v_add_nc_u32_e32 v1, 1, v1
	s_mov_b32 s0, -1
	s_mov_b32 s3, -1
	s_mov_b32 s12, exec_lo
	s_wait_xcnt 0x0
	v_cmpx_eq_u32_e32 0xf4240, v1
	s_cbranch_execz .LBB1_333
; %bb.332:                              ;   in Loop: Header=BB1_331 Depth=2
	s_wait_loadcnt 0x0
	s_wait_storecnt 0x0
	global_load_b32 v1, v4, s[10:11] scope:SCOPE_SYS
	s_wait_loadcnt 0x0
	global_inv scope:SCOPE_SYS
	v_cmp_eq_u32_e32 vcc_lo, 0, v1
	v_mov_b32_e32 v1, 0
	s_or_not1_b32 s3, vcc_lo, exec_lo
.LBB1_333:                              ;   in Loop: Header=BB1_331 Depth=2
	s_wait_xcnt 0x0
	s_or_b32 exec_lo, exec_lo, s12
	s_and_saveexec_b32 s12, s3
	s_cbranch_execz .LBB1_335
; %bb.334:                              ;   in Loop: Header=BB1_331 Depth=2
	s_wait_loadcnt 0x0
	v_cmp_eq_u32_e32 vcc_lo, s6, v7
	v_cmp_eq_u32_e64 s0, s6, v9
	s_and_b32 s0, vcc_lo, s0
	s_delay_alu instid0(SALU_CYCLE_1)
	s_or_not1_b32 s0, s0, exec_lo
.LBB1_335:                              ;   in Loop: Header=BB1_331 Depth=2
	s_or_b32 exec_lo, exec_lo, s12
	s_delay_alu instid0(SALU_CYCLE_1) | instskip(NEXT) | instid1(SALU_CYCLE_1)
	s_and_b32 s0, exec_lo, s0
	s_or_b32 s1, s0, s1
	s_delay_alu instid0(SALU_CYCLE_1)
	s_and_not1_b32 exec_lo, exec_lo, s1
	s_cbranch_execnz .LBB1_331
; %bb.336:                              ;   in Loop: Header=BB1_331 Depth=2
	s_or_b32 exec_lo, exec_lo, s1
	s_wait_loadcnt 0x0
	v_dual_mov_b32 v7, v8 :: v_dual_mov_b32 v1, 0
	s_mov_b32 s1, 0
	s_delay_alu instid0(VALU_DEP_1) | instskip(SKIP_1) | instid1(SALU_CYCLE_1)
	v_cmp_eq_u64_e32 vcc_lo, s[6:7], v[6:7]
	s_or_b32 s14, vcc_lo, s14
	s_and_not1_b32 exec_lo, exec_lo, s14
	s_cbranch_execnz .LBB1_331
; %bb.337:                              ;   in Loop: Header=BB1_1 Depth=1
	s_or_b32 exec_lo, exec_lo, s14
	s_add_co_i32 s12, s2, 48
	s_mov_b32 s14, 0
	s_mul_hi_u32 s0, s12, 0x10624dd3
	s_mov_b32 s15, s6
	s_lshr_b32 s0, s0, 6
	s_mov_b32 s17, s5
	s_mul_i32 s3, s0, 0x3e8
	s_or_b64 s[0:1], s[14:15], s[6:7]
	s_sub_co_i32 s3, s12, s3
	v_lshl_add_u64 v[6:7], s[4:5], 4, v[12:13]
	s_lshl_b32 s16, s3, 12
	v_dual_mov_b32 v2, s0 :: v_dual_mov_b32 v3, s1
	v_add_nc_u64_e32 v[14:15], s[16:17], v[10:11]
	v_dual_mov_b32 v5, s6 :: v_dual_mov_b32 v1, 0
	s_lshl_b32 s4, s3, 8
	s_mov_b32 s13, s5
	s_mov_b32 s1, s14
	global_store_b128 v[6:7], v[2:5], off th:TH_STORE_NT
.LBB1_338:                              ;   Parent Loop BB1_1 Depth=1
                                        ; =>  This Inner Loop Header: Depth=2
	s_wait_loadcnt 0x0
	global_load_b128 v[6:9], v[14:15], off th:TH_LOAD_NT
	v_add_nc_u32_e32 v1, 1, v1
	s_mov_b32 s0, -1
	s_mov_b32 s3, -1
	s_mov_b32 s6, exec_lo
	s_wait_xcnt 0x0
	v_cmpx_eq_u32_e32 0xf4240, v1
	s_cbranch_execz .LBB1_340
; %bb.339:                              ;   in Loop: Header=BB1_338 Depth=2
	s_wait_loadcnt 0x0
	s_wait_storecnt 0x0
	global_load_b32 v1, v4, s[10:11] scope:SCOPE_SYS
	s_wait_loadcnt 0x0
	global_inv scope:SCOPE_SYS
	v_cmp_eq_u32_e32 vcc_lo, 0, v1
	v_mov_b32_e32 v1, 0
	s_or_not1_b32 s3, vcc_lo, exec_lo
.LBB1_340:                              ;   in Loop: Header=BB1_338 Depth=2
	s_wait_xcnt 0x0
	s_or_b32 exec_lo, exec_lo, s6
	s_and_saveexec_b32 s6, s3
	s_cbranch_execz .LBB1_342
; %bb.341:                              ;   in Loop: Header=BB1_338 Depth=2
	s_wait_loadcnt 0x0
	v_cmp_eq_u32_e32 vcc_lo, s12, v7
	v_cmp_eq_u32_e64 s0, s12, v9
	s_and_b32 s0, vcc_lo, s0
	s_delay_alu instid0(SALU_CYCLE_1)
	s_or_not1_b32 s0, s0, exec_lo
.LBB1_342:                              ;   in Loop: Header=BB1_338 Depth=2
	s_or_b32 exec_lo, exec_lo, s6
	s_delay_alu instid0(SALU_CYCLE_1) | instskip(NEXT) | instid1(SALU_CYCLE_1)
	s_and_b32 s0, exec_lo, s0
	s_or_b32 s1, s0, s1
	s_delay_alu instid0(SALU_CYCLE_1)
	s_and_not1_b32 exec_lo, exec_lo, s1
	s_cbranch_execnz .LBB1_338
; %bb.343:                              ;   in Loop: Header=BB1_338 Depth=2
	s_or_b32 exec_lo, exec_lo, s1
	s_wait_loadcnt 0x0
	v_dual_mov_b32 v7, v8 :: v_dual_mov_b32 v1, 0
	s_mov_b32 s1, 0
	s_delay_alu instid0(VALU_DEP_1) | instskip(SKIP_1) | instid1(SALU_CYCLE_1)
	v_cmp_eq_u64_e32 vcc_lo, s[12:13], v[6:7]
	s_or_b32 s14, vcc_lo, s14
	s_and_not1_b32 exec_lo, exec_lo, s14
	s_cbranch_execnz .LBB1_338
; %bb.344:                              ;   in Loop: Header=BB1_1 Depth=1
	s_or_b32 exec_lo, exec_lo, s14
	s_add_co_i32 s6, s2, 49
	s_mov_b32 s14, 0
	s_mul_hi_u32 s0, s6, 0x10624dd3
	s_mov_b32 s15, s12
	s_lshr_b32 s0, s0, 6
	s_mov_b32 s17, s5
	s_mul_i32 s3, s0, 0x3e8
	s_or_b64 s[0:1], s[14:15], s[12:13]
	s_sub_co_i32 s3, s6, s3
	v_lshl_add_u64 v[6:7], s[4:5], 4, v[12:13]
	s_lshl_b32 s16, s3, 12
	v_dual_mov_b32 v2, s0 :: v_dual_mov_b32 v3, s1
	v_add_nc_u64_e32 v[14:15], s[16:17], v[10:11]
	v_dual_mov_b32 v5, s12 :: v_dual_mov_b32 v1, 0
	s_lshl_b32 s4, s3, 8
	s_mov_b32 s7, s5
	s_mov_b32 s1, s14
	global_store_b128 v[6:7], v[2:5], off th:TH_STORE_NT
.LBB1_345:                              ;   Parent Loop BB1_1 Depth=1
                                        ; =>  This Inner Loop Header: Depth=2
	s_wait_loadcnt 0x0
	global_load_b128 v[6:9], v[14:15], off th:TH_LOAD_NT
	v_add_nc_u32_e32 v1, 1, v1
	s_mov_b32 s0, -1
	s_mov_b32 s3, -1
	s_mov_b32 s12, exec_lo
	s_wait_xcnt 0x0
	v_cmpx_eq_u32_e32 0xf4240, v1
	s_cbranch_execz .LBB1_347
; %bb.346:                              ;   in Loop: Header=BB1_345 Depth=2
	s_wait_loadcnt 0x0
	s_wait_storecnt 0x0
	global_load_b32 v1, v4, s[10:11] scope:SCOPE_SYS
	s_wait_loadcnt 0x0
	global_inv scope:SCOPE_SYS
	v_cmp_eq_u32_e32 vcc_lo, 0, v1
	v_mov_b32_e32 v1, 0
	s_or_not1_b32 s3, vcc_lo, exec_lo
.LBB1_347:                              ;   in Loop: Header=BB1_345 Depth=2
	s_wait_xcnt 0x0
	s_or_b32 exec_lo, exec_lo, s12
	s_and_saveexec_b32 s12, s3
	s_cbranch_execz .LBB1_349
; %bb.348:                              ;   in Loop: Header=BB1_345 Depth=2
	s_wait_loadcnt 0x0
	v_cmp_eq_u32_e32 vcc_lo, s6, v7
	v_cmp_eq_u32_e64 s0, s6, v9
	s_and_b32 s0, vcc_lo, s0
	s_delay_alu instid0(SALU_CYCLE_1)
	s_or_not1_b32 s0, s0, exec_lo
.LBB1_349:                              ;   in Loop: Header=BB1_345 Depth=2
	s_or_b32 exec_lo, exec_lo, s12
	s_delay_alu instid0(SALU_CYCLE_1) | instskip(NEXT) | instid1(SALU_CYCLE_1)
	s_and_b32 s0, exec_lo, s0
	s_or_b32 s1, s0, s1
	s_delay_alu instid0(SALU_CYCLE_1)
	s_and_not1_b32 exec_lo, exec_lo, s1
	s_cbranch_execnz .LBB1_345
; %bb.350:                              ;   in Loop: Header=BB1_345 Depth=2
	s_or_b32 exec_lo, exec_lo, s1
	s_wait_loadcnt 0x0
	v_dual_mov_b32 v7, v8 :: v_dual_mov_b32 v1, 0
	s_mov_b32 s1, 0
	s_delay_alu instid0(VALU_DEP_1) | instskip(SKIP_1) | instid1(SALU_CYCLE_1)
	v_cmp_eq_u64_e32 vcc_lo, s[6:7], v[6:7]
	s_or_b32 s14, vcc_lo, s14
	s_and_not1_b32 exec_lo, exec_lo, s14
	s_cbranch_execnz .LBB1_345
; %bb.351:                              ;   in Loop: Header=BB1_1 Depth=1
	s_or_b32 exec_lo, exec_lo, s14
	s_add_co_i32 s12, s2, 50
	s_mov_b32 s14, 0
	s_mul_hi_u32 s0, s12, 0x10624dd3
	s_mov_b32 s15, s6
	s_lshr_b32 s0, s0, 6
	s_mov_b32 s17, s5
	s_mul_i32 s3, s0, 0x3e8
	s_or_b64 s[0:1], s[14:15], s[6:7]
	s_sub_co_i32 s3, s12, s3
	v_lshl_add_u64 v[6:7], s[4:5], 4, v[12:13]
	s_lshl_b32 s16, s3, 12
	v_dual_mov_b32 v2, s0 :: v_dual_mov_b32 v3, s1
	v_add_nc_u64_e32 v[14:15], s[16:17], v[10:11]
	v_dual_mov_b32 v5, s6 :: v_dual_mov_b32 v1, 0
	s_lshl_b32 s4, s3, 8
	s_mov_b32 s13, s5
	s_mov_b32 s1, s14
	global_store_b128 v[6:7], v[2:5], off th:TH_STORE_NT
.LBB1_352:                              ;   Parent Loop BB1_1 Depth=1
                                        ; =>  This Inner Loop Header: Depth=2
	s_wait_loadcnt 0x0
	global_load_b128 v[6:9], v[14:15], off th:TH_LOAD_NT
	v_add_nc_u32_e32 v1, 1, v1
	s_mov_b32 s0, -1
	s_mov_b32 s3, -1
	s_mov_b32 s6, exec_lo
	s_wait_xcnt 0x0
	v_cmpx_eq_u32_e32 0xf4240, v1
	s_cbranch_execz .LBB1_354
; %bb.353:                              ;   in Loop: Header=BB1_352 Depth=2
	s_wait_loadcnt 0x0
	s_wait_storecnt 0x0
	global_load_b32 v1, v4, s[10:11] scope:SCOPE_SYS
	s_wait_loadcnt 0x0
	global_inv scope:SCOPE_SYS
	v_cmp_eq_u32_e32 vcc_lo, 0, v1
	v_mov_b32_e32 v1, 0
	s_or_not1_b32 s3, vcc_lo, exec_lo
.LBB1_354:                              ;   in Loop: Header=BB1_352 Depth=2
	s_wait_xcnt 0x0
	s_or_b32 exec_lo, exec_lo, s6
	s_and_saveexec_b32 s6, s3
	s_cbranch_execz .LBB1_356
; %bb.355:                              ;   in Loop: Header=BB1_352 Depth=2
	s_wait_loadcnt 0x0
	v_cmp_eq_u32_e32 vcc_lo, s12, v7
	v_cmp_eq_u32_e64 s0, s12, v9
	s_and_b32 s0, vcc_lo, s0
	s_delay_alu instid0(SALU_CYCLE_1)
	s_or_not1_b32 s0, s0, exec_lo
.LBB1_356:                              ;   in Loop: Header=BB1_352 Depth=2
	s_or_b32 exec_lo, exec_lo, s6
	s_delay_alu instid0(SALU_CYCLE_1) | instskip(NEXT) | instid1(SALU_CYCLE_1)
	s_and_b32 s0, exec_lo, s0
	s_or_b32 s1, s0, s1
	s_delay_alu instid0(SALU_CYCLE_1)
	s_and_not1_b32 exec_lo, exec_lo, s1
	s_cbranch_execnz .LBB1_352
; %bb.357:                              ;   in Loop: Header=BB1_352 Depth=2
	s_or_b32 exec_lo, exec_lo, s1
	s_wait_loadcnt 0x0
	v_dual_mov_b32 v7, v8 :: v_dual_mov_b32 v1, 0
	s_mov_b32 s1, 0
	s_delay_alu instid0(VALU_DEP_1) | instskip(SKIP_1) | instid1(SALU_CYCLE_1)
	v_cmp_eq_u64_e32 vcc_lo, s[12:13], v[6:7]
	s_or_b32 s14, vcc_lo, s14
	s_and_not1_b32 exec_lo, exec_lo, s14
	s_cbranch_execnz .LBB1_352
; %bb.358:                              ;   in Loop: Header=BB1_1 Depth=1
	s_or_b32 exec_lo, exec_lo, s14
	s_add_co_i32 s6, s2, 51
	s_mov_b32 s14, 0
	s_mul_hi_u32 s0, s6, 0x10624dd3
	s_mov_b32 s15, s12
	s_lshr_b32 s0, s0, 6
	s_mov_b32 s17, s5
	s_mul_i32 s3, s0, 0x3e8
	s_or_b64 s[0:1], s[14:15], s[12:13]
	s_sub_co_i32 s3, s6, s3
	v_lshl_add_u64 v[6:7], s[4:5], 4, v[12:13]
	s_lshl_b32 s16, s3, 12
	v_dual_mov_b32 v2, s0 :: v_dual_mov_b32 v3, s1
	v_add_nc_u64_e32 v[14:15], s[16:17], v[10:11]
	v_dual_mov_b32 v5, s12 :: v_dual_mov_b32 v1, 0
	s_lshl_b32 s4, s3, 8
	s_mov_b32 s7, s5
	s_mov_b32 s1, s14
	global_store_b128 v[6:7], v[2:5], off th:TH_STORE_NT
.LBB1_359:                              ;   Parent Loop BB1_1 Depth=1
                                        ; =>  This Inner Loop Header: Depth=2
	s_wait_loadcnt 0x0
	global_load_b128 v[6:9], v[14:15], off th:TH_LOAD_NT
	v_add_nc_u32_e32 v1, 1, v1
	s_mov_b32 s0, -1
	s_mov_b32 s3, -1
	s_mov_b32 s12, exec_lo
	s_wait_xcnt 0x0
	v_cmpx_eq_u32_e32 0xf4240, v1
	s_cbranch_execz .LBB1_361
; %bb.360:                              ;   in Loop: Header=BB1_359 Depth=2
	s_wait_loadcnt 0x0
	s_wait_storecnt 0x0
	global_load_b32 v1, v4, s[10:11] scope:SCOPE_SYS
	s_wait_loadcnt 0x0
	global_inv scope:SCOPE_SYS
	v_cmp_eq_u32_e32 vcc_lo, 0, v1
	v_mov_b32_e32 v1, 0
	s_or_not1_b32 s3, vcc_lo, exec_lo
.LBB1_361:                              ;   in Loop: Header=BB1_359 Depth=2
	s_wait_xcnt 0x0
	s_or_b32 exec_lo, exec_lo, s12
	s_and_saveexec_b32 s12, s3
	s_cbranch_execz .LBB1_363
; %bb.362:                              ;   in Loop: Header=BB1_359 Depth=2
	s_wait_loadcnt 0x0
	v_cmp_eq_u32_e32 vcc_lo, s6, v7
	v_cmp_eq_u32_e64 s0, s6, v9
	s_and_b32 s0, vcc_lo, s0
	s_delay_alu instid0(SALU_CYCLE_1)
	s_or_not1_b32 s0, s0, exec_lo
.LBB1_363:                              ;   in Loop: Header=BB1_359 Depth=2
	s_or_b32 exec_lo, exec_lo, s12
	s_delay_alu instid0(SALU_CYCLE_1) | instskip(NEXT) | instid1(SALU_CYCLE_1)
	s_and_b32 s0, exec_lo, s0
	s_or_b32 s1, s0, s1
	s_delay_alu instid0(SALU_CYCLE_1)
	s_and_not1_b32 exec_lo, exec_lo, s1
	s_cbranch_execnz .LBB1_359
; %bb.364:                              ;   in Loop: Header=BB1_359 Depth=2
	s_or_b32 exec_lo, exec_lo, s1
	s_wait_loadcnt 0x0
	v_dual_mov_b32 v7, v8 :: v_dual_mov_b32 v1, 0
	s_mov_b32 s1, 0
	s_delay_alu instid0(VALU_DEP_1) | instskip(SKIP_1) | instid1(SALU_CYCLE_1)
	v_cmp_eq_u64_e32 vcc_lo, s[6:7], v[6:7]
	s_or_b32 s14, vcc_lo, s14
	s_and_not1_b32 exec_lo, exec_lo, s14
	s_cbranch_execnz .LBB1_359
; %bb.365:                              ;   in Loop: Header=BB1_1 Depth=1
	s_or_b32 exec_lo, exec_lo, s14
	s_add_co_i32 s12, s2, 52
	s_mov_b32 s14, 0
	s_mul_hi_u32 s0, s12, 0x10624dd3
	s_mov_b32 s15, s6
	s_lshr_b32 s0, s0, 6
	s_mov_b32 s17, s5
	s_mul_i32 s3, s0, 0x3e8
	s_or_b64 s[0:1], s[14:15], s[6:7]
	s_sub_co_i32 s3, s12, s3
	v_lshl_add_u64 v[6:7], s[4:5], 4, v[12:13]
	s_lshl_b32 s16, s3, 12
	v_dual_mov_b32 v2, s0 :: v_dual_mov_b32 v3, s1
	v_add_nc_u64_e32 v[14:15], s[16:17], v[10:11]
	v_dual_mov_b32 v5, s6 :: v_dual_mov_b32 v1, 0
	s_lshl_b32 s4, s3, 8
	s_mov_b32 s13, s5
	s_mov_b32 s1, s14
	global_store_b128 v[6:7], v[2:5], off th:TH_STORE_NT
.LBB1_366:                              ;   Parent Loop BB1_1 Depth=1
                                        ; =>  This Inner Loop Header: Depth=2
	s_wait_loadcnt 0x0
	global_load_b128 v[6:9], v[14:15], off th:TH_LOAD_NT
	v_add_nc_u32_e32 v1, 1, v1
	s_mov_b32 s0, -1
	s_mov_b32 s3, -1
	s_mov_b32 s6, exec_lo
	s_wait_xcnt 0x0
	v_cmpx_eq_u32_e32 0xf4240, v1
	s_cbranch_execz .LBB1_368
; %bb.367:                              ;   in Loop: Header=BB1_366 Depth=2
	s_wait_loadcnt 0x0
	s_wait_storecnt 0x0
	global_load_b32 v1, v4, s[10:11] scope:SCOPE_SYS
	s_wait_loadcnt 0x0
	global_inv scope:SCOPE_SYS
	v_cmp_eq_u32_e32 vcc_lo, 0, v1
	v_mov_b32_e32 v1, 0
	s_or_not1_b32 s3, vcc_lo, exec_lo
.LBB1_368:                              ;   in Loop: Header=BB1_366 Depth=2
	s_wait_xcnt 0x0
	s_or_b32 exec_lo, exec_lo, s6
	s_and_saveexec_b32 s6, s3
	s_cbranch_execz .LBB1_370
; %bb.369:                              ;   in Loop: Header=BB1_366 Depth=2
	s_wait_loadcnt 0x0
	v_cmp_eq_u32_e32 vcc_lo, s12, v7
	v_cmp_eq_u32_e64 s0, s12, v9
	s_and_b32 s0, vcc_lo, s0
	s_delay_alu instid0(SALU_CYCLE_1)
	s_or_not1_b32 s0, s0, exec_lo
.LBB1_370:                              ;   in Loop: Header=BB1_366 Depth=2
	s_or_b32 exec_lo, exec_lo, s6
	s_delay_alu instid0(SALU_CYCLE_1) | instskip(NEXT) | instid1(SALU_CYCLE_1)
	s_and_b32 s0, exec_lo, s0
	s_or_b32 s1, s0, s1
	s_delay_alu instid0(SALU_CYCLE_1)
	s_and_not1_b32 exec_lo, exec_lo, s1
	s_cbranch_execnz .LBB1_366
; %bb.371:                              ;   in Loop: Header=BB1_366 Depth=2
	s_or_b32 exec_lo, exec_lo, s1
	s_wait_loadcnt 0x0
	v_dual_mov_b32 v7, v8 :: v_dual_mov_b32 v1, 0
	s_mov_b32 s1, 0
	s_delay_alu instid0(VALU_DEP_1) | instskip(SKIP_1) | instid1(SALU_CYCLE_1)
	v_cmp_eq_u64_e32 vcc_lo, s[12:13], v[6:7]
	s_or_b32 s14, vcc_lo, s14
	s_and_not1_b32 exec_lo, exec_lo, s14
	s_cbranch_execnz .LBB1_366
; %bb.372:                              ;   in Loop: Header=BB1_1 Depth=1
	s_or_b32 exec_lo, exec_lo, s14
	s_add_co_i32 s6, s2, 53
	s_mov_b32 s14, 0
	s_mul_hi_u32 s0, s6, 0x10624dd3
	s_mov_b32 s15, s12
	s_lshr_b32 s0, s0, 6
	s_mov_b32 s17, s5
	s_mul_i32 s3, s0, 0x3e8
	s_or_b64 s[0:1], s[14:15], s[12:13]
	s_sub_co_i32 s3, s6, s3
	v_lshl_add_u64 v[6:7], s[4:5], 4, v[12:13]
	s_lshl_b32 s16, s3, 12
	v_dual_mov_b32 v2, s0 :: v_dual_mov_b32 v3, s1
	v_add_nc_u64_e32 v[14:15], s[16:17], v[10:11]
	v_dual_mov_b32 v5, s12 :: v_dual_mov_b32 v1, 0
	s_lshl_b32 s4, s3, 8
	s_mov_b32 s7, s5
	s_mov_b32 s1, s14
	global_store_b128 v[6:7], v[2:5], off th:TH_STORE_NT
.LBB1_373:                              ;   Parent Loop BB1_1 Depth=1
                                        ; =>  This Inner Loop Header: Depth=2
	s_wait_loadcnt 0x0
	global_load_b128 v[6:9], v[14:15], off th:TH_LOAD_NT
	v_add_nc_u32_e32 v1, 1, v1
	s_mov_b32 s0, -1
	s_mov_b32 s3, -1
	s_mov_b32 s12, exec_lo
	s_wait_xcnt 0x0
	v_cmpx_eq_u32_e32 0xf4240, v1
	s_cbranch_execz .LBB1_375
; %bb.374:                              ;   in Loop: Header=BB1_373 Depth=2
	s_wait_loadcnt 0x0
	s_wait_storecnt 0x0
	global_load_b32 v1, v4, s[10:11] scope:SCOPE_SYS
	s_wait_loadcnt 0x0
	global_inv scope:SCOPE_SYS
	v_cmp_eq_u32_e32 vcc_lo, 0, v1
	v_mov_b32_e32 v1, 0
	s_or_not1_b32 s3, vcc_lo, exec_lo
.LBB1_375:                              ;   in Loop: Header=BB1_373 Depth=2
	s_wait_xcnt 0x0
	s_or_b32 exec_lo, exec_lo, s12
	s_and_saveexec_b32 s12, s3
	s_cbranch_execz .LBB1_377
; %bb.376:                              ;   in Loop: Header=BB1_373 Depth=2
	s_wait_loadcnt 0x0
	v_cmp_eq_u32_e32 vcc_lo, s6, v7
	v_cmp_eq_u32_e64 s0, s6, v9
	s_and_b32 s0, vcc_lo, s0
	s_delay_alu instid0(SALU_CYCLE_1)
	s_or_not1_b32 s0, s0, exec_lo
.LBB1_377:                              ;   in Loop: Header=BB1_373 Depth=2
	s_or_b32 exec_lo, exec_lo, s12
	s_delay_alu instid0(SALU_CYCLE_1) | instskip(NEXT) | instid1(SALU_CYCLE_1)
	s_and_b32 s0, exec_lo, s0
	s_or_b32 s1, s0, s1
	s_delay_alu instid0(SALU_CYCLE_1)
	s_and_not1_b32 exec_lo, exec_lo, s1
	s_cbranch_execnz .LBB1_373
; %bb.378:                              ;   in Loop: Header=BB1_373 Depth=2
	s_or_b32 exec_lo, exec_lo, s1
	s_wait_loadcnt 0x0
	v_dual_mov_b32 v7, v8 :: v_dual_mov_b32 v1, 0
	s_mov_b32 s1, 0
	s_delay_alu instid0(VALU_DEP_1) | instskip(SKIP_1) | instid1(SALU_CYCLE_1)
	v_cmp_eq_u64_e32 vcc_lo, s[6:7], v[6:7]
	s_or_b32 s14, vcc_lo, s14
	s_and_not1_b32 exec_lo, exec_lo, s14
	s_cbranch_execnz .LBB1_373
; %bb.379:                              ;   in Loop: Header=BB1_1 Depth=1
	s_or_b32 exec_lo, exec_lo, s14
	s_add_co_i32 s12, s2, 54
	s_mov_b32 s14, 0
	s_mul_hi_u32 s0, s12, 0x10624dd3
	s_mov_b32 s15, s6
	s_lshr_b32 s0, s0, 6
	s_mov_b32 s17, s5
	s_mul_i32 s3, s0, 0x3e8
	s_or_b64 s[0:1], s[14:15], s[6:7]
	s_sub_co_i32 s3, s12, s3
	v_lshl_add_u64 v[6:7], s[4:5], 4, v[12:13]
	s_lshl_b32 s16, s3, 12
	v_dual_mov_b32 v2, s0 :: v_dual_mov_b32 v3, s1
	v_add_nc_u64_e32 v[14:15], s[16:17], v[10:11]
	v_dual_mov_b32 v5, s6 :: v_dual_mov_b32 v1, 0
	s_lshl_b32 s4, s3, 8
	s_mov_b32 s13, s5
	s_mov_b32 s1, s14
	global_store_b128 v[6:7], v[2:5], off th:TH_STORE_NT
.LBB1_380:                              ;   Parent Loop BB1_1 Depth=1
                                        ; =>  This Inner Loop Header: Depth=2
	s_wait_loadcnt 0x0
	global_load_b128 v[6:9], v[14:15], off th:TH_LOAD_NT
	v_add_nc_u32_e32 v1, 1, v1
	s_mov_b32 s0, -1
	s_mov_b32 s3, -1
	s_mov_b32 s6, exec_lo
	s_wait_xcnt 0x0
	v_cmpx_eq_u32_e32 0xf4240, v1
	s_cbranch_execz .LBB1_382
; %bb.381:                              ;   in Loop: Header=BB1_380 Depth=2
	s_wait_loadcnt 0x0
	s_wait_storecnt 0x0
	global_load_b32 v1, v4, s[10:11] scope:SCOPE_SYS
	s_wait_loadcnt 0x0
	global_inv scope:SCOPE_SYS
	v_cmp_eq_u32_e32 vcc_lo, 0, v1
	v_mov_b32_e32 v1, 0
	s_or_not1_b32 s3, vcc_lo, exec_lo
.LBB1_382:                              ;   in Loop: Header=BB1_380 Depth=2
	s_wait_xcnt 0x0
	s_or_b32 exec_lo, exec_lo, s6
	s_and_saveexec_b32 s6, s3
	s_cbranch_execz .LBB1_384
; %bb.383:                              ;   in Loop: Header=BB1_380 Depth=2
	s_wait_loadcnt 0x0
	v_cmp_eq_u32_e32 vcc_lo, s12, v7
	v_cmp_eq_u32_e64 s0, s12, v9
	s_and_b32 s0, vcc_lo, s0
	s_delay_alu instid0(SALU_CYCLE_1)
	s_or_not1_b32 s0, s0, exec_lo
.LBB1_384:                              ;   in Loop: Header=BB1_380 Depth=2
	s_or_b32 exec_lo, exec_lo, s6
	s_delay_alu instid0(SALU_CYCLE_1) | instskip(NEXT) | instid1(SALU_CYCLE_1)
	s_and_b32 s0, exec_lo, s0
	s_or_b32 s1, s0, s1
	s_delay_alu instid0(SALU_CYCLE_1)
	s_and_not1_b32 exec_lo, exec_lo, s1
	s_cbranch_execnz .LBB1_380
; %bb.385:                              ;   in Loop: Header=BB1_380 Depth=2
	s_or_b32 exec_lo, exec_lo, s1
	s_wait_loadcnt 0x0
	v_dual_mov_b32 v7, v8 :: v_dual_mov_b32 v1, 0
	s_mov_b32 s1, 0
	s_delay_alu instid0(VALU_DEP_1) | instskip(SKIP_1) | instid1(SALU_CYCLE_1)
	v_cmp_eq_u64_e32 vcc_lo, s[12:13], v[6:7]
	s_or_b32 s14, vcc_lo, s14
	s_and_not1_b32 exec_lo, exec_lo, s14
	s_cbranch_execnz .LBB1_380
; %bb.386:                              ;   in Loop: Header=BB1_1 Depth=1
	s_or_b32 exec_lo, exec_lo, s14
	s_add_co_i32 s6, s2, 55
	s_mov_b32 s14, 0
	s_mul_hi_u32 s0, s6, 0x10624dd3
	s_mov_b32 s15, s12
	s_lshr_b32 s0, s0, 6
	s_mov_b32 s17, s5
	s_mul_i32 s3, s0, 0x3e8
	s_or_b64 s[0:1], s[14:15], s[12:13]
	s_sub_co_i32 s3, s6, s3
	v_lshl_add_u64 v[6:7], s[4:5], 4, v[12:13]
	s_lshl_b32 s16, s3, 12
	v_dual_mov_b32 v2, s0 :: v_dual_mov_b32 v3, s1
	v_add_nc_u64_e32 v[14:15], s[16:17], v[10:11]
	v_dual_mov_b32 v5, s12 :: v_dual_mov_b32 v1, 0
	s_lshl_b32 s4, s3, 8
	s_mov_b32 s7, s5
	s_mov_b32 s1, s14
	global_store_b128 v[6:7], v[2:5], off th:TH_STORE_NT
.LBB1_387:                              ;   Parent Loop BB1_1 Depth=1
                                        ; =>  This Inner Loop Header: Depth=2
	s_wait_loadcnt 0x0
	global_load_b128 v[6:9], v[14:15], off th:TH_LOAD_NT
	v_add_nc_u32_e32 v1, 1, v1
	s_mov_b32 s0, -1
	s_mov_b32 s3, -1
	s_mov_b32 s12, exec_lo
	s_wait_xcnt 0x0
	v_cmpx_eq_u32_e32 0xf4240, v1
	s_cbranch_execz .LBB1_389
; %bb.388:                              ;   in Loop: Header=BB1_387 Depth=2
	s_wait_loadcnt 0x0
	s_wait_storecnt 0x0
	global_load_b32 v1, v4, s[10:11] scope:SCOPE_SYS
	s_wait_loadcnt 0x0
	global_inv scope:SCOPE_SYS
	v_cmp_eq_u32_e32 vcc_lo, 0, v1
	v_mov_b32_e32 v1, 0
	s_or_not1_b32 s3, vcc_lo, exec_lo
.LBB1_389:                              ;   in Loop: Header=BB1_387 Depth=2
	s_wait_xcnt 0x0
	s_or_b32 exec_lo, exec_lo, s12
	s_and_saveexec_b32 s12, s3
	s_cbranch_execz .LBB1_391
; %bb.390:                              ;   in Loop: Header=BB1_387 Depth=2
	s_wait_loadcnt 0x0
	v_cmp_eq_u32_e32 vcc_lo, s6, v7
	v_cmp_eq_u32_e64 s0, s6, v9
	s_and_b32 s0, vcc_lo, s0
	s_delay_alu instid0(SALU_CYCLE_1)
	s_or_not1_b32 s0, s0, exec_lo
.LBB1_391:                              ;   in Loop: Header=BB1_387 Depth=2
	s_or_b32 exec_lo, exec_lo, s12
	s_delay_alu instid0(SALU_CYCLE_1) | instskip(NEXT) | instid1(SALU_CYCLE_1)
	s_and_b32 s0, exec_lo, s0
	s_or_b32 s1, s0, s1
	s_delay_alu instid0(SALU_CYCLE_1)
	s_and_not1_b32 exec_lo, exec_lo, s1
	s_cbranch_execnz .LBB1_387
; %bb.392:                              ;   in Loop: Header=BB1_387 Depth=2
	s_or_b32 exec_lo, exec_lo, s1
	s_wait_loadcnt 0x0
	v_dual_mov_b32 v7, v8 :: v_dual_mov_b32 v1, 0
	s_mov_b32 s1, 0
	s_delay_alu instid0(VALU_DEP_1) | instskip(SKIP_1) | instid1(SALU_CYCLE_1)
	v_cmp_eq_u64_e32 vcc_lo, s[6:7], v[6:7]
	s_or_b32 s14, vcc_lo, s14
	s_and_not1_b32 exec_lo, exec_lo, s14
	s_cbranch_execnz .LBB1_387
; %bb.393:                              ;   in Loop: Header=BB1_1 Depth=1
	s_or_b32 exec_lo, exec_lo, s14
	s_add_co_i32 s12, s2, 56
	s_mov_b32 s14, 0
	s_mul_hi_u32 s0, s12, 0x10624dd3
	s_mov_b32 s15, s6
	s_lshr_b32 s0, s0, 6
	s_mov_b32 s17, s5
	s_mul_i32 s3, s0, 0x3e8
	s_or_b64 s[0:1], s[14:15], s[6:7]
	s_sub_co_i32 s3, s12, s3
	v_lshl_add_u64 v[6:7], s[4:5], 4, v[12:13]
	s_lshl_b32 s16, s3, 12
	v_dual_mov_b32 v2, s0 :: v_dual_mov_b32 v3, s1
	v_add_nc_u64_e32 v[14:15], s[16:17], v[10:11]
	v_dual_mov_b32 v5, s6 :: v_dual_mov_b32 v1, 0
	s_lshl_b32 s4, s3, 8
	s_mov_b32 s13, s5
	s_mov_b32 s1, s14
	global_store_b128 v[6:7], v[2:5], off th:TH_STORE_NT
.LBB1_394:                              ;   Parent Loop BB1_1 Depth=1
                                        ; =>  This Inner Loop Header: Depth=2
	s_wait_loadcnt 0x0
	global_load_b128 v[6:9], v[14:15], off th:TH_LOAD_NT
	v_add_nc_u32_e32 v1, 1, v1
	s_mov_b32 s0, -1
	s_mov_b32 s3, -1
	s_mov_b32 s6, exec_lo
	s_wait_xcnt 0x0
	v_cmpx_eq_u32_e32 0xf4240, v1
	s_cbranch_execz .LBB1_396
; %bb.395:                              ;   in Loop: Header=BB1_394 Depth=2
	s_wait_loadcnt 0x0
	s_wait_storecnt 0x0
	global_load_b32 v1, v4, s[10:11] scope:SCOPE_SYS
	s_wait_loadcnt 0x0
	global_inv scope:SCOPE_SYS
	v_cmp_eq_u32_e32 vcc_lo, 0, v1
	v_mov_b32_e32 v1, 0
	s_or_not1_b32 s3, vcc_lo, exec_lo
.LBB1_396:                              ;   in Loop: Header=BB1_394 Depth=2
	s_wait_xcnt 0x0
	s_or_b32 exec_lo, exec_lo, s6
	s_and_saveexec_b32 s6, s3
	s_cbranch_execz .LBB1_398
; %bb.397:                              ;   in Loop: Header=BB1_394 Depth=2
	s_wait_loadcnt 0x0
	v_cmp_eq_u32_e32 vcc_lo, s12, v7
	v_cmp_eq_u32_e64 s0, s12, v9
	s_and_b32 s0, vcc_lo, s0
	s_delay_alu instid0(SALU_CYCLE_1)
	s_or_not1_b32 s0, s0, exec_lo
.LBB1_398:                              ;   in Loop: Header=BB1_394 Depth=2
	s_or_b32 exec_lo, exec_lo, s6
	s_delay_alu instid0(SALU_CYCLE_1) | instskip(NEXT) | instid1(SALU_CYCLE_1)
	s_and_b32 s0, exec_lo, s0
	s_or_b32 s1, s0, s1
	s_delay_alu instid0(SALU_CYCLE_1)
	s_and_not1_b32 exec_lo, exec_lo, s1
	s_cbranch_execnz .LBB1_394
; %bb.399:                              ;   in Loop: Header=BB1_394 Depth=2
	s_or_b32 exec_lo, exec_lo, s1
	s_wait_loadcnt 0x0
	v_dual_mov_b32 v7, v8 :: v_dual_mov_b32 v1, 0
	s_mov_b32 s1, 0
	s_delay_alu instid0(VALU_DEP_1) | instskip(SKIP_1) | instid1(SALU_CYCLE_1)
	v_cmp_eq_u64_e32 vcc_lo, s[12:13], v[6:7]
	s_or_b32 s14, vcc_lo, s14
	s_and_not1_b32 exec_lo, exec_lo, s14
	s_cbranch_execnz .LBB1_394
; %bb.400:                              ;   in Loop: Header=BB1_1 Depth=1
	s_or_b32 exec_lo, exec_lo, s14
	s_add_co_i32 s6, s2, 57
	s_mov_b32 s14, 0
	s_mul_hi_u32 s0, s6, 0x10624dd3
	s_mov_b32 s15, s12
	s_lshr_b32 s0, s0, 6
	s_mov_b32 s17, s5
	s_mul_i32 s3, s0, 0x3e8
	s_or_b64 s[0:1], s[14:15], s[12:13]
	s_sub_co_i32 s3, s6, s3
	v_lshl_add_u64 v[6:7], s[4:5], 4, v[12:13]
	s_lshl_b32 s16, s3, 12
	v_dual_mov_b32 v2, s0 :: v_dual_mov_b32 v3, s1
	v_add_nc_u64_e32 v[14:15], s[16:17], v[10:11]
	v_dual_mov_b32 v5, s12 :: v_dual_mov_b32 v1, 0
	s_lshl_b32 s4, s3, 8
	s_mov_b32 s7, s5
	s_mov_b32 s1, s14
	global_store_b128 v[6:7], v[2:5], off th:TH_STORE_NT
.LBB1_401:                              ;   Parent Loop BB1_1 Depth=1
                                        ; =>  This Inner Loop Header: Depth=2
	s_wait_loadcnt 0x0
	global_load_b128 v[6:9], v[14:15], off th:TH_LOAD_NT
	v_add_nc_u32_e32 v1, 1, v1
	s_mov_b32 s0, -1
	s_mov_b32 s3, -1
	s_mov_b32 s12, exec_lo
	s_wait_xcnt 0x0
	v_cmpx_eq_u32_e32 0xf4240, v1
	s_cbranch_execz .LBB1_403
; %bb.402:                              ;   in Loop: Header=BB1_401 Depth=2
	s_wait_loadcnt 0x0
	s_wait_storecnt 0x0
	global_load_b32 v1, v4, s[10:11] scope:SCOPE_SYS
	s_wait_loadcnt 0x0
	global_inv scope:SCOPE_SYS
	v_cmp_eq_u32_e32 vcc_lo, 0, v1
	v_mov_b32_e32 v1, 0
	s_or_not1_b32 s3, vcc_lo, exec_lo
.LBB1_403:                              ;   in Loop: Header=BB1_401 Depth=2
	s_wait_xcnt 0x0
	s_or_b32 exec_lo, exec_lo, s12
	s_and_saveexec_b32 s12, s3
	s_cbranch_execz .LBB1_405
; %bb.404:                              ;   in Loop: Header=BB1_401 Depth=2
	s_wait_loadcnt 0x0
	v_cmp_eq_u32_e32 vcc_lo, s6, v7
	v_cmp_eq_u32_e64 s0, s6, v9
	s_and_b32 s0, vcc_lo, s0
	s_delay_alu instid0(SALU_CYCLE_1)
	s_or_not1_b32 s0, s0, exec_lo
.LBB1_405:                              ;   in Loop: Header=BB1_401 Depth=2
	s_or_b32 exec_lo, exec_lo, s12
	s_delay_alu instid0(SALU_CYCLE_1) | instskip(NEXT) | instid1(SALU_CYCLE_1)
	s_and_b32 s0, exec_lo, s0
	s_or_b32 s1, s0, s1
	s_delay_alu instid0(SALU_CYCLE_1)
	s_and_not1_b32 exec_lo, exec_lo, s1
	s_cbranch_execnz .LBB1_401
; %bb.406:                              ;   in Loop: Header=BB1_401 Depth=2
	s_or_b32 exec_lo, exec_lo, s1
	s_wait_loadcnt 0x0
	v_dual_mov_b32 v7, v8 :: v_dual_mov_b32 v1, 0
	s_mov_b32 s1, 0
	s_delay_alu instid0(VALU_DEP_1) | instskip(SKIP_1) | instid1(SALU_CYCLE_1)
	v_cmp_eq_u64_e32 vcc_lo, s[6:7], v[6:7]
	s_or_b32 s14, vcc_lo, s14
	s_and_not1_b32 exec_lo, exec_lo, s14
	s_cbranch_execnz .LBB1_401
; %bb.407:                              ;   in Loop: Header=BB1_1 Depth=1
	s_or_b32 exec_lo, exec_lo, s14
	s_add_co_i32 s12, s2, 58
	s_mov_b32 s14, 0
	s_mul_hi_u32 s0, s12, 0x10624dd3
	s_mov_b32 s15, s6
	s_lshr_b32 s0, s0, 6
	s_mov_b32 s17, s5
	s_mul_i32 s3, s0, 0x3e8
	s_or_b64 s[0:1], s[14:15], s[6:7]
	s_sub_co_i32 s3, s12, s3
	v_lshl_add_u64 v[6:7], s[4:5], 4, v[12:13]
	s_lshl_b32 s16, s3, 12
	v_dual_mov_b32 v2, s0 :: v_dual_mov_b32 v3, s1
	v_add_nc_u64_e32 v[14:15], s[16:17], v[10:11]
	v_dual_mov_b32 v5, s6 :: v_dual_mov_b32 v1, 0
	s_lshl_b32 s4, s3, 8
	s_mov_b32 s13, s5
	s_mov_b32 s1, s14
	global_store_b128 v[6:7], v[2:5], off th:TH_STORE_NT
.LBB1_408:                              ;   Parent Loop BB1_1 Depth=1
                                        ; =>  This Inner Loop Header: Depth=2
	s_wait_loadcnt 0x0
	global_load_b128 v[6:9], v[14:15], off th:TH_LOAD_NT
	v_add_nc_u32_e32 v1, 1, v1
	s_mov_b32 s0, -1
	s_mov_b32 s3, -1
	s_mov_b32 s6, exec_lo
	s_wait_xcnt 0x0
	v_cmpx_eq_u32_e32 0xf4240, v1
	s_cbranch_execz .LBB1_410
; %bb.409:                              ;   in Loop: Header=BB1_408 Depth=2
	s_wait_loadcnt 0x0
	s_wait_storecnt 0x0
	global_load_b32 v1, v4, s[10:11] scope:SCOPE_SYS
	s_wait_loadcnt 0x0
	global_inv scope:SCOPE_SYS
	v_cmp_eq_u32_e32 vcc_lo, 0, v1
	v_mov_b32_e32 v1, 0
	s_or_not1_b32 s3, vcc_lo, exec_lo
.LBB1_410:                              ;   in Loop: Header=BB1_408 Depth=2
	s_wait_xcnt 0x0
	s_or_b32 exec_lo, exec_lo, s6
	s_and_saveexec_b32 s6, s3
	s_cbranch_execz .LBB1_412
; %bb.411:                              ;   in Loop: Header=BB1_408 Depth=2
	s_wait_loadcnt 0x0
	v_cmp_eq_u32_e32 vcc_lo, s12, v7
	v_cmp_eq_u32_e64 s0, s12, v9
	s_and_b32 s0, vcc_lo, s0
	s_delay_alu instid0(SALU_CYCLE_1)
	s_or_not1_b32 s0, s0, exec_lo
.LBB1_412:                              ;   in Loop: Header=BB1_408 Depth=2
	s_or_b32 exec_lo, exec_lo, s6
	s_delay_alu instid0(SALU_CYCLE_1) | instskip(NEXT) | instid1(SALU_CYCLE_1)
	s_and_b32 s0, exec_lo, s0
	s_or_b32 s1, s0, s1
	s_delay_alu instid0(SALU_CYCLE_1)
	s_and_not1_b32 exec_lo, exec_lo, s1
	s_cbranch_execnz .LBB1_408
; %bb.413:                              ;   in Loop: Header=BB1_408 Depth=2
	s_or_b32 exec_lo, exec_lo, s1
	s_wait_loadcnt 0x0
	v_dual_mov_b32 v7, v8 :: v_dual_mov_b32 v1, 0
	s_mov_b32 s1, 0
	s_delay_alu instid0(VALU_DEP_1) | instskip(SKIP_1) | instid1(SALU_CYCLE_1)
	v_cmp_eq_u64_e32 vcc_lo, s[12:13], v[6:7]
	s_or_b32 s14, vcc_lo, s14
	s_and_not1_b32 exec_lo, exec_lo, s14
	s_cbranch_execnz .LBB1_408
; %bb.414:                              ;   in Loop: Header=BB1_1 Depth=1
	s_or_b32 exec_lo, exec_lo, s14
	s_add_co_i32 s6, s2, 59
	s_mov_b32 s14, 0
	s_mul_hi_u32 s0, s6, 0x10624dd3
	s_mov_b32 s15, s12
	s_lshr_b32 s0, s0, 6
	s_mov_b32 s17, s5
	s_mul_i32 s3, s0, 0x3e8
	s_or_b64 s[0:1], s[14:15], s[12:13]
	s_sub_co_i32 s3, s6, s3
	v_lshl_add_u64 v[6:7], s[4:5], 4, v[12:13]
	s_lshl_b32 s16, s3, 12
	v_dual_mov_b32 v2, s0 :: v_dual_mov_b32 v3, s1
	v_add_nc_u64_e32 v[14:15], s[16:17], v[10:11]
	v_dual_mov_b32 v5, s12 :: v_dual_mov_b32 v1, 0
	s_lshl_b32 s4, s3, 8
	s_mov_b32 s7, s5
	s_mov_b32 s1, s14
	global_store_b128 v[6:7], v[2:5], off th:TH_STORE_NT
.LBB1_415:                              ;   Parent Loop BB1_1 Depth=1
                                        ; =>  This Inner Loop Header: Depth=2
	s_wait_loadcnt 0x0
	global_load_b128 v[6:9], v[14:15], off th:TH_LOAD_NT
	v_add_nc_u32_e32 v1, 1, v1
	s_mov_b32 s0, -1
	s_mov_b32 s3, -1
	s_mov_b32 s12, exec_lo
	s_wait_xcnt 0x0
	v_cmpx_eq_u32_e32 0xf4240, v1
	s_cbranch_execz .LBB1_417
; %bb.416:                              ;   in Loop: Header=BB1_415 Depth=2
	s_wait_loadcnt 0x0
	s_wait_storecnt 0x0
	global_load_b32 v1, v4, s[10:11] scope:SCOPE_SYS
	s_wait_loadcnt 0x0
	global_inv scope:SCOPE_SYS
	v_cmp_eq_u32_e32 vcc_lo, 0, v1
	v_mov_b32_e32 v1, 0
	s_or_not1_b32 s3, vcc_lo, exec_lo
.LBB1_417:                              ;   in Loop: Header=BB1_415 Depth=2
	s_wait_xcnt 0x0
	s_or_b32 exec_lo, exec_lo, s12
	s_and_saveexec_b32 s12, s3
	s_cbranch_execz .LBB1_419
; %bb.418:                              ;   in Loop: Header=BB1_415 Depth=2
	s_wait_loadcnt 0x0
	v_cmp_eq_u32_e32 vcc_lo, s6, v7
	v_cmp_eq_u32_e64 s0, s6, v9
	s_and_b32 s0, vcc_lo, s0
	s_delay_alu instid0(SALU_CYCLE_1)
	s_or_not1_b32 s0, s0, exec_lo
.LBB1_419:                              ;   in Loop: Header=BB1_415 Depth=2
	s_or_b32 exec_lo, exec_lo, s12
	s_delay_alu instid0(SALU_CYCLE_1) | instskip(NEXT) | instid1(SALU_CYCLE_1)
	s_and_b32 s0, exec_lo, s0
	s_or_b32 s1, s0, s1
	s_delay_alu instid0(SALU_CYCLE_1)
	s_and_not1_b32 exec_lo, exec_lo, s1
	s_cbranch_execnz .LBB1_415
; %bb.420:                              ;   in Loop: Header=BB1_415 Depth=2
	s_or_b32 exec_lo, exec_lo, s1
	s_wait_loadcnt 0x0
	v_dual_mov_b32 v7, v8 :: v_dual_mov_b32 v1, 0
	s_mov_b32 s1, 0
	s_delay_alu instid0(VALU_DEP_1) | instskip(SKIP_1) | instid1(SALU_CYCLE_1)
	v_cmp_eq_u64_e32 vcc_lo, s[6:7], v[6:7]
	s_or_b32 s14, vcc_lo, s14
	s_and_not1_b32 exec_lo, exec_lo, s14
	s_cbranch_execnz .LBB1_415
; %bb.421:                              ;   in Loop: Header=BB1_1 Depth=1
	s_or_b32 exec_lo, exec_lo, s14
	s_add_co_i32 s12, s2, 60
	s_mov_b32 s14, 0
	s_mul_hi_u32 s0, s12, 0x10624dd3
	s_mov_b32 s15, s6
	s_lshr_b32 s0, s0, 6
	s_mov_b32 s17, s5
	s_mul_i32 s3, s0, 0x3e8
	s_or_b64 s[0:1], s[14:15], s[6:7]
	s_sub_co_i32 s3, s12, s3
	v_lshl_add_u64 v[6:7], s[4:5], 4, v[12:13]
	s_lshl_b32 s16, s3, 12
	v_dual_mov_b32 v2, s0 :: v_dual_mov_b32 v3, s1
	v_add_nc_u64_e32 v[14:15], s[16:17], v[10:11]
	v_dual_mov_b32 v5, s6 :: v_dual_mov_b32 v1, 0
	s_lshl_b32 s4, s3, 8
	s_mov_b32 s13, s5
	s_mov_b32 s1, s14
	global_store_b128 v[6:7], v[2:5], off th:TH_STORE_NT
.LBB1_422:                              ;   Parent Loop BB1_1 Depth=1
                                        ; =>  This Inner Loop Header: Depth=2
	s_wait_loadcnt 0x0
	global_load_b128 v[6:9], v[14:15], off th:TH_LOAD_NT
	v_add_nc_u32_e32 v1, 1, v1
	s_mov_b32 s0, -1
	s_mov_b32 s3, -1
	s_mov_b32 s6, exec_lo
	s_wait_xcnt 0x0
	v_cmpx_eq_u32_e32 0xf4240, v1
	s_cbranch_execz .LBB1_424
; %bb.423:                              ;   in Loop: Header=BB1_422 Depth=2
	s_wait_loadcnt 0x0
	s_wait_storecnt 0x0
	global_load_b32 v1, v4, s[10:11] scope:SCOPE_SYS
	s_wait_loadcnt 0x0
	global_inv scope:SCOPE_SYS
	v_cmp_eq_u32_e32 vcc_lo, 0, v1
	v_mov_b32_e32 v1, 0
	s_or_not1_b32 s3, vcc_lo, exec_lo
.LBB1_424:                              ;   in Loop: Header=BB1_422 Depth=2
	s_wait_xcnt 0x0
	s_or_b32 exec_lo, exec_lo, s6
	s_and_saveexec_b32 s6, s3
	s_cbranch_execz .LBB1_426
; %bb.425:                              ;   in Loop: Header=BB1_422 Depth=2
	s_wait_loadcnt 0x0
	v_cmp_eq_u32_e32 vcc_lo, s12, v7
	v_cmp_eq_u32_e64 s0, s12, v9
	s_and_b32 s0, vcc_lo, s0
	s_delay_alu instid0(SALU_CYCLE_1)
	s_or_not1_b32 s0, s0, exec_lo
.LBB1_426:                              ;   in Loop: Header=BB1_422 Depth=2
	s_or_b32 exec_lo, exec_lo, s6
	s_delay_alu instid0(SALU_CYCLE_1) | instskip(NEXT) | instid1(SALU_CYCLE_1)
	s_and_b32 s0, exec_lo, s0
	s_or_b32 s1, s0, s1
	s_delay_alu instid0(SALU_CYCLE_1)
	s_and_not1_b32 exec_lo, exec_lo, s1
	s_cbranch_execnz .LBB1_422
; %bb.427:                              ;   in Loop: Header=BB1_422 Depth=2
	s_or_b32 exec_lo, exec_lo, s1
	s_wait_loadcnt 0x0
	v_dual_mov_b32 v7, v8 :: v_dual_mov_b32 v1, 0
	s_mov_b32 s1, 0
	s_delay_alu instid0(VALU_DEP_1) | instskip(SKIP_1) | instid1(SALU_CYCLE_1)
	v_cmp_eq_u64_e32 vcc_lo, s[12:13], v[6:7]
	s_or_b32 s14, vcc_lo, s14
	s_and_not1_b32 exec_lo, exec_lo, s14
	s_cbranch_execnz .LBB1_422
; %bb.428:                              ;   in Loop: Header=BB1_1 Depth=1
	s_or_b32 exec_lo, exec_lo, s14
	s_add_co_i32 s6, s2, 61
	s_mov_b32 s14, 0
	s_mul_hi_u32 s0, s6, 0x10624dd3
	s_mov_b32 s15, s12
	s_lshr_b32 s0, s0, 6
	s_mov_b32 s17, s5
	s_mul_i32 s3, s0, 0x3e8
	s_or_b64 s[0:1], s[14:15], s[12:13]
	s_sub_co_i32 s3, s6, s3
	v_lshl_add_u64 v[6:7], s[4:5], 4, v[12:13]
	s_lshl_b32 s16, s3, 12
	v_dual_mov_b32 v2, s0 :: v_dual_mov_b32 v3, s1
	v_add_nc_u64_e32 v[14:15], s[16:17], v[10:11]
	v_dual_mov_b32 v5, s12 :: v_dual_mov_b32 v1, 0
	s_lshl_b32 s4, s3, 8
	s_mov_b32 s7, s5
	s_mov_b32 s1, s14
	global_store_b128 v[6:7], v[2:5], off th:TH_STORE_NT
.LBB1_429:                              ;   Parent Loop BB1_1 Depth=1
                                        ; =>  This Inner Loop Header: Depth=2
	s_wait_loadcnt 0x0
	global_load_b128 v[6:9], v[14:15], off th:TH_LOAD_NT
	v_add_nc_u32_e32 v1, 1, v1
	s_mov_b32 s0, -1
	s_mov_b32 s3, -1
	s_mov_b32 s12, exec_lo
	s_wait_xcnt 0x0
	v_cmpx_eq_u32_e32 0xf4240, v1
	s_cbranch_execz .LBB1_431
; %bb.430:                              ;   in Loop: Header=BB1_429 Depth=2
	s_wait_loadcnt 0x0
	s_wait_storecnt 0x0
	global_load_b32 v1, v4, s[10:11] scope:SCOPE_SYS
	s_wait_loadcnt 0x0
	global_inv scope:SCOPE_SYS
	v_cmp_eq_u32_e32 vcc_lo, 0, v1
	v_mov_b32_e32 v1, 0
	s_or_not1_b32 s3, vcc_lo, exec_lo
.LBB1_431:                              ;   in Loop: Header=BB1_429 Depth=2
	s_wait_xcnt 0x0
	s_or_b32 exec_lo, exec_lo, s12
	s_and_saveexec_b32 s12, s3
	s_cbranch_execz .LBB1_433
; %bb.432:                              ;   in Loop: Header=BB1_429 Depth=2
	s_wait_loadcnt 0x0
	v_cmp_eq_u32_e32 vcc_lo, s6, v7
	v_cmp_eq_u32_e64 s0, s6, v9
	s_and_b32 s0, vcc_lo, s0
	s_delay_alu instid0(SALU_CYCLE_1)
	s_or_not1_b32 s0, s0, exec_lo
.LBB1_433:                              ;   in Loop: Header=BB1_429 Depth=2
	s_or_b32 exec_lo, exec_lo, s12
	s_delay_alu instid0(SALU_CYCLE_1) | instskip(NEXT) | instid1(SALU_CYCLE_1)
	s_and_b32 s0, exec_lo, s0
	s_or_b32 s1, s0, s1
	s_delay_alu instid0(SALU_CYCLE_1)
	s_and_not1_b32 exec_lo, exec_lo, s1
	s_cbranch_execnz .LBB1_429
; %bb.434:                              ;   in Loop: Header=BB1_429 Depth=2
	s_or_b32 exec_lo, exec_lo, s1
	s_wait_loadcnt 0x0
	v_dual_mov_b32 v7, v8 :: v_dual_mov_b32 v1, 0
	s_mov_b32 s1, 0
	s_delay_alu instid0(VALU_DEP_1) | instskip(SKIP_1) | instid1(SALU_CYCLE_1)
	v_cmp_eq_u64_e32 vcc_lo, s[6:7], v[6:7]
	s_or_b32 s14, vcc_lo, s14
	s_and_not1_b32 exec_lo, exec_lo, s14
	s_cbranch_execnz .LBB1_429
; %bb.435:                              ;   in Loop: Header=BB1_1 Depth=1
	s_or_b32 exec_lo, exec_lo, s14
	s_add_co_i32 s12, s2, 62
	s_mov_b32 s14, 0
	s_mul_hi_u32 s0, s12, 0x10624dd3
	s_mov_b32 s15, s6
	s_lshr_b32 s0, s0, 6
	s_mov_b32 s17, s5
	s_mul_i32 s3, s0, 0x3e8
	s_or_b64 s[0:1], s[14:15], s[6:7]
	s_sub_co_i32 s3, s12, s3
	v_lshl_add_u64 v[6:7], s[4:5], 4, v[12:13]
	s_lshl_b32 s16, s3, 12
	v_dual_mov_b32 v2, s0 :: v_dual_mov_b32 v3, s1
	v_add_nc_u64_e32 v[14:15], s[16:17], v[10:11]
	v_dual_mov_b32 v5, s6 :: v_dual_mov_b32 v1, 0
	s_lshl_b32 s4, s3, 8
	s_mov_b32 s13, s5
	s_mov_b32 s1, s14
	global_store_b128 v[6:7], v[2:5], off th:TH_STORE_NT
.LBB1_436:                              ;   Parent Loop BB1_1 Depth=1
                                        ; =>  This Inner Loop Header: Depth=2
	s_wait_loadcnt 0x0
	global_load_b128 v[6:9], v[14:15], off th:TH_LOAD_NT
	v_add_nc_u32_e32 v1, 1, v1
	s_mov_b32 s0, -1
	s_mov_b32 s3, -1
	s_mov_b32 s6, exec_lo
	s_wait_xcnt 0x0
	v_cmpx_eq_u32_e32 0xf4240, v1
	s_cbranch_execz .LBB1_438
; %bb.437:                              ;   in Loop: Header=BB1_436 Depth=2
	s_wait_loadcnt 0x0
	s_wait_storecnt 0x0
	global_load_b32 v1, v4, s[10:11] scope:SCOPE_SYS
	s_wait_loadcnt 0x0
	global_inv scope:SCOPE_SYS
	v_cmp_eq_u32_e32 vcc_lo, 0, v1
	v_mov_b32_e32 v1, 0
	s_or_not1_b32 s3, vcc_lo, exec_lo
.LBB1_438:                              ;   in Loop: Header=BB1_436 Depth=2
	s_wait_xcnt 0x0
	s_or_b32 exec_lo, exec_lo, s6
	s_and_saveexec_b32 s6, s3
	s_cbranch_execz .LBB1_440
; %bb.439:                              ;   in Loop: Header=BB1_436 Depth=2
	s_wait_loadcnt 0x0
	v_cmp_eq_u32_e32 vcc_lo, s12, v7
	v_cmp_eq_u32_e64 s0, s12, v9
	s_and_b32 s0, vcc_lo, s0
	s_delay_alu instid0(SALU_CYCLE_1)
	s_or_not1_b32 s0, s0, exec_lo
.LBB1_440:                              ;   in Loop: Header=BB1_436 Depth=2
	s_or_b32 exec_lo, exec_lo, s6
	s_delay_alu instid0(SALU_CYCLE_1) | instskip(NEXT) | instid1(SALU_CYCLE_1)
	s_and_b32 s0, exec_lo, s0
	s_or_b32 s1, s0, s1
	s_delay_alu instid0(SALU_CYCLE_1)
	s_and_not1_b32 exec_lo, exec_lo, s1
	s_cbranch_execnz .LBB1_436
; %bb.441:                              ;   in Loop: Header=BB1_436 Depth=2
	s_or_b32 exec_lo, exec_lo, s1
	s_wait_loadcnt 0x0
	v_dual_mov_b32 v7, v8 :: v_dual_mov_b32 v1, 0
	s_mov_b32 s1, 0
	s_delay_alu instid0(VALU_DEP_1) | instskip(SKIP_1) | instid1(SALU_CYCLE_1)
	v_cmp_eq_u64_e32 vcc_lo, s[12:13], v[6:7]
	s_or_b32 s14, vcc_lo, s14
	s_and_not1_b32 exec_lo, exec_lo, s14
	s_cbranch_execnz .LBB1_436
; %bb.442:                              ;   in Loop: Header=BB1_1 Depth=1
	s_or_b32 exec_lo, exec_lo, s14
	s_add_co_i32 s6, s2, 63
	s_mov_b32 s14, 0
	s_mul_hi_u32 s0, s6, 0x10624dd3
	s_mov_b32 s15, s12
	s_lshr_b32 s0, s0, 6
	s_mov_b32 s17, s5
	s_mul_i32 s3, s0, 0x3e8
	s_or_b64 s[0:1], s[14:15], s[12:13]
	s_sub_co_i32 s3, s6, s3
	v_lshl_add_u64 v[6:7], s[4:5], 4, v[12:13]
	s_lshl_b32 s16, s3, 12
	v_dual_mov_b32 v2, s0 :: v_dual_mov_b32 v3, s1
	v_add_nc_u64_e32 v[14:15], s[16:17], v[10:11]
	v_dual_mov_b32 v5, s12 :: v_dual_mov_b32 v1, 0
	s_lshl_b32 s4, s3, 8
	s_mov_b32 s7, s5
	s_mov_b32 s1, s14
	global_store_b128 v[6:7], v[2:5], off th:TH_STORE_NT
.LBB1_443:                              ;   Parent Loop BB1_1 Depth=1
                                        ; =>  This Inner Loop Header: Depth=2
	s_wait_loadcnt 0x0
	global_load_b128 v[6:9], v[14:15], off th:TH_LOAD_NT
	v_add_nc_u32_e32 v1, 1, v1
	s_mov_b32 s0, -1
	s_mov_b32 s3, -1
	s_mov_b32 s12, exec_lo
	s_wait_xcnt 0x0
	v_cmpx_eq_u32_e32 0xf4240, v1
	s_cbranch_execz .LBB1_445
; %bb.444:                              ;   in Loop: Header=BB1_443 Depth=2
	s_wait_loadcnt 0x0
	s_wait_storecnt 0x0
	global_load_b32 v1, v4, s[10:11] scope:SCOPE_SYS
	s_wait_loadcnt 0x0
	global_inv scope:SCOPE_SYS
	v_cmp_eq_u32_e32 vcc_lo, 0, v1
	v_mov_b32_e32 v1, 0
	s_or_not1_b32 s3, vcc_lo, exec_lo
.LBB1_445:                              ;   in Loop: Header=BB1_443 Depth=2
	s_wait_xcnt 0x0
	s_or_b32 exec_lo, exec_lo, s12
	s_and_saveexec_b32 s12, s3
	s_cbranch_execz .LBB1_447
; %bb.446:                              ;   in Loop: Header=BB1_443 Depth=2
	s_wait_loadcnt 0x0
	v_cmp_eq_u32_e32 vcc_lo, s6, v7
	v_cmp_eq_u32_e64 s0, s6, v9
	s_and_b32 s0, vcc_lo, s0
	s_delay_alu instid0(SALU_CYCLE_1)
	s_or_not1_b32 s0, s0, exec_lo
.LBB1_447:                              ;   in Loop: Header=BB1_443 Depth=2
	s_or_b32 exec_lo, exec_lo, s12
	s_delay_alu instid0(SALU_CYCLE_1) | instskip(NEXT) | instid1(SALU_CYCLE_1)
	s_and_b32 s0, exec_lo, s0
	s_or_b32 s1, s0, s1
	s_delay_alu instid0(SALU_CYCLE_1)
	s_and_not1_b32 exec_lo, exec_lo, s1
	s_cbranch_execnz .LBB1_443
; %bb.448:                              ;   in Loop: Header=BB1_443 Depth=2
	s_or_b32 exec_lo, exec_lo, s1
	s_wait_loadcnt 0x0
	v_dual_mov_b32 v7, v8 :: v_dual_mov_b32 v1, 0
	s_mov_b32 s1, 0
	s_delay_alu instid0(VALU_DEP_1) | instskip(SKIP_1) | instid1(SALU_CYCLE_1)
	v_cmp_eq_u64_e32 vcc_lo, s[6:7], v[6:7]
	s_or_b32 s14, vcc_lo, s14
	s_and_not1_b32 exec_lo, exec_lo, s14
	s_cbranch_execnz .LBB1_443
; %bb.449:                              ;   in Loop: Header=BB1_1 Depth=1
	s_or_b32 exec_lo, exec_lo, s14
	s_add_co_i32 s12, s2, 64
	s_mov_b32 s14, 0
	s_mul_hi_u32 s0, s12, 0x10624dd3
	s_mov_b32 s15, s6
	s_lshr_b32 s0, s0, 6
	s_mov_b32 s17, s5
	s_mul_i32 s3, s0, 0x3e8
	s_or_b64 s[0:1], s[14:15], s[6:7]
	s_sub_co_i32 s3, s12, s3
	v_lshl_add_u64 v[6:7], s[4:5], 4, v[12:13]
	s_lshl_b32 s16, s3, 12
	v_dual_mov_b32 v2, s0 :: v_dual_mov_b32 v3, s1
	v_add_nc_u64_e32 v[14:15], s[16:17], v[10:11]
	v_dual_mov_b32 v5, s6 :: v_dual_mov_b32 v1, 0
	s_lshl_b32 s4, s3, 8
	s_mov_b32 s13, s5
	s_mov_b32 s1, s14
	global_store_b128 v[6:7], v[2:5], off th:TH_STORE_NT
.LBB1_450:                              ;   Parent Loop BB1_1 Depth=1
                                        ; =>  This Inner Loop Header: Depth=2
	s_wait_loadcnt 0x0
	global_load_b128 v[6:9], v[14:15], off th:TH_LOAD_NT
	v_add_nc_u32_e32 v1, 1, v1
	s_mov_b32 s0, -1
	s_mov_b32 s3, -1
	s_mov_b32 s6, exec_lo
	s_wait_xcnt 0x0
	v_cmpx_eq_u32_e32 0xf4240, v1
	s_cbranch_execz .LBB1_452
; %bb.451:                              ;   in Loop: Header=BB1_450 Depth=2
	s_wait_loadcnt 0x0
	s_wait_storecnt 0x0
	global_load_b32 v1, v4, s[10:11] scope:SCOPE_SYS
	s_wait_loadcnt 0x0
	global_inv scope:SCOPE_SYS
	v_cmp_eq_u32_e32 vcc_lo, 0, v1
	v_mov_b32_e32 v1, 0
	s_or_not1_b32 s3, vcc_lo, exec_lo
.LBB1_452:                              ;   in Loop: Header=BB1_450 Depth=2
	s_wait_xcnt 0x0
	s_or_b32 exec_lo, exec_lo, s6
	s_and_saveexec_b32 s6, s3
	s_cbranch_execz .LBB1_454
; %bb.453:                              ;   in Loop: Header=BB1_450 Depth=2
	s_wait_loadcnt 0x0
	v_cmp_eq_u32_e32 vcc_lo, s12, v7
	v_cmp_eq_u32_e64 s0, s12, v9
	s_and_b32 s0, vcc_lo, s0
	s_delay_alu instid0(SALU_CYCLE_1)
	s_or_not1_b32 s0, s0, exec_lo
.LBB1_454:                              ;   in Loop: Header=BB1_450 Depth=2
	s_or_b32 exec_lo, exec_lo, s6
	s_delay_alu instid0(SALU_CYCLE_1) | instskip(NEXT) | instid1(SALU_CYCLE_1)
	s_and_b32 s0, exec_lo, s0
	s_or_b32 s1, s0, s1
	s_delay_alu instid0(SALU_CYCLE_1)
	s_and_not1_b32 exec_lo, exec_lo, s1
	s_cbranch_execnz .LBB1_450
; %bb.455:                              ;   in Loop: Header=BB1_450 Depth=2
	s_or_b32 exec_lo, exec_lo, s1
	s_wait_loadcnt 0x0
	v_dual_mov_b32 v7, v8 :: v_dual_mov_b32 v1, 0
	s_mov_b32 s1, 0
	s_delay_alu instid0(VALU_DEP_1) | instskip(SKIP_1) | instid1(SALU_CYCLE_1)
	v_cmp_eq_u64_e32 vcc_lo, s[12:13], v[6:7]
	s_or_b32 s14, vcc_lo, s14
	s_and_not1_b32 exec_lo, exec_lo, s14
	s_cbranch_execnz .LBB1_450
; %bb.456:                              ;   in Loop: Header=BB1_1 Depth=1
	s_or_b32 exec_lo, exec_lo, s14
	s_add_co_i32 s6, s2, 0x41
	s_mov_b32 s14, 0
	s_mul_hi_u32 s0, s6, 0x10624dd3
	s_mov_b32 s15, s12
	s_lshr_b32 s0, s0, 6
	s_mov_b32 s17, s5
	s_mul_i32 s3, s0, 0x3e8
	s_or_b64 s[0:1], s[14:15], s[12:13]
	s_sub_co_i32 s3, s6, s3
	v_lshl_add_u64 v[6:7], s[4:5], 4, v[12:13]
	s_lshl_b32 s16, s3, 12
	v_dual_mov_b32 v2, s0 :: v_dual_mov_b32 v3, s1
	v_add_nc_u64_e32 v[14:15], s[16:17], v[10:11]
	v_dual_mov_b32 v5, s12 :: v_dual_mov_b32 v1, 0
	s_lshl_b32 s4, s3, 8
	s_mov_b32 s7, s5
	s_mov_b32 s1, s14
	global_store_b128 v[6:7], v[2:5], off th:TH_STORE_NT
.LBB1_457:                              ;   Parent Loop BB1_1 Depth=1
                                        ; =>  This Inner Loop Header: Depth=2
	s_wait_loadcnt 0x0
	global_load_b128 v[6:9], v[14:15], off th:TH_LOAD_NT
	v_add_nc_u32_e32 v1, 1, v1
	s_mov_b32 s0, -1
	s_mov_b32 s3, -1
	s_mov_b32 s12, exec_lo
	s_wait_xcnt 0x0
	v_cmpx_eq_u32_e32 0xf4240, v1
	s_cbranch_execz .LBB1_459
; %bb.458:                              ;   in Loop: Header=BB1_457 Depth=2
	s_wait_loadcnt 0x0
	s_wait_storecnt 0x0
	global_load_b32 v1, v4, s[10:11] scope:SCOPE_SYS
	s_wait_loadcnt 0x0
	global_inv scope:SCOPE_SYS
	v_cmp_eq_u32_e32 vcc_lo, 0, v1
	v_mov_b32_e32 v1, 0
	s_or_not1_b32 s3, vcc_lo, exec_lo
.LBB1_459:                              ;   in Loop: Header=BB1_457 Depth=2
	s_wait_xcnt 0x0
	s_or_b32 exec_lo, exec_lo, s12
	s_and_saveexec_b32 s12, s3
	s_cbranch_execz .LBB1_461
; %bb.460:                              ;   in Loop: Header=BB1_457 Depth=2
	s_wait_loadcnt 0x0
	v_cmp_eq_u32_e32 vcc_lo, s6, v7
	v_cmp_eq_u32_e64 s0, s6, v9
	s_and_b32 s0, vcc_lo, s0
	s_delay_alu instid0(SALU_CYCLE_1)
	s_or_not1_b32 s0, s0, exec_lo
.LBB1_461:                              ;   in Loop: Header=BB1_457 Depth=2
	s_or_b32 exec_lo, exec_lo, s12
	s_delay_alu instid0(SALU_CYCLE_1) | instskip(NEXT) | instid1(SALU_CYCLE_1)
	s_and_b32 s0, exec_lo, s0
	s_or_b32 s1, s0, s1
	s_delay_alu instid0(SALU_CYCLE_1)
	s_and_not1_b32 exec_lo, exec_lo, s1
	s_cbranch_execnz .LBB1_457
; %bb.462:                              ;   in Loop: Header=BB1_457 Depth=2
	s_or_b32 exec_lo, exec_lo, s1
	s_wait_loadcnt 0x0
	v_dual_mov_b32 v7, v8 :: v_dual_mov_b32 v1, 0
	s_mov_b32 s1, 0
	s_delay_alu instid0(VALU_DEP_1) | instskip(SKIP_1) | instid1(SALU_CYCLE_1)
	v_cmp_eq_u64_e32 vcc_lo, s[6:7], v[6:7]
	s_or_b32 s14, vcc_lo, s14
	s_and_not1_b32 exec_lo, exec_lo, s14
	s_cbranch_execnz .LBB1_457
; %bb.463:                              ;   in Loop: Header=BB1_1 Depth=1
	s_or_b32 exec_lo, exec_lo, s14
	s_add_co_i32 s12, s2, 0x42
	s_mov_b32 s14, 0
	s_mul_hi_u32 s0, s12, 0x10624dd3
	s_mov_b32 s15, s6
	s_lshr_b32 s0, s0, 6
	s_mov_b32 s17, s5
	s_mul_i32 s3, s0, 0x3e8
	s_or_b64 s[0:1], s[14:15], s[6:7]
	s_sub_co_i32 s3, s12, s3
	v_lshl_add_u64 v[6:7], s[4:5], 4, v[12:13]
	s_lshl_b32 s16, s3, 12
	v_dual_mov_b32 v2, s0 :: v_dual_mov_b32 v3, s1
	v_add_nc_u64_e32 v[14:15], s[16:17], v[10:11]
	v_dual_mov_b32 v5, s6 :: v_dual_mov_b32 v1, 0
	s_lshl_b32 s4, s3, 8
	s_mov_b32 s13, s5
	s_mov_b32 s1, s14
	global_store_b128 v[6:7], v[2:5], off th:TH_STORE_NT
.LBB1_464:                              ;   Parent Loop BB1_1 Depth=1
                                        ; =>  This Inner Loop Header: Depth=2
	s_wait_loadcnt 0x0
	global_load_b128 v[6:9], v[14:15], off th:TH_LOAD_NT
	v_add_nc_u32_e32 v1, 1, v1
	s_mov_b32 s0, -1
	s_mov_b32 s3, -1
	s_mov_b32 s6, exec_lo
	s_wait_xcnt 0x0
	v_cmpx_eq_u32_e32 0xf4240, v1
	s_cbranch_execz .LBB1_466
; %bb.465:                              ;   in Loop: Header=BB1_464 Depth=2
	s_wait_loadcnt 0x0
	s_wait_storecnt 0x0
	global_load_b32 v1, v4, s[10:11] scope:SCOPE_SYS
	s_wait_loadcnt 0x0
	global_inv scope:SCOPE_SYS
	v_cmp_eq_u32_e32 vcc_lo, 0, v1
	v_mov_b32_e32 v1, 0
	s_or_not1_b32 s3, vcc_lo, exec_lo
.LBB1_466:                              ;   in Loop: Header=BB1_464 Depth=2
	s_wait_xcnt 0x0
	s_or_b32 exec_lo, exec_lo, s6
	s_and_saveexec_b32 s6, s3
	s_cbranch_execz .LBB1_468
; %bb.467:                              ;   in Loop: Header=BB1_464 Depth=2
	s_wait_loadcnt 0x0
	v_cmp_eq_u32_e32 vcc_lo, s12, v7
	v_cmp_eq_u32_e64 s0, s12, v9
	s_and_b32 s0, vcc_lo, s0
	s_delay_alu instid0(SALU_CYCLE_1)
	s_or_not1_b32 s0, s0, exec_lo
.LBB1_468:                              ;   in Loop: Header=BB1_464 Depth=2
	s_or_b32 exec_lo, exec_lo, s6
	s_delay_alu instid0(SALU_CYCLE_1) | instskip(NEXT) | instid1(SALU_CYCLE_1)
	s_and_b32 s0, exec_lo, s0
	s_or_b32 s1, s0, s1
	s_delay_alu instid0(SALU_CYCLE_1)
	s_and_not1_b32 exec_lo, exec_lo, s1
	s_cbranch_execnz .LBB1_464
; %bb.469:                              ;   in Loop: Header=BB1_464 Depth=2
	s_or_b32 exec_lo, exec_lo, s1
	s_wait_loadcnt 0x0
	v_dual_mov_b32 v7, v8 :: v_dual_mov_b32 v1, 0
	s_mov_b32 s1, 0
	s_delay_alu instid0(VALU_DEP_1) | instskip(SKIP_1) | instid1(SALU_CYCLE_1)
	v_cmp_eq_u64_e32 vcc_lo, s[12:13], v[6:7]
	s_or_b32 s14, vcc_lo, s14
	s_and_not1_b32 exec_lo, exec_lo, s14
	s_cbranch_execnz .LBB1_464
; %bb.470:                              ;   in Loop: Header=BB1_1 Depth=1
	s_or_b32 exec_lo, exec_lo, s14
	s_add_co_i32 s6, s2, 0x43
	s_mov_b32 s14, 0
	s_mul_hi_u32 s0, s6, 0x10624dd3
	s_mov_b32 s15, s12
	s_lshr_b32 s0, s0, 6
	s_mov_b32 s17, s5
	s_mul_i32 s3, s0, 0x3e8
	s_or_b64 s[0:1], s[14:15], s[12:13]
	s_sub_co_i32 s3, s6, s3
	v_lshl_add_u64 v[6:7], s[4:5], 4, v[12:13]
	s_lshl_b32 s16, s3, 12
	v_dual_mov_b32 v2, s0 :: v_dual_mov_b32 v3, s1
	v_add_nc_u64_e32 v[14:15], s[16:17], v[10:11]
	v_dual_mov_b32 v5, s12 :: v_dual_mov_b32 v1, 0
	s_lshl_b32 s4, s3, 8
	s_mov_b32 s7, s5
	s_mov_b32 s1, s14
	global_store_b128 v[6:7], v[2:5], off th:TH_STORE_NT
.LBB1_471:                              ;   Parent Loop BB1_1 Depth=1
                                        ; =>  This Inner Loop Header: Depth=2
	s_wait_loadcnt 0x0
	global_load_b128 v[6:9], v[14:15], off th:TH_LOAD_NT
	v_add_nc_u32_e32 v1, 1, v1
	s_mov_b32 s0, -1
	s_mov_b32 s3, -1
	s_mov_b32 s12, exec_lo
	s_wait_xcnt 0x0
	v_cmpx_eq_u32_e32 0xf4240, v1
	s_cbranch_execz .LBB1_473
; %bb.472:                              ;   in Loop: Header=BB1_471 Depth=2
	s_wait_loadcnt 0x0
	s_wait_storecnt 0x0
	global_load_b32 v1, v4, s[10:11] scope:SCOPE_SYS
	s_wait_loadcnt 0x0
	global_inv scope:SCOPE_SYS
	v_cmp_eq_u32_e32 vcc_lo, 0, v1
	v_mov_b32_e32 v1, 0
	s_or_not1_b32 s3, vcc_lo, exec_lo
.LBB1_473:                              ;   in Loop: Header=BB1_471 Depth=2
	s_wait_xcnt 0x0
	s_or_b32 exec_lo, exec_lo, s12
	s_and_saveexec_b32 s12, s3
	s_cbranch_execz .LBB1_475
; %bb.474:                              ;   in Loop: Header=BB1_471 Depth=2
	s_wait_loadcnt 0x0
	v_cmp_eq_u32_e32 vcc_lo, s6, v7
	v_cmp_eq_u32_e64 s0, s6, v9
	s_and_b32 s0, vcc_lo, s0
	s_delay_alu instid0(SALU_CYCLE_1)
	s_or_not1_b32 s0, s0, exec_lo
.LBB1_475:                              ;   in Loop: Header=BB1_471 Depth=2
	s_or_b32 exec_lo, exec_lo, s12
	s_delay_alu instid0(SALU_CYCLE_1) | instskip(NEXT) | instid1(SALU_CYCLE_1)
	s_and_b32 s0, exec_lo, s0
	s_or_b32 s1, s0, s1
	s_delay_alu instid0(SALU_CYCLE_1)
	s_and_not1_b32 exec_lo, exec_lo, s1
	s_cbranch_execnz .LBB1_471
; %bb.476:                              ;   in Loop: Header=BB1_471 Depth=2
	s_or_b32 exec_lo, exec_lo, s1
	s_wait_loadcnt 0x0
	v_dual_mov_b32 v7, v8 :: v_dual_mov_b32 v1, 0
	s_mov_b32 s1, 0
	s_delay_alu instid0(VALU_DEP_1) | instskip(SKIP_1) | instid1(SALU_CYCLE_1)
	v_cmp_eq_u64_e32 vcc_lo, s[6:7], v[6:7]
	s_or_b32 s14, vcc_lo, s14
	s_and_not1_b32 exec_lo, exec_lo, s14
	s_cbranch_execnz .LBB1_471
; %bb.477:                              ;   in Loop: Header=BB1_1 Depth=1
	s_or_b32 exec_lo, exec_lo, s14
	s_add_co_i32 s12, s2, 0x44
	s_mov_b32 s14, 0
	s_mul_hi_u32 s0, s12, 0x10624dd3
	s_mov_b32 s15, s6
	s_lshr_b32 s0, s0, 6
	s_mov_b32 s17, s5
	s_mul_i32 s3, s0, 0x3e8
	s_or_b64 s[0:1], s[14:15], s[6:7]
	s_sub_co_i32 s3, s12, s3
	v_lshl_add_u64 v[6:7], s[4:5], 4, v[12:13]
	s_lshl_b32 s16, s3, 12
	v_dual_mov_b32 v2, s0 :: v_dual_mov_b32 v3, s1
	v_add_nc_u64_e32 v[14:15], s[16:17], v[10:11]
	v_dual_mov_b32 v5, s6 :: v_dual_mov_b32 v1, 0
	s_lshl_b32 s4, s3, 8
	s_mov_b32 s13, s5
	s_mov_b32 s1, s14
	global_store_b128 v[6:7], v[2:5], off th:TH_STORE_NT
.LBB1_478:                              ;   Parent Loop BB1_1 Depth=1
                                        ; =>  This Inner Loop Header: Depth=2
	s_wait_loadcnt 0x0
	global_load_b128 v[6:9], v[14:15], off th:TH_LOAD_NT
	v_add_nc_u32_e32 v1, 1, v1
	s_mov_b32 s0, -1
	s_mov_b32 s3, -1
	s_mov_b32 s6, exec_lo
	s_wait_xcnt 0x0
	v_cmpx_eq_u32_e32 0xf4240, v1
	s_cbranch_execz .LBB1_480
; %bb.479:                              ;   in Loop: Header=BB1_478 Depth=2
	s_wait_loadcnt 0x0
	s_wait_storecnt 0x0
	global_load_b32 v1, v4, s[10:11] scope:SCOPE_SYS
	s_wait_loadcnt 0x0
	global_inv scope:SCOPE_SYS
	v_cmp_eq_u32_e32 vcc_lo, 0, v1
	v_mov_b32_e32 v1, 0
	s_or_not1_b32 s3, vcc_lo, exec_lo
.LBB1_480:                              ;   in Loop: Header=BB1_478 Depth=2
	s_wait_xcnt 0x0
	s_or_b32 exec_lo, exec_lo, s6
	s_and_saveexec_b32 s6, s3
	s_cbranch_execz .LBB1_482
; %bb.481:                              ;   in Loop: Header=BB1_478 Depth=2
	s_wait_loadcnt 0x0
	v_cmp_eq_u32_e32 vcc_lo, s12, v7
	v_cmp_eq_u32_e64 s0, s12, v9
	s_and_b32 s0, vcc_lo, s0
	s_delay_alu instid0(SALU_CYCLE_1)
	s_or_not1_b32 s0, s0, exec_lo
.LBB1_482:                              ;   in Loop: Header=BB1_478 Depth=2
	s_or_b32 exec_lo, exec_lo, s6
	s_delay_alu instid0(SALU_CYCLE_1) | instskip(NEXT) | instid1(SALU_CYCLE_1)
	s_and_b32 s0, exec_lo, s0
	s_or_b32 s1, s0, s1
	s_delay_alu instid0(SALU_CYCLE_1)
	s_and_not1_b32 exec_lo, exec_lo, s1
	s_cbranch_execnz .LBB1_478
; %bb.483:                              ;   in Loop: Header=BB1_478 Depth=2
	s_or_b32 exec_lo, exec_lo, s1
	s_wait_loadcnt 0x0
	v_dual_mov_b32 v7, v8 :: v_dual_mov_b32 v1, 0
	s_mov_b32 s1, 0
	s_delay_alu instid0(VALU_DEP_1) | instskip(SKIP_1) | instid1(SALU_CYCLE_1)
	v_cmp_eq_u64_e32 vcc_lo, s[12:13], v[6:7]
	s_or_b32 s14, vcc_lo, s14
	s_and_not1_b32 exec_lo, exec_lo, s14
	s_cbranch_execnz .LBB1_478
; %bb.484:                              ;   in Loop: Header=BB1_1 Depth=1
	s_or_b32 exec_lo, exec_lo, s14
	s_add_co_i32 s6, s2, 0x45
	s_mov_b32 s14, 0
	s_mul_hi_u32 s0, s6, 0x10624dd3
	s_mov_b32 s15, s12
	s_lshr_b32 s0, s0, 6
	s_mov_b32 s17, s5
	s_mul_i32 s3, s0, 0x3e8
	s_or_b64 s[0:1], s[14:15], s[12:13]
	s_sub_co_i32 s3, s6, s3
	v_lshl_add_u64 v[6:7], s[4:5], 4, v[12:13]
	s_lshl_b32 s16, s3, 12
	v_dual_mov_b32 v2, s0 :: v_dual_mov_b32 v3, s1
	v_add_nc_u64_e32 v[14:15], s[16:17], v[10:11]
	v_dual_mov_b32 v5, s12 :: v_dual_mov_b32 v1, 0
	s_lshl_b32 s4, s3, 8
	s_mov_b32 s7, s5
	s_mov_b32 s1, s14
	global_store_b128 v[6:7], v[2:5], off th:TH_STORE_NT
.LBB1_485:                              ;   Parent Loop BB1_1 Depth=1
                                        ; =>  This Inner Loop Header: Depth=2
	s_wait_loadcnt 0x0
	global_load_b128 v[6:9], v[14:15], off th:TH_LOAD_NT
	v_add_nc_u32_e32 v1, 1, v1
	s_mov_b32 s0, -1
	s_mov_b32 s3, -1
	s_mov_b32 s12, exec_lo
	s_wait_xcnt 0x0
	v_cmpx_eq_u32_e32 0xf4240, v1
	s_cbranch_execz .LBB1_487
; %bb.486:                              ;   in Loop: Header=BB1_485 Depth=2
	s_wait_loadcnt 0x0
	s_wait_storecnt 0x0
	global_load_b32 v1, v4, s[10:11] scope:SCOPE_SYS
	s_wait_loadcnt 0x0
	global_inv scope:SCOPE_SYS
	v_cmp_eq_u32_e32 vcc_lo, 0, v1
	v_mov_b32_e32 v1, 0
	s_or_not1_b32 s3, vcc_lo, exec_lo
.LBB1_487:                              ;   in Loop: Header=BB1_485 Depth=2
	s_wait_xcnt 0x0
	s_or_b32 exec_lo, exec_lo, s12
	s_and_saveexec_b32 s12, s3
	s_cbranch_execz .LBB1_489
; %bb.488:                              ;   in Loop: Header=BB1_485 Depth=2
	s_wait_loadcnt 0x0
	v_cmp_eq_u32_e32 vcc_lo, s6, v7
	v_cmp_eq_u32_e64 s0, s6, v9
	s_and_b32 s0, vcc_lo, s0
	s_delay_alu instid0(SALU_CYCLE_1)
	s_or_not1_b32 s0, s0, exec_lo
.LBB1_489:                              ;   in Loop: Header=BB1_485 Depth=2
	s_or_b32 exec_lo, exec_lo, s12
	s_delay_alu instid0(SALU_CYCLE_1) | instskip(NEXT) | instid1(SALU_CYCLE_1)
	s_and_b32 s0, exec_lo, s0
	s_or_b32 s1, s0, s1
	s_delay_alu instid0(SALU_CYCLE_1)
	s_and_not1_b32 exec_lo, exec_lo, s1
	s_cbranch_execnz .LBB1_485
; %bb.490:                              ;   in Loop: Header=BB1_485 Depth=2
	s_or_b32 exec_lo, exec_lo, s1
	s_wait_loadcnt 0x0
	v_dual_mov_b32 v7, v8 :: v_dual_mov_b32 v1, 0
	s_mov_b32 s1, 0
	s_delay_alu instid0(VALU_DEP_1) | instskip(SKIP_1) | instid1(SALU_CYCLE_1)
	v_cmp_eq_u64_e32 vcc_lo, s[6:7], v[6:7]
	s_or_b32 s14, vcc_lo, s14
	s_and_not1_b32 exec_lo, exec_lo, s14
	s_cbranch_execnz .LBB1_485
; %bb.491:                              ;   in Loop: Header=BB1_1 Depth=1
	s_or_b32 exec_lo, exec_lo, s14
	s_add_co_i32 s12, s2, 0x46
	s_mov_b32 s14, 0
	s_mul_hi_u32 s0, s12, 0x10624dd3
	s_mov_b32 s15, s6
	s_lshr_b32 s0, s0, 6
	s_mov_b32 s17, s5
	s_mul_i32 s3, s0, 0x3e8
	s_or_b64 s[0:1], s[14:15], s[6:7]
	s_sub_co_i32 s3, s12, s3
	v_lshl_add_u64 v[6:7], s[4:5], 4, v[12:13]
	s_lshl_b32 s16, s3, 12
	v_dual_mov_b32 v2, s0 :: v_dual_mov_b32 v3, s1
	v_add_nc_u64_e32 v[14:15], s[16:17], v[10:11]
	v_dual_mov_b32 v5, s6 :: v_dual_mov_b32 v1, 0
	s_lshl_b32 s4, s3, 8
	s_mov_b32 s13, s5
	s_mov_b32 s1, s14
	global_store_b128 v[6:7], v[2:5], off th:TH_STORE_NT
.LBB1_492:                              ;   Parent Loop BB1_1 Depth=1
                                        ; =>  This Inner Loop Header: Depth=2
	s_wait_loadcnt 0x0
	global_load_b128 v[6:9], v[14:15], off th:TH_LOAD_NT
	v_add_nc_u32_e32 v1, 1, v1
	s_mov_b32 s0, -1
	s_mov_b32 s3, -1
	s_mov_b32 s6, exec_lo
	s_wait_xcnt 0x0
	v_cmpx_eq_u32_e32 0xf4240, v1
	s_cbranch_execz .LBB1_494
; %bb.493:                              ;   in Loop: Header=BB1_492 Depth=2
	s_wait_loadcnt 0x0
	s_wait_storecnt 0x0
	global_load_b32 v1, v4, s[10:11] scope:SCOPE_SYS
	s_wait_loadcnt 0x0
	global_inv scope:SCOPE_SYS
	v_cmp_eq_u32_e32 vcc_lo, 0, v1
	v_mov_b32_e32 v1, 0
	s_or_not1_b32 s3, vcc_lo, exec_lo
.LBB1_494:                              ;   in Loop: Header=BB1_492 Depth=2
	s_wait_xcnt 0x0
	s_or_b32 exec_lo, exec_lo, s6
	s_and_saveexec_b32 s6, s3
	s_cbranch_execz .LBB1_496
; %bb.495:                              ;   in Loop: Header=BB1_492 Depth=2
	s_wait_loadcnt 0x0
	v_cmp_eq_u32_e32 vcc_lo, s12, v7
	v_cmp_eq_u32_e64 s0, s12, v9
	s_and_b32 s0, vcc_lo, s0
	s_delay_alu instid0(SALU_CYCLE_1)
	s_or_not1_b32 s0, s0, exec_lo
.LBB1_496:                              ;   in Loop: Header=BB1_492 Depth=2
	s_or_b32 exec_lo, exec_lo, s6
	s_delay_alu instid0(SALU_CYCLE_1) | instskip(NEXT) | instid1(SALU_CYCLE_1)
	s_and_b32 s0, exec_lo, s0
	s_or_b32 s1, s0, s1
	s_delay_alu instid0(SALU_CYCLE_1)
	s_and_not1_b32 exec_lo, exec_lo, s1
	s_cbranch_execnz .LBB1_492
; %bb.497:                              ;   in Loop: Header=BB1_492 Depth=2
	s_or_b32 exec_lo, exec_lo, s1
	s_wait_loadcnt 0x0
	v_dual_mov_b32 v7, v8 :: v_dual_mov_b32 v1, 0
	s_mov_b32 s1, 0
	s_delay_alu instid0(VALU_DEP_1) | instskip(SKIP_1) | instid1(SALU_CYCLE_1)
	v_cmp_eq_u64_e32 vcc_lo, s[12:13], v[6:7]
	s_or_b32 s14, vcc_lo, s14
	s_and_not1_b32 exec_lo, exec_lo, s14
	s_cbranch_execnz .LBB1_492
; %bb.498:                              ;   in Loop: Header=BB1_1 Depth=1
	s_or_b32 exec_lo, exec_lo, s14
	s_add_co_i32 s6, s2, 0x47
	s_mov_b32 s14, 0
	s_mul_hi_u32 s0, s6, 0x10624dd3
	s_mov_b32 s15, s12
	s_lshr_b32 s0, s0, 6
	s_mov_b32 s17, s5
	s_mul_i32 s3, s0, 0x3e8
	s_or_b64 s[0:1], s[14:15], s[12:13]
	s_sub_co_i32 s3, s6, s3
	v_lshl_add_u64 v[6:7], s[4:5], 4, v[12:13]
	s_lshl_b32 s16, s3, 12
	v_dual_mov_b32 v2, s0 :: v_dual_mov_b32 v3, s1
	v_add_nc_u64_e32 v[14:15], s[16:17], v[10:11]
	v_dual_mov_b32 v5, s12 :: v_dual_mov_b32 v1, 0
	s_lshl_b32 s4, s3, 8
	s_mov_b32 s7, s5
	s_mov_b32 s1, s14
	global_store_b128 v[6:7], v[2:5], off th:TH_STORE_NT
.LBB1_499:                              ;   Parent Loop BB1_1 Depth=1
                                        ; =>  This Inner Loop Header: Depth=2
	s_wait_loadcnt 0x0
	global_load_b128 v[6:9], v[14:15], off th:TH_LOAD_NT
	v_add_nc_u32_e32 v1, 1, v1
	s_mov_b32 s0, -1
	s_mov_b32 s3, -1
	s_mov_b32 s12, exec_lo
	s_wait_xcnt 0x0
	v_cmpx_eq_u32_e32 0xf4240, v1
	s_cbranch_execz .LBB1_501
; %bb.500:                              ;   in Loop: Header=BB1_499 Depth=2
	s_wait_loadcnt 0x0
	s_wait_storecnt 0x0
	global_load_b32 v1, v4, s[10:11] scope:SCOPE_SYS
	s_wait_loadcnt 0x0
	global_inv scope:SCOPE_SYS
	v_cmp_eq_u32_e32 vcc_lo, 0, v1
	v_mov_b32_e32 v1, 0
	s_or_not1_b32 s3, vcc_lo, exec_lo
.LBB1_501:                              ;   in Loop: Header=BB1_499 Depth=2
	s_wait_xcnt 0x0
	s_or_b32 exec_lo, exec_lo, s12
	s_and_saveexec_b32 s12, s3
	s_cbranch_execz .LBB1_503
; %bb.502:                              ;   in Loop: Header=BB1_499 Depth=2
	s_wait_loadcnt 0x0
	v_cmp_eq_u32_e32 vcc_lo, s6, v7
	v_cmp_eq_u32_e64 s0, s6, v9
	s_and_b32 s0, vcc_lo, s0
	s_delay_alu instid0(SALU_CYCLE_1)
	s_or_not1_b32 s0, s0, exec_lo
.LBB1_503:                              ;   in Loop: Header=BB1_499 Depth=2
	s_or_b32 exec_lo, exec_lo, s12
	s_delay_alu instid0(SALU_CYCLE_1) | instskip(NEXT) | instid1(SALU_CYCLE_1)
	s_and_b32 s0, exec_lo, s0
	s_or_b32 s1, s0, s1
	s_delay_alu instid0(SALU_CYCLE_1)
	s_and_not1_b32 exec_lo, exec_lo, s1
	s_cbranch_execnz .LBB1_499
; %bb.504:                              ;   in Loop: Header=BB1_499 Depth=2
	s_or_b32 exec_lo, exec_lo, s1
	s_wait_loadcnt 0x0
	v_dual_mov_b32 v7, v8 :: v_dual_mov_b32 v1, 0
	s_mov_b32 s1, 0
	s_delay_alu instid0(VALU_DEP_1) | instskip(SKIP_1) | instid1(SALU_CYCLE_1)
	v_cmp_eq_u64_e32 vcc_lo, s[6:7], v[6:7]
	s_or_b32 s14, vcc_lo, s14
	s_and_not1_b32 exec_lo, exec_lo, s14
	s_cbranch_execnz .LBB1_499
; %bb.505:                              ;   in Loop: Header=BB1_1 Depth=1
	s_or_b32 exec_lo, exec_lo, s14
	s_add_co_i32 s12, s2, 0x48
	s_mov_b32 s14, 0
	s_mul_hi_u32 s0, s12, 0x10624dd3
	s_mov_b32 s15, s6
	s_lshr_b32 s0, s0, 6
	s_mov_b32 s17, s5
	s_mul_i32 s3, s0, 0x3e8
	s_or_b64 s[0:1], s[14:15], s[6:7]
	s_sub_co_i32 s3, s12, s3
	v_lshl_add_u64 v[6:7], s[4:5], 4, v[12:13]
	s_lshl_b32 s16, s3, 12
	v_dual_mov_b32 v2, s0 :: v_dual_mov_b32 v3, s1
	v_add_nc_u64_e32 v[14:15], s[16:17], v[10:11]
	v_dual_mov_b32 v5, s6 :: v_dual_mov_b32 v1, 0
	s_lshl_b32 s4, s3, 8
	s_mov_b32 s13, s5
	s_mov_b32 s1, s14
	global_store_b128 v[6:7], v[2:5], off th:TH_STORE_NT
.LBB1_506:                              ;   Parent Loop BB1_1 Depth=1
                                        ; =>  This Inner Loop Header: Depth=2
	s_wait_loadcnt 0x0
	global_load_b128 v[6:9], v[14:15], off th:TH_LOAD_NT
	v_add_nc_u32_e32 v1, 1, v1
	s_mov_b32 s0, -1
	s_mov_b32 s3, -1
	s_mov_b32 s6, exec_lo
	s_wait_xcnt 0x0
	v_cmpx_eq_u32_e32 0xf4240, v1
	s_cbranch_execz .LBB1_508
; %bb.507:                              ;   in Loop: Header=BB1_506 Depth=2
	s_wait_loadcnt 0x0
	s_wait_storecnt 0x0
	global_load_b32 v1, v4, s[10:11] scope:SCOPE_SYS
	s_wait_loadcnt 0x0
	global_inv scope:SCOPE_SYS
	v_cmp_eq_u32_e32 vcc_lo, 0, v1
	v_mov_b32_e32 v1, 0
	s_or_not1_b32 s3, vcc_lo, exec_lo
.LBB1_508:                              ;   in Loop: Header=BB1_506 Depth=2
	s_wait_xcnt 0x0
	s_or_b32 exec_lo, exec_lo, s6
	s_and_saveexec_b32 s6, s3
	s_cbranch_execz .LBB1_510
; %bb.509:                              ;   in Loop: Header=BB1_506 Depth=2
	s_wait_loadcnt 0x0
	v_cmp_eq_u32_e32 vcc_lo, s12, v7
	v_cmp_eq_u32_e64 s0, s12, v9
	s_and_b32 s0, vcc_lo, s0
	s_delay_alu instid0(SALU_CYCLE_1)
	s_or_not1_b32 s0, s0, exec_lo
.LBB1_510:                              ;   in Loop: Header=BB1_506 Depth=2
	s_or_b32 exec_lo, exec_lo, s6
	s_delay_alu instid0(SALU_CYCLE_1) | instskip(NEXT) | instid1(SALU_CYCLE_1)
	s_and_b32 s0, exec_lo, s0
	s_or_b32 s1, s0, s1
	s_delay_alu instid0(SALU_CYCLE_1)
	s_and_not1_b32 exec_lo, exec_lo, s1
	s_cbranch_execnz .LBB1_506
; %bb.511:                              ;   in Loop: Header=BB1_506 Depth=2
	s_or_b32 exec_lo, exec_lo, s1
	s_wait_loadcnt 0x0
	v_dual_mov_b32 v7, v8 :: v_dual_mov_b32 v1, 0
	s_mov_b32 s1, 0
	s_delay_alu instid0(VALU_DEP_1) | instskip(SKIP_1) | instid1(SALU_CYCLE_1)
	v_cmp_eq_u64_e32 vcc_lo, s[12:13], v[6:7]
	s_or_b32 s14, vcc_lo, s14
	s_and_not1_b32 exec_lo, exec_lo, s14
	s_cbranch_execnz .LBB1_506
; %bb.512:                              ;   in Loop: Header=BB1_1 Depth=1
	s_or_b32 exec_lo, exec_lo, s14
	s_add_co_i32 s6, s2, 0x49
	s_mov_b32 s14, 0
	s_mul_hi_u32 s0, s6, 0x10624dd3
	s_mov_b32 s15, s12
	s_lshr_b32 s0, s0, 6
	s_mov_b32 s17, s5
	s_mul_i32 s3, s0, 0x3e8
	s_or_b64 s[0:1], s[14:15], s[12:13]
	s_sub_co_i32 s3, s6, s3
	v_lshl_add_u64 v[6:7], s[4:5], 4, v[12:13]
	s_lshl_b32 s16, s3, 12
	v_dual_mov_b32 v2, s0 :: v_dual_mov_b32 v3, s1
	v_add_nc_u64_e32 v[14:15], s[16:17], v[10:11]
	v_dual_mov_b32 v5, s12 :: v_dual_mov_b32 v1, 0
	s_lshl_b32 s4, s3, 8
	s_mov_b32 s7, s5
	s_mov_b32 s1, s14
	global_store_b128 v[6:7], v[2:5], off th:TH_STORE_NT
.LBB1_513:                              ;   Parent Loop BB1_1 Depth=1
                                        ; =>  This Inner Loop Header: Depth=2
	s_wait_loadcnt 0x0
	global_load_b128 v[6:9], v[14:15], off th:TH_LOAD_NT
	v_add_nc_u32_e32 v1, 1, v1
	s_mov_b32 s0, -1
	s_mov_b32 s3, -1
	s_mov_b32 s12, exec_lo
	s_wait_xcnt 0x0
	v_cmpx_eq_u32_e32 0xf4240, v1
	s_cbranch_execz .LBB1_515
; %bb.514:                              ;   in Loop: Header=BB1_513 Depth=2
	s_wait_loadcnt 0x0
	s_wait_storecnt 0x0
	global_load_b32 v1, v4, s[10:11] scope:SCOPE_SYS
	s_wait_loadcnt 0x0
	global_inv scope:SCOPE_SYS
	v_cmp_eq_u32_e32 vcc_lo, 0, v1
	v_mov_b32_e32 v1, 0
	s_or_not1_b32 s3, vcc_lo, exec_lo
.LBB1_515:                              ;   in Loop: Header=BB1_513 Depth=2
	s_wait_xcnt 0x0
	s_or_b32 exec_lo, exec_lo, s12
	s_and_saveexec_b32 s12, s3
	s_cbranch_execz .LBB1_517
; %bb.516:                              ;   in Loop: Header=BB1_513 Depth=2
	s_wait_loadcnt 0x0
	v_cmp_eq_u32_e32 vcc_lo, s6, v7
	v_cmp_eq_u32_e64 s0, s6, v9
	s_and_b32 s0, vcc_lo, s0
	s_delay_alu instid0(SALU_CYCLE_1)
	s_or_not1_b32 s0, s0, exec_lo
.LBB1_517:                              ;   in Loop: Header=BB1_513 Depth=2
	s_or_b32 exec_lo, exec_lo, s12
	s_delay_alu instid0(SALU_CYCLE_1) | instskip(NEXT) | instid1(SALU_CYCLE_1)
	s_and_b32 s0, exec_lo, s0
	s_or_b32 s1, s0, s1
	s_delay_alu instid0(SALU_CYCLE_1)
	s_and_not1_b32 exec_lo, exec_lo, s1
	s_cbranch_execnz .LBB1_513
; %bb.518:                              ;   in Loop: Header=BB1_513 Depth=2
	s_or_b32 exec_lo, exec_lo, s1
	s_wait_loadcnt 0x0
	v_dual_mov_b32 v7, v8 :: v_dual_mov_b32 v1, 0
	s_mov_b32 s1, 0
	s_delay_alu instid0(VALU_DEP_1) | instskip(SKIP_1) | instid1(SALU_CYCLE_1)
	v_cmp_eq_u64_e32 vcc_lo, s[6:7], v[6:7]
	s_or_b32 s14, vcc_lo, s14
	s_and_not1_b32 exec_lo, exec_lo, s14
	s_cbranch_execnz .LBB1_513
; %bb.519:                              ;   in Loop: Header=BB1_1 Depth=1
	s_or_b32 exec_lo, exec_lo, s14
	s_add_co_i32 s12, s2, 0x4a
	s_mov_b32 s14, 0
	s_mul_hi_u32 s0, s12, 0x10624dd3
	s_mov_b32 s15, s6
	s_lshr_b32 s0, s0, 6
	s_mov_b32 s17, s5
	s_mul_i32 s3, s0, 0x3e8
	s_or_b64 s[0:1], s[14:15], s[6:7]
	s_sub_co_i32 s3, s12, s3
	v_lshl_add_u64 v[6:7], s[4:5], 4, v[12:13]
	s_lshl_b32 s16, s3, 12
	v_dual_mov_b32 v2, s0 :: v_dual_mov_b32 v3, s1
	v_add_nc_u64_e32 v[14:15], s[16:17], v[10:11]
	v_dual_mov_b32 v5, s6 :: v_dual_mov_b32 v1, 0
	s_lshl_b32 s4, s3, 8
	s_mov_b32 s13, s5
	s_mov_b32 s1, s14
	global_store_b128 v[6:7], v[2:5], off th:TH_STORE_NT
.LBB1_520:                              ;   Parent Loop BB1_1 Depth=1
                                        ; =>  This Inner Loop Header: Depth=2
	s_wait_loadcnt 0x0
	global_load_b128 v[6:9], v[14:15], off th:TH_LOAD_NT
	v_add_nc_u32_e32 v1, 1, v1
	s_mov_b32 s0, -1
	s_mov_b32 s3, -1
	s_mov_b32 s6, exec_lo
	s_wait_xcnt 0x0
	v_cmpx_eq_u32_e32 0xf4240, v1
	s_cbranch_execz .LBB1_522
; %bb.521:                              ;   in Loop: Header=BB1_520 Depth=2
	s_wait_loadcnt 0x0
	s_wait_storecnt 0x0
	global_load_b32 v1, v4, s[10:11] scope:SCOPE_SYS
	s_wait_loadcnt 0x0
	global_inv scope:SCOPE_SYS
	v_cmp_eq_u32_e32 vcc_lo, 0, v1
	v_mov_b32_e32 v1, 0
	s_or_not1_b32 s3, vcc_lo, exec_lo
.LBB1_522:                              ;   in Loop: Header=BB1_520 Depth=2
	s_wait_xcnt 0x0
	s_or_b32 exec_lo, exec_lo, s6
	s_and_saveexec_b32 s6, s3
	s_cbranch_execz .LBB1_524
; %bb.523:                              ;   in Loop: Header=BB1_520 Depth=2
	s_wait_loadcnt 0x0
	v_cmp_eq_u32_e32 vcc_lo, s12, v7
	v_cmp_eq_u32_e64 s0, s12, v9
	s_and_b32 s0, vcc_lo, s0
	s_delay_alu instid0(SALU_CYCLE_1)
	s_or_not1_b32 s0, s0, exec_lo
.LBB1_524:                              ;   in Loop: Header=BB1_520 Depth=2
	s_or_b32 exec_lo, exec_lo, s6
	s_delay_alu instid0(SALU_CYCLE_1) | instskip(NEXT) | instid1(SALU_CYCLE_1)
	s_and_b32 s0, exec_lo, s0
	s_or_b32 s1, s0, s1
	s_delay_alu instid0(SALU_CYCLE_1)
	s_and_not1_b32 exec_lo, exec_lo, s1
	s_cbranch_execnz .LBB1_520
; %bb.525:                              ;   in Loop: Header=BB1_520 Depth=2
	s_or_b32 exec_lo, exec_lo, s1
	s_wait_loadcnt 0x0
	v_dual_mov_b32 v7, v8 :: v_dual_mov_b32 v1, 0
	s_mov_b32 s1, 0
	s_delay_alu instid0(VALU_DEP_1) | instskip(SKIP_1) | instid1(SALU_CYCLE_1)
	v_cmp_eq_u64_e32 vcc_lo, s[12:13], v[6:7]
	s_or_b32 s14, vcc_lo, s14
	s_and_not1_b32 exec_lo, exec_lo, s14
	s_cbranch_execnz .LBB1_520
; %bb.526:                              ;   in Loop: Header=BB1_1 Depth=1
	s_or_b32 exec_lo, exec_lo, s14
	s_add_co_i32 s6, s2, 0x4b
	s_mov_b32 s14, 0
	s_mul_hi_u32 s0, s6, 0x10624dd3
	s_mov_b32 s15, s12
	s_lshr_b32 s0, s0, 6
	s_mov_b32 s17, s5
	s_mul_i32 s3, s0, 0x3e8
	s_or_b64 s[0:1], s[14:15], s[12:13]
	s_sub_co_i32 s3, s6, s3
	v_lshl_add_u64 v[6:7], s[4:5], 4, v[12:13]
	s_lshl_b32 s16, s3, 12
	v_dual_mov_b32 v2, s0 :: v_dual_mov_b32 v3, s1
	v_add_nc_u64_e32 v[14:15], s[16:17], v[10:11]
	v_dual_mov_b32 v5, s12 :: v_dual_mov_b32 v1, 0
	s_lshl_b32 s4, s3, 8
	s_mov_b32 s7, s5
	s_mov_b32 s1, s14
	global_store_b128 v[6:7], v[2:5], off th:TH_STORE_NT
.LBB1_527:                              ;   Parent Loop BB1_1 Depth=1
                                        ; =>  This Inner Loop Header: Depth=2
	s_wait_loadcnt 0x0
	global_load_b128 v[6:9], v[14:15], off th:TH_LOAD_NT
	v_add_nc_u32_e32 v1, 1, v1
	s_mov_b32 s0, -1
	s_mov_b32 s3, -1
	s_mov_b32 s12, exec_lo
	s_wait_xcnt 0x0
	v_cmpx_eq_u32_e32 0xf4240, v1
	s_cbranch_execz .LBB1_529
; %bb.528:                              ;   in Loop: Header=BB1_527 Depth=2
	s_wait_loadcnt 0x0
	s_wait_storecnt 0x0
	global_load_b32 v1, v4, s[10:11] scope:SCOPE_SYS
	s_wait_loadcnt 0x0
	global_inv scope:SCOPE_SYS
	v_cmp_eq_u32_e32 vcc_lo, 0, v1
	v_mov_b32_e32 v1, 0
	s_or_not1_b32 s3, vcc_lo, exec_lo
.LBB1_529:                              ;   in Loop: Header=BB1_527 Depth=2
	s_wait_xcnt 0x0
	s_or_b32 exec_lo, exec_lo, s12
	s_and_saveexec_b32 s12, s3
	s_cbranch_execz .LBB1_531
; %bb.530:                              ;   in Loop: Header=BB1_527 Depth=2
	s_wait_loadcnt 0x0
	v_cmp_eq_u32_e32 vcc_lo, s6, v7
	v_cmp_eq_u32_e64 s0, s6, v9
	s_and_b32 s0, vcc_lo, s0
	s_delay_alu instid0(SALU_CYCLE_1)
	s_or_not1_b32 s0, s0, exec_lo
.LBB1_531:                              ;   in Loop: Header=BB1_527 Depth=2
	s_or_b32 exec_lo, exec_lo, s12
	s_delay_alu instid0(SALU_CYCLE_1) | instskip(NEXT) | instid1(SALU_CYCLE_1)
	s_and_b32 s0, exec_lo, s0
	s_or_b32 s1, s0, s1
	s_delay_alu instid0(SALU_CYCLE_1)
	s_and_not1_b32 exec_lo, exec_lo, s1
	s_cbranch_execnz .LBB1_527
; %bb.532:                              ;   in Loop: Header=BB1_527 Depth=2
	s_or_b32 exec_lo, exec_lo, s1
	s_wait_loadcnt 0x0
	v_dual_mov_b32 v7, v8 :: v_dual_mov_b32 v1, 0
	s_mov_b32 s1, 0
	s_delay_alu instid0(VALU_DEP_1) | instskip(SKIP_1) | instid1(SALU_CYCLE_1)
	v_cmp_eq_u64_e32 vcc_lo, s[6:7], v[6:7]
	s_or_b32 s14, vcc_lo, s14
	s_and_not1_b32 exec_lo, exec_lo, s14
	s_cbranch_execnz .LBB1_527
; %bb.533:                              ;   in Loop: Header=BB1_1 Depth=1
	s_or_b32 exec_lo, exec_lo, s14
	s_add_co_i32 s12, s2, 0x4c
	s_mov_b32 s14, 0
	s_mul_hi_u32 s0, s12, 0x10624dd3
	s_mov_b32 s15, s6
	s_lshr_b32 s0, s0, 6
	s_mov_b32 s17, s5
	s_mul_i32 s3, s0, 0x3e8
	s_or_b64 s[0:1], s[14:15], s[6:7]
	s_sub_co_i32 s3, s12, s3
	v_lshl_add_u64 v[6:7], s[4:5], 4, v[12:13]
	s_lshl_b32 s16, s3, 12
	v_dual_mov_b32 v2, s0 :: v_dual_mov_b32 v3, s1
	v_add_nc_u64_e32 v[14:15], s[16:17], v[10:11]
	v_dual_mov_b32 v5, s6 :: v_dual_mov_b32 v1, 0
	s_lshl_b32 s4, s3, 8
	s_mov_b32 s13, s5
	s_mov_b32 s1, s14
	global_store_b128 v[6:7], v[2:5], off th:TH_STORE_NT
.LBB1_534:                              ;   Parent Loop BB1_1 Depth=1
                                        ; =>  This Inner Loop Header: Depth=2
	s_wait_loadcnt 0x0
	global_load_b128 v[6:9], v[14:15], off th:TH_LOAD_NT
	v_add_nc_u32_e32 v1, 1, v1
	s_mov_b32 s0, -1
	s_mov_b32 s3, -1
	s_mov_b32 s6, exec_lo
	s_wait_xcnt 0x0
	v_cmpx_eq_u32_e32 0xf4240, v1
	s_cbranch_execz .LBB1_536
; %bb.535:                              ;   in Loop: Header=BB1_534 Depth=2
	s_wait_loadcnt 0x0
	s_wait_storecnt 0x0
	global_load_b32 v1, v4, s[10:11] scope:SCOPE_SYS
	s_wait_loadcnt 0x0
	global_inv scope:SCOPE_SYS
	v_cmp_eq_u32_e32 vcc_lo, 0, v1
	v_mov_b32_e32 v1, 0
	s_or_not1_b32 s3, vcc_lo, exec_lo
.LBB1_536:                              ;   in Loop: Header=BB1_534 Depth=2
	s_wait_xcnt 0x0
	s_or_b32 exec_lo, exec_lo, s6
	s_and_saveexec_b32 s6, s3
	s_cbranch_execz .LBB1_538
; %bb.537:                              ;   in Loop: Header=BB1_534 Depth=2
	s_wait_loadcnt 0x0
	v_cmp_eq_u32_e32 vcc_lo, s12, v7
	v_cmp_eq_u32_e64 s0, s12, v9
	s_and_b32 s0, vcc_lo, s0
	s_delay_alu instid0(SALU_CYCLE_1)
	s_or_not1_b32 s0, s0, exec_lo
.LBB1_538:                              ;   in Loop: Header=BB1_534 Depth=2
	s_or_b32 exec_lo, exec_lo, s6
	s_delay_alu instid0(SALU_CYCLE_1) | instskip(NEXT) | instid1(SALU_CYCLE_1)
	s_and_b32 s0, exec_lo, s0
	s_or_b32 s1, s0, s1
	s_delay_alu instid0(SALU_CYCLE_1)
	s_and_not1_b32 exec_lo, exec_lo, s1
	s_cbranch_execnz .LBB1_534
; %bb.539:                              ;   in Loop: Header=BB1_534 Depth=2
	s_or_b32 exec_lo, exec_lo, s1
	s_wait_loadcnt 0x0
	v_dual_mov_b32 v7, v8 :: v_dual_mov_b32 v1, 0
	s_mov_b32 s1, 0
	s_delay_alu instid0(VALU_DEP_1) | instskip(SKIP_1) | instid1(SALU_CYCLE_1)
	v_cmp_eq_u64_e32 vcc_lo, s[12:13], v[6:7]
	s_or_b32 s14, vcc_lo, s14
	s_and_not1_b32 exec_lo, exec_lo, s14
	s_cbranch_execnz .LBB1_534
; %bb.540:                              ;   in Loop: Header=BB1_1 Depth=1
	s_or_b32 exec_lo, exec_lo, s14
	s_add_co_i32 s6, s2, 0x4d
	s_mov_b32 s14, 0
	s_mul_hi_u32 s0, s6, 0x10624dd3
	s_mov_b32 s15, s12
	s_lshr_b32 s0, s0, 6
	s_mov_b32 s17, s5
	s_mul_i32 s3, s0, 0x3e8
	s_or_b64 s[0:1], s[14:15], s[12:13]
	s_sub_co_i32 s3, s6, s3
	v_lshl_add_u64 v[6:7], s[4:5], 4, v[12:13]
	s_lshl_b32 s16, s3, 12
	v_dual_mov_b32 v2, s0 :: v_dual_mov_b32 v3, s1
	v_add_nc_u64_e32 v[14:15], s[16:17], v[10:11]
	v_dual_mov_b32 v5, s12 :: v_dual_mov_b32 v1, 0
	s_lshl_b32 s4, s3, 8
	s_mov_b32 s7, s5
	s_mov_b32 s1, s14
	global_store_b128 v[6:7], v[2:5], off th:TH_STORE_NT
.LBB1_541:                              ;   Parent Loop BB1_1 Depth=1
                                        ; =>  This Inner Loop Header: Depth=2
	s_wait_loadcnt 0x0
	global_load_b128 v[6:9], v[14:15], off th:TH_LOAD_NT
	v_add_nc_u32_e32 v1, 1, v1
	s_mov_b32 s0, -1
	s_mov_b32 s3, -1
	s_mov_b32 s12, exec_lo
	s_wait_xcnt 0x0
	v_cmpx_eq_u32_e32 0xf4240, v1
	s_cbranch_execz .LBB1_543
; %bb.542:                              ;   in Loop: Header=BB1_541 Depth=2
	s_wait_loadcnt 0x0
	s_wait_storecnt 0x0
	global_load_b32 v1, v4, s[10:11] scope:SCOPE_SYS
	s_wait_loadcnt 0x0
	global_inv scope:SCOPE_SYS
	v_cmp_eq_u32_e32 vcc_lo, 0, v1
	v_mov_b32_e32 v1, 0
	s_or_not1_b32 s3, vcc_lo, exec_lo
.LBB1_543:                              ;   in Loop: Header=BB1_541 Depth=2
	s_wait_xcnt 0x0
	s_or_b32 exec_lo, exec_lo, s12
	s_and_saveexec_b32 s12, s3
	s_cbranch_execz .LBB1_545
; %bb.544:                              ;   in Loop: Header=BB1_541 Depth=2
	s_wait_loadcnt 0x0
	v_cmp_eq_u32_e32 vcc_lo, s6, v7
	v_cmp_eq_u32_e64 s0, s6, v9
	s_and_b32 s0, vcc_lo, s0
	s_delay_alu instid0(SALU_CYCLE_1)
	s_or_not1_b32 s0, s0, exec_lo
.LBB1_545:                              ;   in Loop: Header=BB1_541 Depth=2
	s_or_b32 exec_lo, exec_lo, s12
	s_delay_alu instid0(SALU_CYCLE_1) | instskip(NEXT) | instid1(SALU_CYCLE_1)
	s_and_b32 s0, exec_lo, s0
	s_or_b32 s1, s0, s1
	s_delay_alu instid0(SALU_CYCLE_1)
	s_and_not1_b32 exec_lo, exec_lo, s1
	s_cbranch_execnz .LBB1_541
; %bb.546:                              ;   in Loop: Header=BB1_541 Depth=2
	s_or_b32 exec_lo, exec_lo, s1
	s_wait_loadcnt 0x0
	v_dual_mov_b32 v7, v8 :: v_dual_mov_b32 v1, 0
	s_mov_b32 s1, 0
	s_delay_alu instid0(VALU_DEP_1) | instskip(SKIP_1) | instid1(SALU_CYCLE_1)
	v_cmp_eq_u64_e32 vcc_lo, s[6:7], v[6:7]
	s_or_b32 s14, vcc_lo, s14
	s_and_not1_b32 exec_lo, exec_lo, s14
	s_cbranch_execnz .LBB1_541
; %bb.547:                              ;   in Loop: Header=BB1_1 Depth=1
	s_or_b32 exec_lo, exec_lo, s14
	s_add_co_i32 s12, s2, 0x4e
	s_mov_b32 s14, 0
	s_mul_hi_u32 s0, s12, 0x10624dd3
	s_mov_b32 s15, s6
	s_lshr_b32 s0, s0, 6
	s_mov_b32 s17, s5
	s_mul_i32 s3, s0, 0x3e8
	s_or_b64 s[0:1], s[14:15], s[6:7]
	s_sub_co_i32 s3, s12, s3
	v_lshl_add_u64 v[6:7], s[4:5], 4, v[12:13]
	s_lshl_b32 s16, s3, 12
	v_dual_mov_b32 v2, s0 :: v_dual_mov_b32 v3, s1
	v_add_nc_u64_e32 v[14:15], s[16:17], v[10:11]
	v_dual_mov_b32 v5, s6 :: v_dual_mov_b32 v1, 0
	s_lshl_b32 s4, s3, 8
	s_mov_b32 s13, s5
	s_mov_b32 s1, s14
	global_store_b128 v[6:7], v[2:5], off th:TH_STORE_NT
.LBB1_548:                              ;   Parent Loop BB1_1 Depth=1
                                        ; =>  This Inner Loop Header: Depth=2
	s_wait_loadcnt 0x0
	global_load_b128 v[6:9], v[14:15], off th:TH_LOAD_NT
	v_add_nc_u32_e32 v1, 1, v1
	s_mov_b32 s0, -1
	s_mov_b32 s3, -1
	s_mov_b32 s6, exec_lo
	s_wait_xcnt 0x0
	v_cmpx_eq_u32_e32 0xf4240, v1
	s_cbranch_execz .LBB1_550
; %bb.549:                              ;   in Loop: Header=BB1_548 Depth=2
	s_wait_loadcnt 0x0
	s_wait_storecnt 0x0
	global_load_b32 v1, v4, s[10:11] scope:SCOPE_SYS
	s_wait_loadcnt 0x0
	global_inv scope:SCOPE_SYS
	v_cmp_eq_u32_e32 vcc_lo, 0, v1
	v_mov_b32_e32 v1, 0
	s_or_not1_b32 s3, vcc_lo, exec_lo
.LBB1_550:                              ;   in Loop: Header=BB1_548 Depth=2
	s_wait_xcnt 0x0
	s_or_b32 exec_lo, exec_lo, s6
	s_and_saveexec_b32 s6, s3
	s_cbranch_execz .LBB1_552
; %bb.551:                              ;   in Loop: Header=BB1_548 Depth=2
	s_wait_loadcnt 0x0
	v_cmp_eq_u32_e32 vcc_lo, s12, v7
	v_cmp_eq_u32_e64 s0, s12, v9
	s_and_b32 s0, vcc_lo, s0
	s_delay_alu instid0(SALU_CYCLE_1)
	s_or_not1_b32 s0, s0, exec_lo
.LBB1_552:                              ;   in Loop: Header=BB1_548 Depth=2
	s_or_b32 exec_lo, exec_lo, s6
	s_delay_alu instid0(SALU_CYCLE_1) | instskip(NEXT) | instid1(SALU_CYCLE_1)
	s_and_b32 s0, exec_lo, s0
	s_or_b32 s1, s0, s1
	s_delay_alu instid0(SALU_CYCLE_1)
	s_and_not1_b32 exec_lo, exec_lo, s1
	s_cbranch_execnz .LBB1_548
; %bb.553:                              ;   in Loop: Header=BB1_548 Depth=2
	s_or_b32 exec_lo, exec_lo, s1
	s_wait_loadcnt 0x0
	v_dual_mov_b32 v7, v8 :: v_dual_mov_b32 v1, 0
	s_mov_b32 s1, 0
	s_delay_alu instid0(VALU_DEP_1) | instskip(SKIP_1) | instid1(SALU_CYCLE_1)
	v_cmp_eq_u64_e32 vcc_lo, s[12:13], v[6:7]
	s_or_b32 s14, vcc_lo, s14
	s_and_not1_b32 exec_lo, exec_lo, s14
	s_cbranch_execnz .LBB1_548
; %bb.554:                              ;   in Loop: Header=BB1_1 Depth=1
	s_or_b32 exec_lo, exec_lo, s14
	s_add_co_i32 s6, s2, 0x4f
	s_mov_b32 s14, 0
	s_mul_hi_u32 s0, s6, 0x10624dd3
	s_mov_b32 s15, s12
	s_lshr_b32 s0, s0, 6
	s_mov_b32 s17, s5
	s_mul_i32 s3, s0, 0x3e8
	s_or_b64 s[0:1], s[14:15], s[12:13]
	s_sub_co_i32 s3, s6, s3
	v_lshl_add_u64 v[6:7], s[4:5], 4, v[12:13]
	s_lshl_b32 s16, s3, 12
	v_dual_mov_b32 v2, s0 :: v_dual_mov_b32 v3, s1
	v_add_nc_u64_e32 v[14:15], s[16:17], v[10:11]
	v_dual_mov_b32 v5, s12 :: v_dual_mov_b32 v1, 0
	s_lshl_b32 s4, s3, 8
	s_mov_b32 s7, s5
	s_mov_b32 s1, s14
	global_store_b128 v[6:7], v[2:5], off th:TH_STORE_NT
.LBB1_555:                              ;   Parent Loop BB1_1 Depth=1
                                        ; =>  This Inner Loop Header: Depth=2
	s_wait_loadcnt 0x0
	global_load_b128 v[6:9], v[14:15], off th:TH_LOAD_NT
	v_add_nc_u32_e32 v1, 1, v1
	s_mov_b32 s0, -1
	s_mov_b32 s3, -1
	s_mov_b32 s12, exec_lo
	s_wait_xcnt 0x0
	v_cmpx_eq_u32_e32 0xf4240, v1
	s_cbranch_execz .LBB1_557
; %bb.556:                              ;   in Loop: Header=BB1_555 Depth=2
	s_wait_loadcnt 0x0
	s_wait_storecnt 0x0
	global_load_b32 v1, v4, s[10:11] scope:SCOPE_SYS
	s_wait_loadcnt 0x0
	global_inv scope:SCOPE_SYS
	v_cmp_eq_u32_e32 vcc_lo, 0, v1
	v_mov_b32_e32 v1, 0
	s_or_not1_b32 s3, vcc_lo, exec_lo
.LBB1_557:                              ;   in Loop: Header=BB1_555 Depth=2
	s_wait_xcnt 0x0
	s_or_b32 exec_lo, exec_lo, s12
	s_and_saveexec_b32 s12, s3
	s_cbranch_execz .LBB1_559
; %bb.558:                              ;   in Loop: Header=BB1_555 Depth=2
	s_wait_loadcnt 0x0
	v_cmp_eq_u32_e32 vcc_lo, s6, v7
	v_cmp_eq_u32_e64 s0, s6, v9
	s_and_b32 s0, vcc_lo, s0
	s_delay_alu instid0(SALU_CYCLE_1)
	s_or_not1_b32 s0, s0, exec_lo
.LBB1_559:                              ;   in Loop: Header=BB1_555 Depth=2
	s_or_b32 exec_lo, exec_lo, s12
	s_delay_alu instid0(SALU_CYCLE_1) | instskip(NEXT) | instid1(SALU_CYCLE_1)
	s_and_b32 s0, exec_lo, s0
	s_or_b32 s1, s0, s1
	s_delay_alu instid0(SALU_CYCLE_1)
	s_and_not1_b32 exec_lo, exec_lo, s1
	s_cbranch_execnz .LBB1_555
; %bb.560:                              ;   in Loop: Header=BB1_555 Depth=2
	s_or_b32 exec_lo, exec_lo, s1
	s_wait_loadcnt 0x0
	v_dual_mov_b32 v7, v8 :: v_dual_mov_b32 v1, 0
	s_mov_b32 s1, 0
	s_delay_alu instid0(VALU_DEP_1) | instskip(SKIP_1) | instid1(SALU_CYCLE_1)
	v_cmp_eq_u64_e32 vcc_lo, s[6:7], v[6:7]
	s_or_b32 s14, vcc_lo, s14
	s_and_not1_b32 exec_lo, exec_lo, s14
	s_cbranch_execnz .LBB1_555
; %bb.561:                              ;   in Loop: Header=BB1_1 Depth=1
	s_or_b32 exec_lo, exec_lo, s14
	s_add_co_i32 s12, s2, 0x50
	s_mov_b32 s14, 0
	s_mul_hi_u32 s0, s12, 0x10624dd3
	s_mov_b32 s15, s6
	s_lshr_b32 s0, s0, 6
	s_mov_b32 s17, s5
	s_mul_i32 s3, s0, 0x3e8
	s_or_b64 s[0:1], s[14:15], s[6:7]
	s_sub_co_i32 s3, s12, s3
	v_lshl_add_u64 v[6:7], s[4:5], 4, v[12:13]
	s_lshl_b32 s16, s3, 12
	v_dual_mov_b32 v2, s0 :: v_dual_mov_b32 v3, s1
	v_add_nc_u64_e32 v[14:15], s[16:17], v[10:11]
	v_dual_mov_b32 v5, s6 :: v_dual_mov_b32 v1, 0
	s_lshl_b32 s4, s3, 8
	s_mov_b32 s13, s5
	s_mov_b32 s1, s14
	global_store_b128 v[6:7], v[2:5], off th:TH_STORE_NT
.LBB1_562:                              ;   Parent Loop BB1_1 Depth=1
                                        ; =>  This Inner Loop Header: Depth=2
	s_wait_loadcnt 0x0
	global_load_b128 v[6:9], v[14:15], off th:TH_LOAD_NT
	v_add_nc_u32_e32 v1, 1, v1
	s_mov_b32 s0, -1
	s_mov_b32 s3, -1
	s_mov_b32 s6, exec_lo
	s_wait_xcnt 0x0
	v_cmpx_eq_u32_e32 0xf4240, v1
	s_cbranch_execz .LBB1_564
; %bb.563:                              ;   in Loop: Header=BB1_562 Depth=2
	s_wait_loadcnt 0x0
	s_wait_storecnt 0x0
	global_load_b32 v1, v4, s[10:11] scope:SCOPE_SYS
	s_wait_loadcnt 0x0
	global_inv scope:SCOPE_SYS
	v_cmp_eq_u32_e32 vcc_lo, 0, v1
	v_mov_b32_e32 v1, 0
	s_or_not1_b32 s3, vcc_lo, exec_lo
.LBB1_564:                              ;   in Loop: Header=BB1_562 Depth=2
	s_wait_xcnt 0x0
	s_or_b32 exec_lo, exec_lo, s6
	s_and_saveexec_b32 s6, s3
	s_cbranch_execz .LBB1_566
; %bb.565:                              ;   in Loop: Header=BB1_562 Depth=2
	s_wait_loadcnt 0x0
	v_cmp_eq_u32_e32 vcc_lo, s12, v7
	v_cmp_eq_u32_e64 s0, s12, v9
	s_and_b32 s0, vcc_lo, s0
	s_delay_alu instid0(SALU_CYCLE_1)
	s_or_not1_b32 s0, s0, exec_lo
.LBB1_566:                              ;   in Loop: Header=BB1_562 Depth=2
	s_or_b32 exec_lo, exec_lo, s6
	s_delay_alu instid0(SALU_CYCLE_1) | instskip(NEXT) | instid1(SALU_CYCLE_1)
	s_and_b32 s0, exec_lo, s0
	s_or_b32 s1, s0, s1
	s_delay_alu instid0(SALU_CYCLE_1)
	s_and_not1_b32 exec_lo, exec_lo, s1
	s_cbranch_execnz .LBB1_562
; %bb.567:                              ;   in Loop: Header=BB1_562 Depth=2
	s_or_b32 exec_lo, exec_lo, s1
	s_wait_loadcnt 0x0
	v_dual_mov_b32 v7, v8 :: v_dual_mov_b32 v1, 0
	s_mov_b32 s1, 0
	s_delay_alu instid0(VALU_DEP_1) | instskip(SKIP_1) | instid1(SALU_CYCLE_1)
	v_cmp_eq_u64_e32 vcc_lo, s[12:13], v[6:7]
	s_or_b32 s14, vcc_lo, s14
	s_and_not1_b32 exec_lo, exec_lo, s14
	s_cbranch_execnz .LBB1_562
; %bb.568:                              ;   in Loop: Header=BB1_1 Depth=1
	s_or_b32 exec_lo, exec_lo, s14
	s_add_co_i32 s6, s2, 0x51
	s_mov_b32 s14, 0
	s_mul_hi_u32 s0, s6, 0x10624dd3
	s_mov_b32 s15, s12
	s_lshr_b32 s0, s0, 6
	s_mov_b32 s17, s5
	s_mul_i32 s3, s0, 0x3e8
	s_or_b64 s[0:1], s[14:15], s[12:13]
	s_sub_co_i32 s3, s6, s3
	v_lshl_add_u64 v[6:7], s[4:5], 4, v[12:13]
	s_lshl_b32 s16, s3, 12
	v_dual_mov_b32 v2, s0 :: v_dual_mov_b32 v3, s1
	v_add_nc_u64_e32 v[14:15], s[16:17], v[10:11]
	v_dual_mov_b32 v5, s12 :: v_dual_mov_b32 v1, 0
	s_lshl_b32 s4, s3, 8
	s_mov_b32 s7, s5
	s_mov_b32 s1, s14
	global_store_b128 v[6:7], v[2:5], off th:TH_STORE_NT
.LBB1_569:                              ;   Parent Loop BB1_1 Depth=1
                                        ; =>  This Inner Loop Header: Depth=2
	s_wait_loadcnt 0x0
	global_load_b128 v[6:9], v[14:15], off th:TH_LOAD_NT
	v_add_nc_u32_e32 v1, 1, v1
	s_mov_b32 s0, -1
	s_mov_b32 s3, -1
	s_mov_b32 s12, exec_lo
	s_wait_xcnt 0x0
	v_cmpx_eq_u32_e32 0xf4240, v1
	s_cbranch_execz .LBB1_571
; %bb.570:                              ;   in Loop: Header=BB1_569 Depth=2
	s_wait_loadcnt 0x0
	s_wait_storecnt 0x0
	global_load_b32 v1, v4, s[10:11] scope:SCOPE_SYS
	s_wait_loadcnt 0x0
	global_inv scope:SCOPE_SYS
	v_cmp_eq_u32_e32 vcc_lo, 0, v1
	v_mov_b32_e32 v1, 0
	s_or_not1_b32 s3, vcc_lo, exec_lo
.LBB1_571:                              ;   in Loop: Header=BB1_569 Depth=2
	s_wait_xcnt 0x0
	s_or_b32 exec_lo, exec_lo, s12
	s_and_saveexec_b32 s12, s3
	s_cbranch_execz .LBB1_573
; %bb.572:                              ;   in Loop: Header=BB1_569 Depth=2
	s_wait_loadcnt 0x0
	v_cmp_eq_u32_e32 vcc_lo, s6, v7
	v_cmp_eq_u32_e64 s0, s6, v9
	s_and_b32 s0, vcc_lo, s0
	s_delay_alu instid0(SALU_CYCLE_1)
	s_or_not1_b32 s0, s0, exec_lo
.LBB1_573:                              ;   in Loop: Header=BB1_569 Depth=2
	s_or_b32 exec_lo, exec_lo, s12
	s_delay_alu instid0(SALU_CYCLE_1) | instskip(NEXT) | instid1(SALU_CYCLE_1)
	s_and_b32 s0, exec_lo, s0
	s_or_b32 s1, s0, s1
	s_delay_alu instid0(SALU_CYCLE_1)
	s_and_not1_b32 exec_lo, exec_lo, s1
	s_cbranch_execnz .LBB1_569
; %bb.574:                              ;   in Loop: Header=BB1_569 Depth=2
	s_or_b32 exec_lo, exec_lo, s1
	s_wait_loadcnt 0x0
	v_dual_mov_b32 v7, v8 :: v_dual_mov_b32 v1, 0
	s_mov_b32 s1, 0
	s_delay_alu instid0(VALU_DEP_1) | instskip(SKIP_1) | instid1(SALU_CYCLE_1)
	v_cmp_eq_u64_e32 vcc_lo, s[6:7], v[6:7]
	s_or_b32 s14, vcc_lo, s14
	s_and_not1_b32 exec_lo, exec_lo, s14
	s_cbranch_execnz .LBB1_569
; %bb.575:                              ;   in Loop: Header=BB1_1 Depth=1
	s_or_b32 exec_lo, exec_lo, s14
	s_add_co_i32 s12, s2, 0x52
	s_mov_b32 s14, 0
	s_mul_hi_u32 s0, s12, 0x10624dd3
	s_mov_b32 s15, s6
	s_lshr_b32 s0, s0, 6
	s_mov_b32 s17, s5
	s_mul_i32 s3, s0, 0x3e8
	s_or_b64 s[0:1], s[14:15], s[6:7]
	s_sub_co_i32 s3, s12, s3
	v_lshl_add_u64 v[6:7], s[4:5], 4, v[12:13]
	s_lshl_b32 s16, s3, 12
	v_dual_mov_b32 v2, s0 :: v_dual_mov_b32 v3, s1
	v_add_nc_u64_e32 v[14:15], s[16:17], v[10:11]
	v_dual_mov_b32 v5, s6 :: v_dual_mov_b32 v1, 0
	s_lshl_b32 s4, s3, 8
	s_mov_b32 s13, s5
	s_mov_b32 s1, s14
	global_store_b128 v[6:7], v[2:5], off th:TH_STORE_NT
.LBB1_576:                              ;   Parent Loop BB1_1 Depth=1
                                        ; =>  This Inner Loop Header: Depth=2
	s_wait_loadcnt 0x0
	global_load_b128 v[6:9], v[14:15], off th:TH_LOAD_NT
	v_add_nc_u32_e32 v1, 1, v1
	s_mov_b32 s0, -1
	s_mov_b32 s3, -1
	s_mov_b32 s6, exec_lo
	s_wait_xcnt 0x0
	v_cmpx_eq_u32_e32 0xf4240, v1
	s_cbranch_execz .LBB1_578
; %bb.577:                              ;   in Loop: Header=BB1_576 Depth=2
	s_wait_loadcnt 0x0
	s_wait_storecnt 0x0
	global_load_b32 v1, v4, s[10:11] scope:SCOPE_SYS
	s_wait_loadcnt 0x0
	global_inv scope:SCOPE_SYS
	v_cmp_eq_u32_e32 vcc_lo, 0, v1
	v_mov_b32_e32 v1, 0
	s_or_not1_b32 s3, vcc_lo, exec_lo
.LBB1_578:                              ;   in Loop: Header=BB1_576 Depth=2
	s_wait_xcnt 0x0
	s_or_b32 exec_lo, exec_lo, s6
	s_and_saveexec_b32 s6, s3
	s_cbranch_execz .LBB1_580
; %bb.579:                              ;   in Loop: Header=BB1_576 Depth=2
	s_wait_loadcnt 0x0
	v_cmp_eq_u32_e32 vcc_lo, s12, v7
	v_cmp_eq_u32_e64 s0, s12, v9
	s_and_b32 s0, vcc_lo, s0
	s_delay_alu instid0(SALU_CYCLE_1)
	s_or_not1_b32 s0, s0, exec_lo
.LBB1_580:                              ;   in Loop: Header=BB1_576 Depth=2
	s_or_b32 exec_lo, exec_lo, s6
	s_delay_alu instid0(SALU_CYCLE_1) | instskip(NEXT) | instid1(SALU_CYCLE_1)
	s_and_b32 s0, exec_lo, s0
	s_or_b32 s1, s0, s1
	s_delay_alu instid0(SALU_CYCLE_1)
	s_and_not1_b32 exec_lo, exec_lo, s1
	s_cbranch_execnz .LBB1_576
; %bb.581:                              ;   in Loop: Header=BB1_576 Depth=2
	s_or_b32 exec_lo, exec_lo, s1
	s_wait_loadcnt 0x0
	v_dual_mov_b32 v7, v8 :: v_dual_mov_b32 v1, 0
	s_mov_b32 s1, 0
	s_delay_alu instid0(VALU_DEP_1) | instskip(SKIP_1) | instid1(SALU_CYCLE_1)
	v_cmp_eq_u64_e32 vcc_lo, s[12:13], v[6:7]
	s_or_b32 s14, vcc_lo, s14
	s_and_not1_b32 exec_lo, exec_lo, s14
	s_cbranch_execnz .LBB1_576
; %bb.582:                              ;   in Loop: Header=BB1_1 Depth=1
	s_or_b32 exec_lo, exec_lo, s14
	s_add_co_i32 s6, s2, 0x53
	s_mov_b32 s14, 0
	s_mul_hi_u32 s0, s6, 0x10624dd3
	s_mov_b32 s15, s12
	s_lshr_b32 s0, s0, 6
	s_mov_b32 s17, s5
	s_mul_i32 s3, s0, 0x3e8
	s_or_b64 s[0:1], s[14:15], s[12:13]
	s_sub_co_i32 s3, s6, s3
	v_lshl_add_u64 v[6:7], s[4:5], 4, v[12:13]
	s_lshl_b32 s16, s3, 12
	v_dual_mov_b32 v2, s0 :: v_dual_mov_b32 v3, s1
	v_add_nc_u64_e32 v[14:15], s[16:17], v[10:11]
	v_dual_mov_b32 v5, s12 :: v_dual_mov_b32 v1, 0
	s_lshl_b32 s4, s3, 8
	s_mov_b32 s7, s5
	s_mov_b32 s1, s14
	global_store_b128 v[6:7], v[2:5], off th:TH_STORE_NT
.LBB1_583:                              ;   Parent Loop BB1_1 Depth=1
                                        ; =>  This Inner Loop Header: Depth=2
	s_wait_loadcnt 0x0
	global_load_b128 v[6:9], v[14:15], off th:TH_LOAD_NT
	v_add_nc_u32_e32 v1, 1, v1
	s_mov_b32 s0, -1
	s_mov_b32 s3, -1
	s_mov_b32 s12, exec_lo
	s_wait_xcnt 0x0
	v_cmpx_eq_u32_e32 0xf4240, v1
	s_cbranch_execz .LBB1_585
; %bb.584:                              ;   in Loop: Header=BB1_583 Depth=2
	s_wait_loadcnt 0x0
	s_wait_storecnt 0x0
	global_load_b32 v1, v4, s[10:11] scope:SCOPE_SYS
	s_wait_loadcnt 0x0
	global_inv scope:SCOPE_SYS
	v_cmp_eq_u32_e32 vcc_lo, 0, v1
	v_mov_b32_e32 v1, 0
	s_or_not1_b32 s3, vcc_lo, exec_lo
.LBB1_585:                              ;   in Loop: Header=BB1_583 Depth=2
	s_wait_xcnt 0x0
	s_or_b32 exec_lo, exec_lo, s12
	s_and_saveexec_b32 s12, s3
	s_cbranch_execz .LBB1_587
; %bb.586:                              ;   in Loop: Header=BB1_583 Depth=2
	s_wait_loadcnt 0x0
	v_cmp_eq_u32_e32 vcc_lo, s6, v7
	v_cmp_eq_u32_e64 s0, s6, v9
	s_and_b32 s0, vcc_lo, s0
	s_delay_alu instid0(SALU_CYCLE_1)
	s_or_not1_b32 s0, s0, exec_lo
.LBB1_587:                              ;   in Loop: Header=BB1_583 Depth=2
	s_or_b32 exec_lo, exec_lo, s12
	s_delay_alu instid0(SALU_CYCLE_1) | instskip(NEXT) | instid1(SALU_CYCLE_1)
	s_and_b32 s0, exec_lo, s0
	s_or_b32 s1, s0, s1
	s_delay_alu instid0(SALU_CYCLE_1)
	s_and_not1_b32 exec_lo, exec_lo, s1
	s_cbranch_execnz .LBB1_583
; %bb.588:                              ;   in Loop: Header=BB1_583 Depth=2
	s_or_b32 exec_lo, exec_lo, s1
	s_wait_loadcnt 0x0
	v_dual_mov_b32 v7, v8 :: v_dual_mov_b32 v1, 0
	s_mov_b32 s1, 0
	s_delay_alu instid0(VALU_DEP_1) | instskip(SKIP_1) | instid1(SALU_CYCLE_1)
	v_cmp_eq_u64_e32 vcc_lo, s[6:7], v[6:7]
	s_or_b32 s14, vcc_lo, s14
	s_and_not1_b32 exec_lo, exec_lo, s14
	s_cbranch_execnz .LBB1_583
; %bb.589:                              ;   in Loop: Header=BB1_1 Depth=1
	s_or_b32 exec_lo, exec_lo, s14
	s_add_co_i32 s12, s2, 0x54
	s_mov_b32 s14, 0
	s_mul_hi_u32 s0, s12, 0x10624dd3
	s_mov_b32 s15, s6
	s_lshr_b32 s0, s0, 6
	s_mov_b32 s17, s5
	s_mul_i32 s3, s0, 0x3e8
	s_or_b64 s[0:1], s[14:15], s[6:7]
	s_sub_co_i32 s3, s12, s3
	v_lshl_add_u64 v[6:7], s[4:5], 4, v[12:13]
	s_lshl_b32 s16, s3, 12
	v_dual_mov_b32 v2, s0 :: v_dual_mov_b32 v3, s1
	v_add_nc_u64_e32 v[14:15], s[16:17], v[10:11]
	v_dual_mov_b32 v5, s6 :: v_dual_mov_b32 v1, 0
	s_lshl_b32 s4, s3, 8
	s_mov_b32 s13, s5
	s_mov_b32 s1, s14
	global_store_b128 v[6:7], v[2:5], off th:TH_STORE_NT
.LBB1_590:                              ;   Parent Loop BB1_1 Depth=1
                                        ; =>  This Inner Loop Header: Depth=2
	s_wait_loadcnt 0x0
	global_load_b128 v[6:9], v[14:15], off th:TH_LOAD_NT
	v_add_nc_u32_e32 v1, 1, v1
	s_mov_b32 s0, -1
	s_mov_b32 s3, -1
	s_mov_b32 s6, exec_lo
	s_wait_xcnt 0x0
	v_cmpx_eq_u32_e32 0xf4240, v1
	s_cbranch_execz .LBB1_592
; %bb.591:                              ;   in Loop: Header=BB1_590 Depth=2
	s_wait_loadcnt 0x0
	s_wait_storecnt 0x0
	global_load_b32 v1, v4, s[10:11] scope:SCOPE_SYS
	s_wait_loadcnt 0x0
	global_inv scope:SCOPE_SYS
	v_cmp_eq_u32_e32 vcc_lo, 0, v1
	v_mov_b32_e32 v1, 0
	s_or_not1_b32 s3, vcc_lo, exec_lo
.LBB1_592:                              ;   in Loop: Header=BB1_590 Depth=2
	s_wait_xcnt 0x0
	s_or_b32 exec_lo, exec_lo, s6
	s_and_saveexec_b32 s6, s3
	s_cbranch_execz .LBB1_594
; %bb.593:                              ;   in Loop: Header=BB1_590 Depth=2
	s_wait_loadcnt 0x0
	v_cmp_eq_u32_e32 vcc_lo, s12, v7
	v_cmp_eq_u32_e64 s0, s12, v9
	s_and_b32 s0, vcc_lo, s0
	s_delay_alu instid0(SALU_CYCLE_1)
	s_or_not1_b32 s0, s0, exec_lo
.LBB1_594:                              ;   in Loop: Header=BB1_590 Depth=2
	s_or_b32 exec_lo, exec_lo, s6
	s_delay_alu instid0(SALU_CYCLE_1) | instskip(NEXT) | instid1(SALU_CYCLE_1)
	s_and_b32 s0, exec_lo, s0
	s_or_b32 s1, s0, s1
	s_delay_alu instid0(SALU_CYCLE_1)
	s_and_not1_b32 exec_lo, exec_lo, s1
	s_cbranch_execnz .LBB1_590
; %bb.595:                              ;   in Loop: Header=BB1_590 Depth=2
	s_or_b32 exec_lo, exec_lo, s1
	s_wait_loadcnt 0x0
	v_dual_mov_b32 v7, v8 :: v_dual_mov_b32 v1, 0
	s_mov_b32 s1, 0
	s_delay_alu instid0(VALU_DEP_1) | instskip(SKIP_1) | instid1(SALU_CYCLE_1)
	v_cmp_eq_u64_e32 vcc_lo, s[12:13], v[6:7]
	s_or_b32 s14, vcc_lo, s14
	s_and_not1_b32 exec_lo, exec_lo, s14
	s_cbranch_execnz .LBB1_590
; %bb.596:                              ;   in Loop: Header=BB1_1 Depth=1
	s_or_b32 exec_lo, exec_lo, s14
	s_add_co_i32 s6, s2, 0x55
	s_mov_b32 s14, 0
	s_mul_hi_u32 s0, s6, 0x10624dd3
	s_mov_b32 s15, s12
	s_lshr_b32 s0, s0, 6
	s_mov_b32 s17, s5
	s_mul_i32 s3, s0, 0x3e8
	s_or_b64 s[0:1], s[14:15], s[12:13]
	s_sub_co_i32 s3, s6, s3
	v_lshl_add_u64 v[6:7], s[4:5], 4, v[12:13]
	s_lshl_b32 s16, s3, 12
	v_dual_mov_b32 v2, s0 :: v_dual_mov_b32 v3, s1
	v_add_nc_u64_e32 v[14:15], s[16:17], v[10:11]
	v_dual_mov_b32 v5, s12 :: v_dual_mov_b32 v1, 0
	s_lshl_b32 s4, s3, 8
	s_mov_b32 s7, s5
	s_mov_b32 s1, s14
	global_store_b128 v[6:7], v[2:5], off th:TH_STORE_NT
.LBB1_597:                              ;   Parent Loop BB1_1 Depth=1
                                        ; =>  This Inner Loop Header: Depth=2
	s_wait_loadcnt 0x0
	global_load_b128 v[6:9], v[14:15], off th:TH_LOAD_NT
	v_add_nc_u32_e32 v1, 1, v1
	s_mov_b32 s0, -1
	s_mov_b32 s3, -1
	s_mov_b32 s12, exec_lo
	s_wait_xcnt 0x0
	v_cmpx_eq_u32_e32 0xf4240, v1
	s_cbranch_execz .LBB1_599
; %bb.598:                              ;   in Loop: Header=BB1_597 Depth=2
	s_wait_loadcnt 0x0
	s_wait_storecnt 0x0
	global_load_b32 v1, v4, s[10:11] scope:SCOPE_SYS
	s_wait_loadcnt 0x0
	global_inv scope:SCOPE_SYS
	v_cmp_eq_u32_e32 vcc_lo, 0, v1
	v_mov_b32_e32 v1, 0
	s_or_not1_b32 s3, vcc_lo, exec_lo
.LBB1_599:                              ;   in Loop: Header=BB1_597 Depth=2
	s_wait_xcnt 0x0
	s_or_b32 exec_lo, exec_lo, s12
	s_and_saveexec_b32 s12, s3
	s_cbranch_execz .LBB1_601
; %bb.600:                              ;   in Loop: Header=BB1_597 Depth=2
	s_wait_loadcnt 0x0
	v_cmp_eq_u32_e32 vcc_lo, s6, v7
	v_cmp_eq_u32_e64 s0, s6, v9
	s_and_b32 s0, vcc_lo, s0
	s_delay_alu instid0(SALU_CYCLE_1)
	s_or_not1_b32 s0, s0, exec_lo
.LBB1_601:                              ;   in Loop: Header=BB1_597 Depth=2
	s_or_b32 exec_lo, exec_lo, s12
	s_delay_alu instid0(SALU_CYCLE_1) | instskip(NEXT) | instid1(SALU_CYCLE_1)
	s_and_b32 s0, exec_lo, s0
	s_or_b32 s1, s0, s1
	s_delay_alu instid0(SALU_CYCLE_1)
	s_and_not1_b32 exec_lo, exec_lo, s1
	s_cbranch_execnz .LBB1_597
; %bb.602:                              ;   in Loop: Header=BB1_597 Depth=2
	s_or_b32 exec_lo, exec_lo, s1
	s_wait_loadcnt 0x0
	v_dual_mov_b32 v7, v8 :: v_dual_mov_b32 v1, 0
	s_mov_b32 s1, 0
	s_delay_alu instid0(VALU_DEP_1) | instskip(SKIP_1) | instid1(SALU_CYCLE_1)
	v_cmp_eq_u64_e32 vcc_lo, s[6:7], v[6:7]
	s_or_b32 s14, vcc_lo, s14
	s_and_not1_b32 exec_lo, exec_lo, s14
	s_cbranch_execnz .LBB1_597
; %bb.603:                              ;   in Loop: Header=BB1_1 Depth=1
	s_or_b32 exec_lo, exec_lo, s14
	s_add_co_i32 s12, s2, 0x56
	s_mov_b32 s14, 0
	s_mul_hi_u32 s0, s12, 0x10624dd3
	s_mov_b32 s15, s6
	s_lshr_b32 s0, s0, 6
	s_mov_b32 s17, s5
	s_mul_i32 s3, s0, 0x3e8
	s_or_b64 s[0:1], s[14:15], s[6:7]
	s_sub_co_i32 s3, s12, s3
	v_lshl_add_u64 v[6:7], s[4:5], 4, v[12:13]
	s_lshl_b32 s16, s3, 12
	v_dual_mov_b32 v2, s0 :: v_dual_mov_b32 v3, s1
	v_add_nc_u64_e32 v[14:15], s[16:17], v[10:11]
	v_dual_mov_b32 v5, s6 :: v_dual_mov_b32 v1, 0
	s_lshl_b32 s4, s3, 8
	s_mov_b32 s13, s5
	s_mov_b32 s1, s14
	global_store_b128 v[6:7], v[2:5], off th:TH_STORE_NT
.LBB1_604:                              ;   Parent Loop BB1_1 Depth=1
                                        ; =>  This Inner Loop Header: Depth=2
	s_wait_loadcnt 0x0
	global_load_b128 v[6:9], v[14:15], off th:TH_LOAD_NT
	v_add_nc_u32_e32 v1, 1, v1
	s_mov_b32 s0, -1
	s_mov_b32 s3, -1
	s_mov_b32 s6, exec_lo
	s_wait_xcnt 0x0
	v_cmpx_eq_u32_e32 0xf4240, v1
	s_cbranch_execz .LBB1_606
; %bb.605:                              ;   in Loop: Header=BB1_604 Depth=2
	s_wait_loadcnt 0x0
	s_wait_storecnt 0x0
	global_load_b32 v1, v4, s[10:11] scope:SCOPE_SYS
	s_wait_loadcnt 0x0
	global_inv scope:SCOPE_SYS
	v_cmp_eq_u32_e32 vcc_lo, 0, v1
	v_mov_b32_e32 v1, 0
	s_or_not1_b32 s3, vcc_lo, exec_lo
.LBB1_606:                              ;   in Loop: Header=BB1_604 Depth=2
	s_wait_xcnt 0x0
	s_or_b32 exec_lo, exec_lo, s6
	s_and_saveexec_b32 s6, s3
	s_cbranch_execz .LBB1_608
; %bb.607:                              ;   in Loop: Header=BB1_604 Depth=2
	s_wait_loadcnt 0x0
	v_cmp_eq_u32_e32 vcc_lo, s12, v7
	v_cmp_eq_u32_e64 s0, s12, v9
	s_and_b32 s0, vcc_lo, s0
	s_delay_alu instid0(SALU_CYCLE_1)
	s_or_not1_b32 s0, s0, exec_lo
.LBB1_608:                              ;   in Loop: Header=BB1_604 Depth=2
	s_or_b32 exec_lo, exec_lo, s6
	s_delay_alu instid0(SALU_CYCLE_1) | instskip(NEXT) | instid1(SALU_CYCLE_1)
	s_and_b32 s0, exec_lo, s0
	s_or_b32 s1, s0, s1
	s_delay_alu instid0(SALU_CYCLE_1)
	s_and_not1_b32 exec_lo, exec_lo, s1
	s_cbranch_execnz .LBB1_604
; %bb.609:                              ;   in Loop: Header=BB1_604 Depth=2
	s_or_b32 exec_lo, exec_lo, s1
	s_wait_loadcnt 0x0
	v_dual_mov_b32 v7, v8 :: v_dual_mov_b32 v1, 0
	s_mov_b32 s1, 0
	s_delay_alu instid0(VALU_DEP_1) | instskip(SKIP_1) | instid1(SALU_CYCLE_1)
	v_cmp_eq_u64_e32 vcc_lo, s[12:13], v[6:7]
	s_or_b32 s14, vcc_lo, s14
	s_and_not1_b32 exec_lo, exec_lo, s14
	s_cbranch_execnz .LBB1_604
; %bb.610:                              ;   in Loop: Header=BB1_1 Depth=1
	s_or_b32 exec_lo, exec_lo, s14
	s_add_co_i32 s6, s2, 0x57
	s_mov_b32 s14, 0
	s_mul_hi_u32 s0, s6, 0x10624dd3
	s_mov_b32 s15, s12
	s_lshr_b32 s0, s0, 6
	s_mov_b32 s17, s5
	s_mul_i32 s3, s0, 0x3e8
	s_or_b64 s[0:1], s[14:15], s[12:13]
	s_sub_co_i32 s3, s6, s3
	v_lshl_add_u64 v[6:7], s[4:5], 4, v[12:13]
	s_lshl_b32 s16, s3, 12
	v_dual_mov_b32 v2, s0 :: v_dual_mov_b32 v3, s1
	v_add_nc_u64_e32 v[14:15], s[16:17], v[10:11]
	v_dual_mov_b32 v5, s12 :: v_dual_mov_b32 v1, 0
	s_lshl_b32 s4, s3, 8
	s_mov_b32 s7, s5
	s_mov_b32 s1, s14
	global_store_b128 v[6:7], v[2:5], off th:TH_STORE_NT
.LBB1_611:                              ;   Parent Loop BB1_1 Depth=1
                                        ; =>  This Inner Loop Header: Depth=2
	s_wait_loadcnt 0x0
	global_load_b128 v[6:9], v[14:15], off th:TH_LOAD_NT
	v_add_nc_u32_e32 v1, 1, v1
	s_mov_b32 s0, -1
	s_mov_b32 s3, -1
	s_mov_b32 s12, exec_lo
	s_wait_xcnt 0x0
	v_cmpx_eq_u32_e32 0xf4240, v1
	s_cbranch_execz .LBB1_613
; %bb.612:                              ;   in Loop: Header=BB1_611 Depth=2
	s_wait_loadcnt 0x0
	s_wait_storecnt 0x0
	global_load_b32 v1, v4, s[10:11] scope:SCOPE_SYS
	s_wait_loadcnt 0x0
	global_inv scope:SCOPE_SYS
	v_cmp_eq_u32_e32 vcc_lo, 0, v1
	v_mov_b32_e32 v1, 0
	s_or_not1_b32 s3, vcc_lo, exec_lo
.LBB1_613:                              ;   in Loop: Header=BB1_611 Depth=2
	s_wait_xcnt 0x0
	s_or_b32 exec_lo, exec_lo, s12
	s_and_saveexec_b32 s12, s3
	s_cbranch_execz .LBB1_615
; %bb.614:                              ;   in Loop: Header=BB1_611 Depth=2
	s_wait_loadcnt 0x0
	v_cmp_eq_u32_e32 vcc_lo, s6, v7
	v_cmp_eq_u32_e64 s0, s6, v9
	s_and_b32 s0, vcc_lo, s0
	s_delay_alu instid0(SALU_CYCLE_1)
	s_or_not1_b32 s0, s0, exec_lo
.LBB1_615:                              ;   in Loop: Header=BB1_611 Depth=2
	s_or_b32 exec_lo, exec_lo, s12
	s_delay_alu instid0(SALU_CYCLE_1) | instskip(NEXT) | instid1(SALU_CYCLE_1)
	s_and_b32 s0, exec_lo, s0
	s_or_b32 s1, s0, s1
	s_delay_alu instid0(SALU_CYCLE_1)
	s_and_not1_b32 exec_lo, exec_lo, s1
	s_cbranch_execnz .LBB1_611
; %bb.616:                              ;   in Loop: Header=BB1_611 Depth=2
	s_or_b32 exec_lo, exec_lo, s1
	s_wait_loadcnt 0x0
	v_dual_mov_b32 v7, v8 :: v_dual_mov_b32 v1, 0
	s_mov_b32 s1, 0
	s_delay_alu instid0(VALU_DEP_1) | instskip(SKIP_1) | instid1(SALU_CYCLE_1)
	v_cmp_eq_u64_e32 vcc_lo, s[6:7], v[6:7]
	s_or_b32 s14, vcc_lo, s14
	s_and_not1_b32 exec_lo, exec_lo, s14
	s_cbranch_execnz .LBB1_611
; %bb.617:                              ;   in Loop: Header=BB1_1 Depth=1
	s_or_b32 exec_lo, exec_lo, s14
	s_add_co_i32 s12, s2, 0x58
	s_mov_b32 s14, 0
	s_mul_hi_u32 s0, s12, 0x10624dd3
	s_mov_b32 s15, s6
	s_lshr_b32 s0, s0, 6
	s_mov_b32 s17, s5
	s_mul_i32 s3, s0, 0x3e8
	s_or_b64 s[0:1], s[14:15], s[6:7]
	s_sub_co_i32 s3, s12, s3
	v_lshl_add_u64 v[6:7], s[4:5], 4, v[12:13]
	s_lshl_b32 s16, s3, 12
	v_dual_mov_b32 v2, s0 :: v_dual_mov_b32 v3, s1
	v_add_nc_u64_e32 v[14:15], s[16:17], v[10:11]
	v_dual_mov_b32 v5, s6 :: v_dual_mov_b32 v1, 0
	s_lshl_b32 s4, s3, 8
	s_mov_b32 s13, s5
	s_mov_b32 s1, s14
	global_store_b128 v[6:7], v[2:5], off th:TH_STORE_NT
.LBB1_618:                              ;   Parent Loop BB1_1 Depth=1
                                        ; =>  This Inner Loop Header: Depth=2
	s_wait_loadcnt 0x0
	global_load_b128 v[6:9], v[14:15], off th:TH_LOAD_NT
	v_add_nc_u32_e32 v1, 1, v1
	s_mov_b32 s0, -1
	s_mov_b32 s3, -1
	s_mov_b32 s6, exec_lo
	s_wait_xcnt 0x0
	v_cmpx_eq_u32_e32 0xf4240, v1
	s_cbranch_execz .LBB1_620
; %bb.619:                              ;   in Loop: Header=BB1_618 Depth=2
	s_wait_loadcnt 0x0
	s_wait_storecnt 0x0
	global_load_b32 v1, v4, s[10:11] scope:SCOPE_SYS
	s_wait_loadcnt 0x0
	global_inv scope:SCOPE_SYS
	v_cmp_eq_u32_e32 vcc_lo, 0, v1
	v_mov_b32_e32 v1, 0
	s_or_not1_b32 s3, vcc_lo, exec_lo
.LBB1_620:                              ;   in Loop: Header=BB1_618 Depth=2
	s_wait_xcnt 0x0
	s_or_b32 exec_lo, exec_lo, s6
	s_and_saveexec_b32 s6, s3
	s_cbranch_execz .LBB1_622
; %bb.621:                              ;   in Loop: Header=BB1_618 Depth=2
	s_wait_loadcnt 0x0
	v_cmp_eq_u32_e32 vcc_lo, s12, v7
	v_cmp_eq_u32_e64 s0, s12, v9
	s_and_b32 s0, vcc_lo, s0
	s_delay_alu instid0(SALU_CYCLE_1)
	s_or_not1_b32 s0, s0, exec_lo
.LBB1_622:                              ;   in Loop: Header=BB1_618 Depth=2
	s_or_b32 exec_lo, exec_lo, s6
	s_delay_alu instid0(SALU_CYCLE_1) | instskip(NEXT) | instid1(SALU_CYCLE_1)
	s_and_b32 s0, exec_lo, s0
	s_or_b32 s1, s0, s1
	s_delay_alu instid0(SALU_CYCLE_1)
	s_and_not1_b32 exec_lo, exec_lo, s1
	s_cbranch_execnz .LBB1_618
; %bb.623:                              ;   in Loop: Header=BB1_618 Depth=2
	s_or_b32 exec_lo, exec_lo, s1
	s_wait_loadcnt 0x0
	v_dual_mov_b32 v7, v8 :: v_dual_mov_b32 v1, 0
	s_mov_b32 s1, 0
	s_delay_alu instid0(VALU_DEP_1) | instskip(SKIP_1) | instid1(SALU_CYCLE_1)
	v_cmp_eq_u64_e32 vcc_lo, s[12:13], v[6:7]
	s_or_b32 s14, vcc_lo, s14
	s_and_not1_b32 exec_lo, exec_lo, s14
	s_cbranch_execnz .LBB1_618
; %bb.624:                              ;   in Loop: Header=BB1_1 Depth=1
	s_or_b32 exec_lo, exec_lo, s14
	s_add_co_i32 s6, s2, 0x59
	s_mov_b32 s14, 0
	s_mul_hi_u32 s0, s6, 0x10624dd3
	s_mov_b32 s15, s12
	s_lshr_b32 s0, s0, 6
	s_mov_b32 s17, s5
	s_mul_i32 s3, s0, 0x3e8
	s_or_b64 s[0:1], s[14:15], s[12:13]
	s_sub_co_i32 s3, s6, s3
	v_lshl_add_u64 v[6:7], s[4:5], 4, v[12:13]
	s_lshl_b32 s16, s3, 12
	v_dual_mov_b32 v2, s0 :: v_dual_mov_b32 v3, s1
	v_add_nc_u64_e32 v[14:15], s[16:17], v[10:11]
	v_dual_mov_b32 v5, s12 :: v_dual_mov_b32 v1, 0
	s_lshl_b32 s4, s3, 8
	s_mov_b32 s7, s5
	s_mov_b32 s1, s14
	global_store_b128 v[6:7], v[2:5], off th:TH_STORE_NT
.LBB1_625:                              ;   Parent Loop BB1_1 Depth=1
                                        ; =>  This Inner Loop Header: Depth=2
	s_wait_loadcnt 0x0
	global_load_b128 v[6:9], v[14:15], off th:TH_LOAD_NT
	v_add_nc_u32_e32 v1, 1, v1
	s_mov_b32 s0, -1
	s_mov_b32 s3, -1
	s_mov_b32 s12, exec_lo
	s_wait_xcnt 0x0
	v_cmpx_eq_u32_e32 0xf4240, v1
	s_cbranch_execz .LBB1_627
; %bb.626:                              ;   in Loop: Header=BB1_625 Depth=2
	s_wait_loadcnt 0x0
	s_wait_storecnt 0x0
	global_load_b32 v1, v4, s[10:11] scope:SCOPE_SYS
	s_wait_loadcnt 0x0
	global_inv scope:SCOPE_SYS
	v_cmp_eq_u32_e32 vcc_lo, 0, v1
	v_mov_b32_e32 v1, 0
	s_or_not1_b32 s3, vcc_lo, exec_lo
.LBB1_627:                              ;   in Loop: Header=BB1_625 Depth=2
	s_wait_xcnt 0x0
	s_or_b32 exec_lo, exec_lo, s12
	s_and_saveexec_b32 s12, s3
	s_cbranch_execz .LBB1_629
; %bb.628:                              ;   in Loop: Header=BB1_625 Depth=2
	s_wait_loadcnt 0x0
	v_cmp_eq_u32_e32 vcc_lo, s6, v7
	v_cmp_eq_u32_e64 s0, s6, v9
	s_and_b32 s0, vcc_lo, s0
	s_delay_alu instid0(SALU_CYCLE_1)
	s_or_not1_b32 s0, s0, exec_lo
.LBB1_629:                              ;   in Loop: Header=BB1_625 Depth=2
	s_or_b32 exec_lo, exec_lo, s12
	s_delay_alu instid0(SALU_CYCLE_1) | instskip(NEXT) | instid1(SALU_CYCLE_1)
	s_and_b32 s0, exec_lo, s0
	s_or_b32 s1, s0, s1
	s_delay_alu instid0(SALU_CYCLE_1)
	s_and_not1_b32 exec_lo, exec_lo, s1
	s_cbranch_execnz .LBB1_625
; %bb.630:                              ;   in Loop: Header=BB1_625 Depth=2
	s_or_b32 exec_lo, exec_lo, s1
	s_wait_loadcnt 0x0
	v_dual_mov_b32 v7, v8 :: v_dual_mov_b32 v1, 0
	s_mov_b32 s1, 0
	s_delay_alu instid0(VALU_DEP_1) | instskip(SKIP_1) | instid1(SALU_CYCLE_1)
	v_cmp_eq_u64_e32 vcc_lo, s[6:7], v[6:7]
	s_or_b32 s14, vcc_lo, s14
	s_and_not1_b32 exec_lo, exec_lo, s14
	s_cbranch_execnz .LBB1_625
; %bb.631:                              ;   in Loop: Header=BB1_1 Depth=1
	s_or_b32 exec_lo, exec_lo, s14
	s_add_co_i32 s12, s2, 0x5a
	s_mov_b32 s14, 0
	s_mul_hi_u32 s0, s12, 0x10624dd3
	s_mov_b32 s15, s6
	s_lshr_b32 s0, s0, 6
	s_mov_b32 s17, s5
	s_mul_i32 s3, s0, 0x3e8
	s_or_b64 s[0:1], s[14:15], s[6:7]
	s_sub_co_i32 s3, s12, s3
	v_lshl_add_u64 v[6:7], s[4:5], 4, v[12:13]
	s_lshl_b32 s16, s3, 12
	v_dual_mov_b32 v2, s0 :: v_dual_mov_b32 v3, s1
	v_add_nc_u64_e32 v[14:15], s[16:17], v[10:11]
	v_dual_mov_b32 v5, s6 :: v_dual_mov_b32 v1, 0
	s_lshl_b32 s4, s3, 8
	s_mov_b32 s13, s5
	s_mov_b32 s1, s14
	global_store_b128 v[6:7], v[2:5], off th:TH_STORE_NT
.LBB1_632:                              ;   Parent Loop BB1_1 Depth=1
                                        ; =>  This Inner Loop Header: Depth=2
	s_wait_loadcnt 0x0
	global_load_b128 v[6:9], v[14:15], off th:TH_LOAD_NT
	v_add_nc_u32_e32 v1, 1, v1
	s_mov_b32 s0, -1
	s_mov_b32 s3, -1
	s_mov_b32 s6, exec_lo
	s_wait_xcnt 0x0
	v_cmpx_eq_u32_e32 0xf4240, v1
	s_cbranch_execz .LBB1_634
; %bb.633:                              ;   in Loop: Header=BB1_632 Depth=2
	s_wait_loadcnt 0x0
	s_wait_storecnt 0x0
	global_load_b32 v1, v4, s[10:11] scope:SCOPE_SYS
	s_wait_loadcnt 0x0
	global_inv scope:SCOPE_SYS
	v_cmp_eq_u32_e32 vcc_lo, 0, v1
	v_mov_b32_e32 v1, 0
	s_or_not1_b32 s3, vcc_lo, exec_lo
.LBB1_634:                              ;   in Loop: Header=BB1_632 Depth=2
	s_wait_xcnt 0x0
	s_or_b32 exec_lo, exec_lo, s6
	s_and_saveexec_b32 s6, s3
	s_cbranch_execz .LBB1_636
; %bb.635:                              ;   in Loop: Header=BB1_632 Depth=2
	s_wait_loadcnt 0x0
	v_cmp_eq_u32_e32 vcc_lo, s12, v7
	v_cmp_eq_u32_e64 s0, s12, v9
	s_and_b32 s0, vcc_lo, s0
	s_delay_alu instid0(SALU_CYCLE_1)
	s_or_not1_b32 s0, s0, exec_lo
.LBB1_636:                              ;   in Loop: Header=BB1_632 Depth=2
	s_or_b32 exec_lo, exec_lo, s6
	s_delay_alu instid0(SALU_CYCLE_1) | instskip(NEXT) | instid1(SALU_CYCLE_1)
	s_and_b32 s0, exec_lo, s0
	s_or_b32 s1, s0, s1
	s_delay_alu instid0(SALU_CYCLE_1)
	s_and_not1_b32 exec_lo, exec_lo, s1
	s_cbranch_execnz .LBB1_632
; %bb.637:                              ;   in Loop: Header=BB1_632 Depth=2
	s_or_b32 exec_lo, exec_lo, s1
	s_wait_loadcnt 0x0
	v_dual_mov_b32 v7, v8 :: v_dual_mov_b32 v1, 0
	s_mov_b32 s1, 0
	s_delay_alu instid0(VALU_DEP_1) | instskip(SKIP_1) | instid1(SALU_CYCLE_1)
	v_cmp_eq_u64_e32 vcc_lo, s[12:13], v[6:7]
	s_or_b32 s14, vcc_lo, s14
	s_and_not1_b32 exec_lo, exec_lo, s14
	s_cbranch_execnz .LBB1_632
; %bb.638:                              ;   in Loop: Header=BB1_1 Depth=1
	s_or_b32 exec_lo, exec_lo, s14
	s_add_co_i32 s6, s2, 0x5b
	s_mov_b32 s14, 0
	s_mul_hi_u32 s0, s6, 0x10624dd3
	s_mov_b32 s15, s12
	s_lshr_b32 s0, s0, 6
	s_mov_b32 s17, s5
	s_mul_i32 s3, s0, 0x3e8
	s_or_b64 s[0:1], s[14:15], s[12:13]
	s_sub_co_i32 s3, s6, s3
	v_lshl_add_u64 v[6:7], s[4:5], 4, v[12:13]
	s_lshl_b32 s16, s3, 12
	v_dual_mov_b32 v2, s0 :: v_dual_mov_b32 v3, s1
	v_add_nc_u64_e32 v[14:15], s[16:17], v[10:11]
	v_dual_mov_b32 v5, s12 :: v_dual_mov_b32 v1, 0
	s_lshl_b32 s4, s3, 8
	s_mov_b32 s7, s5
	s_mov_b32 s1, s14
	global_store_b128 v[6:7], v[2:5], off th:TH_STORE_NT
.LBB1_639:                              ;   Parent Loop BB1_1 Depth=1
                                        ; =>  This Inner Loop Header: Depth=2
	s_wait_loadcnt 0x0
	global_load_b128 v[6:9], v[14:15], off th:TH_LOAD_NT
	v_add_nc_u32_e32 v1, 1, v1
	s_mov_b32 s0, -1
	s_mov_b32 s3, -1
	s_mov_b32 s12, exec_lo
	s_wait_xcnt 0x0
	v_cmpx_eq_u32_e32 0xf4240, v1
	s_cbranch_execz .LBB1_641
; %bb.640:                              ;   in Loop: Header=BB1_639 Depth=2
	s_wait_loadcnt 0x0
	s_wait_storecnt 0x0
	global_load_b32 v1, v4, s[10:11] scope:SCOPE_SYS
	s_wait_loadcnt 0x0
	global_inv scope:SCOPE_SYS
	v_cmp_eq_u32_e32 vcc_lo, 0, v1
	v_mov_b32_e32 v1, 0
	s_or_not1_b32 s3, vcc_lo, exec_lo
.LBB1_641:                              ;   in Loop: Header=BB1_639 Depth=2
	s_wait_xcnt 0x0
	s_or_b32 exec_lo, exec_lo, s12
	s_and_saveexec_b32 s12, s3
	s_cbranch_execz .LBB1_643
; %bb.642:                              ;   in Loop: Header=BB1_639 Depth=2
	s_wait_loadcnt 0x0
	v_cmp_eq_u32_e32 vcc_lo, s6, v7
	v_cmp_eq_u32_e64 s0, s6, v9
	s_and_b32 s0, vcc_lo, s0
	s_delay_alu instid0(SALU_CYCLE_1)
	s_or_not1_b32 s0, s0, exec_lo
.LBB1_643:                              ;   in Loop: Header=BB1_639 Depth=2
	s_or_b32 exec_lo, exec_lo, s12
	s_delay_alu instid0(SALU_CYCLE_1) | instskip(NEXT) | instid1(SALU_CYCLE_1)
	s_and_b32 s0, exec_lo, s0
	s_or_b32 s1, s0, s1
	s_delay_alu instid0(SALU_CYCLE_1)
	s_and_not1_b32 exec_lo, exec_lo, s1
	s_cbranch_execnz .LBB1_639
; %bb.644:                              ;   in Loop: Header=BB1_639 Depth=2
	s_or_b32 exec_lo, exec_lo, s1
	s_wait_loadcnt 0x0
	v_dual_mov_b32 v7, v8 :: v_dual_mov_b32 v1, 0
	s_mov_b32 s1, 0
	s_delay_alu instid0(VALU_DEP_1) | instskip(SKIP_1) | instid1(SALU_CYCLE_1)
	v_cmp_eq_u64_e32 vcc_lo, s[6:7], v[6:7]
	s_or_b32 s14, vcc_lo, s14
	s_and_not1_b32 exec_lo, exec_lo, s14
	s_cbranch_execnz .LBB1_639
; %bb.645:                              ;   in Loop: Header=BB1_1 Depth=1
	s_or_b32 exec_lo, exec_lo, s14
	s_add_co_i32 s12, s2, 0x5c
	s_mov_b32 s14, 0
	s_mul_hi_u32 s0, s12, 0x10624dd3
	s_mov_b32 s15, s6
	s_lshr_b32 s0, s0, 6
	s_mov_b32 s17, s5
	s_mul_i32 s3, s0, 0x3e8
	s_or_b64 s[0:1], s[14:15], s[6:7]
	s_sub_co_i32 s3, s12, s3
	v_lshl_add_u64 v[6:7], s[4:5], 4, v[12:13]
	s_lshl_b32 s16, s3, 12
	v_dual_mov_b32 v2, s0 :: v_dual_mov_b32 v3, s1
	v_add_nc_u64_e32 v[14:15], s[16:17], v[10:11]
	v_dual_mov_b32 v5, s6 :: v_dual_mov_b32 v1, 0
	s_lshl_b32 s4, s3, 8
	s_mov_b32 s13, s5
	s_mov_b32 s1, s14
	global_store_b128 v[6:7], v[2:5], off th:TH_STORE_NT
.LBB1_646:                              ;   Parent Loop BB1_1 Depth=1
                                        ; =>  This Inner Loop Header: Depth=2
	s_wait_loadcnt 0x0
	global_load_b128 v[6:9], v[14:15], off th:TH_LOAD_NT
	v_add_nc_u32_e32 v1, 1, v1
	s_mov_b32 s0, -1
	s_mov_b32 s3, -1
	s_mov_b32 s6, exec_lo
	s_wait_xcnt 0x0
	v_cmpx_eq_u32_e32 0xf4240, v1
	s_cbranch_execz .LBB1_648
; %bb.647:                              ;   in Loop: Header=BB1_646 Depth=2
	s_wait_loadcnt 0x0
	s_wait_storecnt 0x0
	global_load_b32 v1, v4, s[10:11] scope:SCOPE_SYS
	s_wait_loadcnt 0x0
	global_inv scope:SCOPE_SYS
	v_cmp_eq_u32_e32 vcc_lo, 0, v1
	v_mov_b32_e32 v1, 0
	s_or_not1_b32 s3, vcc_lo, exec_lo
.LBB1_648:                              ;   in Loop: Header=BB1_646 Depth=2
	s_wait_xcnt 0x0
	s_or_b32 exec_lo, exec_lo, s6
	s_and_saveexec_b32 s6, s3
	s_cbranch_execz .LBB1_650
; %bb.649:                              ;   in Loop: Header=BB1_646 Depth=2
	s_wait_loadcnt 0x0
	v_cmp_eq_u32_e32 vcc_lo, s12, v7
	v_cmp_eq_u32_e64 s0, s12, v9
	s_and_b32 s0, vcc_lo, s0
	s_delay_alu instid0(SALU_CYCLE_1)
	s_or_not1_b32 s0, s0, exec_lo
.LBB1_650:                              ;   in Loop: Header=BB1_646 Depth=2
	s_or_b32 exec_lo, exec_lo, s6
	s_delay_alu instid0(SALU_CYCLE_1) | instskip(NEXT) | instid1(SALU_CYCLE_1)
	s_and_b32 s0, exec_lo, s0
	s_or_b32 s1, s0, s1
	s_delay_alu instid0(SALU_CYCLE_1)
	s_and_not1_b32 exec_lo, exec_lo, s1
	s_cbranch_execnz .LBB1_646
; %bb.651:                              ;   in Loop: Header=BB1_646 Depth=2
	s_or_b32 exec_lo, exec_lo, s1
	s_wait_loadcnt 0x0
	v_dual_mov_b32 v7, v8 :: v_dual_mov_b32 v1, 0
	s_mov_b32 s1, 0
	s_delay_alu instid0(VALU_DEP_1) | instskip(SKIP_1) | instid1(SALU_CYCLE_1)
	v_cmp_eq_u64_e32 vcc_lo, s[12:13], v[6:7]
	s_or_b32 s14, vcc_lo, s14
	s_and_not1_b32 exec_lo, exec_lo, s14
	s_cbranch_execnz .LBB1_646
; %bb.652:                              ;   in Loop: Header=BB1_1 Depth=1
	s_or_b32 exec_lo, exec_lo, s14
	s_add_co_i32 s6, s2, 0x5d
	s_mov_b32 s14, 0
	s_mul_hi_u32 s0, s6, 0x10624dd3
	s_mov_b32 s15, s12
	s_lshr_b32 s0, s0, 6
	s_mov_b32 s17, s5
	s_mul_i32 s3, s0, 0x3e8
	s_or_b64 s[0:1], s[14:15], s[12:13]
	s_sub_co_i32 s3, s6, s3
	v_lshl_add_u64 v[6:7], s[4:5], 4, v[12:13]
	s_lshl_b32 s16, s3, 12
	v_dual_mov_b32 v2, s0 :: v_dual_mov_b32 v3, s1
	v_add_nc_u64_e32 v[14:15], s[16:17], v[10:11]
	v_dual_mov_b32 v5, s12 :: v_dual_mov_b32 v1, 0
	s_lshl_b32 s4, s3, 8
	s_mov_b32 s7, s5
	s_mov_b32 s1, s14
	global_store_b128 v[6:7], v[2:5], off th:TH_STORE_NT
.LBB1_653:                              ;   Parent Loop BB1_1 Depth=1
                                        ; =>  This Inner Loop Header: Depth=2
	s_wait_loadcnt 0x0
	global_load_b128 v[6:9], v[14:15], off th:TH_LOAD_NT
	v_add_nc_u32_e32 v1, 1, v1
	s_mov_b32 s0, -1
	s_mov_b32 s3, -1
	s_mov_b32 s12, exec_lo
	s_wait_xcnt 0x0
	v_cmpx_eq_u32_e32 0xf4240, v1
	s_cbranch_execz .LBB1_655
; %bb.654:                              ;   in Loop: Header=BB1_653 Depth=2
	s_wait_loadcnt 0x0
	s_wait_storecnt 0x0
	global_load_b32 v1, v4, s[10:11] scope:SCOPE_SYS
	s_wait_loadcnt 0x0
	global_inv scope:SCOPE_SYS
	v_cmp_eq_u32_e32 vcc_lo, 0, v1
	v_mov_b32_e32 v1, 0
	s_or_not1_b32 s3, vcc_lo, exec_lo
.LBB1_655:                              ;   in Loop: Header=BB1_653 Depth=2
	s_wait_xcnt 0x0
	s_or_b32 exec_lo, exec_lo, s12
	s_and_saveexec_b32 s12, s3
	s_cbranch_execz .LBB1_657
; %bb.656:                              ;   in Loop: Header=BB1_653 Depth=2
	s_wait_loadcnt 0x0
	v_cmp_eq_u32_e32 vcc_lo, s6, v7
	v_cmp_eq_u32_e64 s0, s6, v9
	s_and_b32 s0, vcc_lo, s0
	s_delay_alu instid0(SALU_CYCLE_1)
	s_or_not1_b32 s0, s0, exec_lo
.LBB1_657:                              ;   in Loop: Header=BB1_653 Depth=2
	s_or_b32 exec_lo, exec_lo, s12
	s_delay_alu instid0(SALU_CYCLE_1) | instskip(NEXT) | instid1(SALU_CYCLE_1)
	s_and_b32 s0, exec_lo, s0
	s_or_b32 s1, s0, s1
	s_delay_alu instid0(SALU_CYCLE_1)
	s_and_not1_b32 exec_lo, exec_lo, s1
	s_cbranch_execnz .LBB1_653
; %bb.658:                              ;   in Loop: Header=BB1_653 Depth=2
	s_or_b32 exec_lo, exec_lo, s1
	s_wait_loadcnt 0x0
	v_dual_mov_b32 v7, v8 :: v_dual_mov_b32 v1, 0
	s_mov_b32 s1, 0
	s_delay_alu instid0(VALU_DEP_1) | instskip(SKIP_1) | instid1(SALU_CYCLE_1)
	v_cmp_eq_u64_e32 vcc_lo, s[6:7], v[6:7]
	s_or_b32 s14, vcc_lo, s14
	s_and_not1_b32 exec_lo, exec_lo, s14
	s_cbranch_execnz .LBB1_653
; %bb.659:                              ;   in Loop: Header=BB1_1 Depth=1
	s_or_b32 exec_lo, exec_lo, s14
	s_add_co_i32 s12, s2, 0x5e
	s_mov_b32 s14, 0
	s_mul_hi_u32 s0, s12, 0x10624dd3
	s_mov_b32 s15, s6
	s_lshr_b32 s0, s0, 6
	s_mov_b32 s17, s5
	s_mul_i32 s3, s0, 0x3e8
	s_or_b64 s[0:1], s[14:15], s[6:7]
	s_sub_co_i32 s3, s12, s3
	v_lshl_add_u64 v[6:7], s[4:5], 4, v[12:13]
	s_lshl_b32 s16, s3, 12
	v_dual_mov_b32 v2, s0 :: v_dual_mov_b32 v3, s1
	v_add_nc_u64_e32 v[14:15], s[16:17], v[10:11]
	v_dual_mov_b32 v5, s6 :: v_dual_mov_b32 v1, 0
	s_lshl_b32 s4, s3, 8
	s_mov_b32 s13, s5
	s_mov_b32 s1, s14
	global_store_b128 v[6:7], v[2:5], off th:TH_STORE_NT
.LBB1_660:                              ;   Parent Loop BB1_1 Depth=1
                                        ; =>  This Inner Loop Header: Depth=2
	s_wait_loadcnt 0x0
	global_load_b128 v[6:9], v[14:15], off th:TH_LOAD_NT
	v_add_nc_u32_e32 v1, 1, v1
	s_mov_b32 s0, -1
	s_mov_b32 s3, -1
	s_mov_b32 s6, exec_lo
	s_wait_xcnt 0x0
	v_cmpx_eq_u32_e32 0xf4240, v1
	s_cbranch_execz .LBB1_662
; %bb.661:                              ;   in Loop: Header=BB1_660 Depth=2
	s_wait_loadcnt 0x0
	s_wait_storecnt 0x0
	global_load_b32 v1, v4, s[10:11] scope:SCOPE_SYS
	s_wait_loadcnt 0x0
	global_inv scope:SCOPE_SYS
	v_cmp_eq_u32_e32 vcc_lo, 0, v1
	v_mov_b32_e32 v1, 0
	s_or_not1_b32 s3, vcc_lo, exec_lo
.LBB1_662:                              ;   in Loop: Header=BB1_660 Depth=2
	s_wait_xcnt 0x0
	s_or_b32 exec_lo, exec_lo, s6
	s_and_saveexec_b32 s6, s3
	s_cbranch_execz .LBB1_664
; %bb.663:                              ;   in Loop: Header=BB1_660 Depth=2
	s_wait_loadcnt 0x0
	v_cmp_eq_u32_e32 vcc_lo, s12, v7
	v_cmp_eq_u32_e64 s0, s12, v9
	s_and_b32 s0, vcc_lo, s0
	s_delay_alu instid0(SALU_CYCLE_1)
	s_or_not1_b32 s0, s0, exec_lo
.LBB1_664:                              ;   in Loop: Header=BB1_660 Depth=2
	s_or_b32 exec_lo, exec_lo, s6
	s_delay_alu instid0(SALU_CYCLE_1) | instskip(NEXT) | instid1(SALU_CYCLE_1)
	s_and_b32 s0, exec_lo, s0
	s_or_b32 s1, s0, s1
	s_delay_alu instid0(SALU_CYCLE_1)
	s_and_not1_b32 exec_lo, exec_lo, s1
	s_cbranch_execnz .LBB1_660
; %bb.665:                              ;   in Loop: Header=BB1_660 Depth=2
	s_or_b32 exec_lo, exec_lo, s1
	s_wait_loadcnt 0x0
	v_dual_mov_b32 v7, v8 :: v_dual_mov_b32 v1, 0
	s_mov_b32 s1, 0
	s_delay_alu instid0(VALU_DEP_1) | instskip(SKIP_1) | instid1(SALU_CYCLE_1)
	v_cmp_eq_u64_e32 vcc_lo, s[12:13], v[6:7]
	s_or_b32 s14, vcc_lo, s14
	s_and_not1_b32 exec_lo, exec_lo, s14
	s_cbranch_execnz .LBB1_660
; %bb.666:                              ;   in Loop: Header=BB1_1 Depth=1
	s_or_b32 exec_lo, exec_lo, s14
	s_add_co_i32 s6, s2, 0x5f
	s_mov_b32 s14, 0
	s_mul_hi_u32 s0, s6, 0x10624dd3
	s_mov_b32 s15, s12
	s_lshr_b32 s0, s0, 6
	s_mov_b32 s17, s5
	s_mul_i32 s3, s0, 0x3e8
	s_or_b64 s[0:1], s[14:15], s[12:13]
	s_sub_co_i32 s3, s6, s3
	v_lshl_add_u64 v[6:7], s[4:5], 4, v[12:13]
	s_lshl_b32 s16, s3, 12
	v_dual_mov_b32 v2, s0 :: v_dual_mov_b32 v3, s1
	v_add_nc_u64_e32 v[14:15], s[16:17], v[10:11]
	v_dual_mov_b32 v5, s12 :: v_dual_mov_b32 v1, 0
	s_lshl_b32 s4, s3, 8
	s_mov_b32 s7, s5
	s_mov_b32 s1, s14
	global_store_b128 v[6:7], v[2:5], off th:TH_STORE_NT
.LBB1_667:                              ;   Parent Loop BB1_1 Depth=1
                                        ; =>  This Inner Loop Header: Depth=2
	s_wait_loadcnt 0x0
	global_load_b128 v[6:9], v[14:15], off th:TH_LOAD_NT
	v_add_nc_u32_e32 v1, 1, v1
	s_mov_b32 s0, -1
	s_mov_b32 s3, -1
	s_mov_b32 s12, exec_lo
	s_wait_xcnt 0x0
	v_cmpx_eq_u32_e32 0xf4240, v1
	s_cbranch_execz .LBB1_669
; %bb.668:                              ;   in Loop: Header=BB1_667 Depth=2
	s_wait_loadcnt 0x0
	s_wait_storecnt 0x0
	global_load_b32 v1, v4, s[10:11] scope:SCOPE_SYS
	s_wait_loadcnt 0x0
	global_inv scope:SCOPE_SYS
	v_cmp_eq_u32_e32 vcc_lo, 0, v1
	v_mov_b32_e32 v1, 0
	s_or_not1_b32 s3, vcc_lo, exec_lo
.LBB1_669:                              ;   in Loop: Header=BB1_667 Depth=2
	s_wait_xcnt 0x0
	s_or_b32 exec_lo, exec_lo, s12
	s_and_saveexec_b32 s12, s3
	s_cbranch_execz .LBB1_671
; %bb.670:                              ;   in Loop: Header=BB1_667 Depth=2
	s_wait_loadcnt 0x0
	v_cmp_eq_u32_e32 vcc_lo, s6, v7
	v_cmp_eq_u32_e64 s0, s6, v9
	s_and_b32 s0, vcc_lo, s0
	s_delay_alu instid0(SALU_CYCLE_1)
	s_or_not1_b32 s0, s0, exec_lo
.LBB1_671:                              ;   in Loop: Header=BB1_667 Depth=2
	s_or_b32 exec_lo, exec_lo, s12
	s_delay_alu instid0(SALU_CYCLE_1) | instskip(NEXT) | instid1(SALU_CYCLE_1)
	s_and_b32 s0, exec_lo, s0
	s_or_b32 s1, s0, s1
	s_delay_alu instid0(SALU_CYCLE_1)
	s_and_not1_b32 exec_lo, exec_lo, s1
	s_cbranch_execnz .LBB1_667
; %bb.672:                              ;   in Loop: Header=BB1_667 Depth=2
	s_or_b32 exec_lo, exec_lo, s1
	s_wait_loadcnt 0x0
	v_dual_mov_b32 v7, v8 :: v_dual_mov_b32 v1, 0
	s_mov_b32 s1, 0
	s_delay_alu instid0(VALU_DEP_1) | instskip(SKIP_1) | instid1(SALU_CYCLE_1)
	v_cmp_eq_u64_e32 vcc_lo, s[6:7], v[6:7]
	s_or_b32 s14, vcc_lo, s14
	s_and_not1_b32 exec_lo, exec_lo, s14
	s_cbranch_execnz .LBB1_667
; %bb.673:                              ;   in Loop: Header=BB1_1 Depth=1
	s_or_b32 exec_lo, exec_lo, s14
	s_add_co_i32 s12, s2, 0x60
	s_mov_b32 s14, 0
	s_mul_hi_u32 s0, s12, 0x10624dd3
	s_mov_b32 s15, s6
	s_lshr_b32 s0, s0, 6
	s_mov_b32 s17, s5
	s_mul_i32 s3, s0, 0x3e8
	s_or_b64 s[0:1], s[14:15], s[6:7]
	s_sub_co_i32 s3, s12, s3
	v_lshl_add_u64 v[6:7], s[4:5], 4, v[12:13]
	s_lshl_b32 s16, s3, 12
	v_dual_mov_b32 v2, s0 :: v_dual_mov_b32 v3, s1
	v_add_nc_u64_e32 v[14:15], s[16:17], v[10:11]
	v_dual_mov_b32 v5, s6 :: v_dual_mov_b32 v1, 0
	s_lshl_b32 s4, s3, 8
	s_mov_b32 s13, s5
	s_mov_b32 s1, s14
	global_store_b128 v[6:7], v[2:5], off th:TH_STORE_NT
.LBB1_674:                              ;   Parent Loop BB1_1 Depth=1
                                        ; =>  This Inner Loop Header: Depth=2
	s_wait_loadcnt 0x0
	global_load_b128 v[6:9], v[14:15], off th:TH_LOAD_NT
	v_add_nc_u32_e32 v1, 1, v1
	s_mov_b32 s0, -1
	s_mov_b32 s3, -1
	s_mov_b32 s6, exec_lo
	s_wait_xcnt 0x0
	v_cmpx_eq_u32_e32 0xf4240, v1
	s_cbranch_execz .LBB1_676
; %bb.675:                              ;   in Loop: Header=BB1_674 Depth=2
	s_wait_loadcnt 0x0
	s_wait_storecnt 0x0
	global_load_b32 v1, v4, s[10:11] scope:SCOPE_SYS
	s_wait_loadcnt 0x0
	global_inv scope:SCOPE_SYS
	v_cmp_eq_u32_e32 vcc_lo, 0, v1
	v_mov_b32_e32 v1, 0
	s_or_not1_b32 s3, vcc_lo, exec_lo
.LBB1_676:                              ;   in Loop: Header=BB1_674 Depth=2
	s_wait_xcnt 0x0
	s_or_b32 exec_lo, exec_lo, s6
	s_and_saveexec_b32 s6, s3
	s_cbranch_execz .LBB1_678
; %bb.677:                              ;   in Loop: Header=BB1_674 Depth=2
	s_wait_loadcnt 0x0
	v_cmp_eq_u32_e32 vcc_lo, s12, v7
	v_cmp_eq_u32_e64 s0, s12, v9
	s_and_b32 s0, vcc_lo, s0
	s_delay_alu instid0(SALU_CYCLE_1)
	s_or_not1_b32 s0, s0, exec_lo
.LBB1_678:                              ;   in Loop: Header=BB1_674 Depth=2
	s_or_b32 exec_lo, exec_lo, s6
	s_delay_alu instid0(SALU_CYCLE_1) | instskip(NEXT) | instid1(SALU_CYCLE_1)
	s_and_b32 s0, exec_lo, s0
	s_or_b32 s1, s0, s1
	s_delay_alu instid0(SALU_CYCLE_1)
	s_and_not1_b32 exec_lo, exec_lo, s1
	s_cbranch_execnz .LBB1_674
; %bb.679:                              ;   in Loop: Header=BB1_674 Depth=2
	s_or_b32 exec_lo, exec_lo, s1
	s_wait_loadcnt 0x0
	v_dual_mov_b32 v7, v8 :: v_dual_mov_b32 v1, 0
	s_mov_b32 s1, 0
	s_delay_alu instid0(VALU_DEP_1) | instskip(SKIP_1) | instid1(SALU_CYCLE_1)
	v_cmp_eq_u64_e32 vcc_lo, s[12:13], v[6:7]
	s_or_b32 s14, vcc_lo, s14
	s_and_not1_b32 exec_lo, exec_lo, s14
	s_cbranch_execnz .LBB1_674
; %bb.680:                              ;   in Loop: Header=BB1_1 Depth=1
	s_or_b32 exec_lo, exec_lo, s14
	s_add_co_i32 s6, s2, 0x61
	s_mov_b32 s14, 0
	s_mul_hi_u32 s0, s6, 0x10624dd3
	s_mov_b32 s15, s12
	s_lshr_b32 s0, s0, 6
	s_mov_b32 s17, s5
	s_mul_i32 s3, s0, 0x3e8
	s_or_b64 s[0:1], s[14:15], s[12:13]
	s_sub_co_i32 s3, s6, s3
	v_lshl_add_u64 v[6:7], s[4:5], 4, v[12:13]
	s_lshl_b32 s16, s3, 12
	v_dual_mov_b32 v2, s0 :: v_dual_mov_b32 v3, s1
	v_add_nc_u64_e32 v[14:15], s[16:17], v[10:11]
	v_dual_mov_b32 v5, s12 :: v_dual_mov_b32 v1, 0
	s_lshl_b32 s4, s3, 8
	s_mov_b32 s7, s5
	s_mov_b32 s1, s14
	global_store_b128 v[6:7], v[2:5], off th:TH_STORE_NT
.LBB1_681:                              ;   Parent Loop BB1_1 Depth=1
                                        ; =>  This Inner Loop Header: Depth=2
	s_wait_loadcnt 0x0
	global_load_b128 v[6:9], v[14:15], off th:TH_LOAD_NT
	v_add_nc_u32_e32 v1, 1, v1
	s_mov_b32 s0, -1
	s_mov_b32 s3, -1
	s_mov_b32 s12, exec_lo
	s_wait_xcnt 0x0
	v_cmpx_eq_u32_e32 0xf4240, v1
	s_cbranch_execz .LBB1_683
; %bb.682:                              ;   in Loop: Header=BB1_681 Depth=2
	s_wait_loadcnt 0x0
	s_wait_storecnt 0x0
	global_load_b32 v1, v4, s[10:11] scope:SCOPE_SYS
	s_wait_loadcnt 0x0
	global_inv scope:SCOPE_SYS
	v_cmp_eq_u32_e32 vcc_lo, 0, v1
	v_mov_b32_e32 v1, 0
	s_or_not1_b32 s3, vcc_lo, exec_lo
.LBB1_683:                              ;   in Loop: Header=BB1_681 Depth=2
	s_wait_xcnt 0x0
	s_or_b32 exec_lo, exec_lo, s12
	s_and_saveexec_b32 s12, s3
	s_cbranch_execz .LBB1_685
; %bb.684:                              ;   in Loop: Header=BB1_681 Depth=2
	s_wait_loadcnt 0x0
	v_cmp_eq_u32_e32 vcc_lo, s6, v7
	v_cmp_eq_u32_e64 s0, s6, v9
	s_and_b32 s0, vcc_lo, s0
	s_delay_alu instid0(SALU_CYCLE_1)
	s_or_not1_b32 s0, s0, exec_lo
.LBB1_685:                              ;   in Loop: Header=BB1_681 Depth=2
	s_or_b32 exec_lo, exec_lo, s12
	s_delay_alu instid0(SALU_CYCLE_1) | instskip(NEXT) | instid1(SALU_CYCLE_1)
	s_and_b32 s0, exec_lo, s0
	s_or_b32 s1, s0, s1
	s_delay_alu instid0(SALU_CYCLE_1)
	s_and_not1_b32 exec_lo, exec_lo, s1
	s_cbranch_execnz .LBB1_681
; %bb.686:                              ;   in Loop: Header=BB1_681 Depth=2
	s_or_b32 exec_lo, exec_lo, s1
	s_wait_loadcnt 0x0
	v_dual_mov_b32 v7, v8 :: v_dual_mov_b32 v1, 0
	s_mov_b32 s1, 0
	s_delay_alu instid0(VALU_DEP_1) | instskip(SKIP_1) | instid1(SALU_CYCLE_1)
	v_cmp_eq_u64_e32 vcc_lo, s[6:7], v[6:7]
	s_or_b32 s14, vcc_lo, s14
	s_and_not1_b32 exec_lo, exec_lo, s14
	s_cbranch_execnz .LBB1_681
; %bb.687:                              ;   in Loop: Header=BB1_1 Depth=1
	s_or_b32 exec_lo, exec_lo, s14
	s_add_co_i32 s12, s2, 0x62
	s_mov_b32 s14, 0
	s_mul_hi_u32 s0, s12, 0x10624dd3
	s_mov_b32 s15, s6
	s_lshr_b32 s0, s0, 6
	s_mov_b32 s17, s5
	s_mul_i32 s3, s0, 0x3e8
	s_or_b64 s[0:1], s[14:15], s[6:7]
	s_sub_co_i32 s3, s12, s3
	v_lshl_add_u64 v[6:7], s[4:5], 4, v[12:13]
	s_lshl_b32 s16, s3, 12
	v_dual_mov_b32 v2, s0 :: v_dual_mov_b32 v3, s1
	v_add_nc_u64_e32 v[14:15], s[16:17], v[10:11]
	v_dual_mov_b32 v5, s6 :: v_dual_mov_b32 v1, 0
	s_lshl_b32 s4, s3, 8
	s_mov_b32 s13, s5
	s_mov_b32 s1, s14
	global_store_b128 v[6:7], v[2:5], off th:TH_STORE_NT
.LBB1_688:                              ;   Parent Loop BB1_1 Depth=1
                                        ; =>  This Inner Loop Header: Depth=2
	s_wait_loadcnt 0x0
	global_load_b128 v[6:9], v[14:15], off th:TH_LOAD_NT
	v_add_nc_u32_e32 v1, 1, v1
	s_mov_b32 s0, -1
	s_mov_b32 s3, -1
	s_mov_b32 s6, exec_lo
	s_wait_xcnt 0x0
	v_cmpx_eq_u32_e32 0xf4240, v1
	s_cbranch_execz .LBB1_690
; %bb.689:                              ;   in Loop: Header=BB1_688 Depth=2
	s_wait_loadcnt 0x0
	s_wait_storecnt 0x0
	global_load_b32 v1, v4, s[10:11] scope:SCOPE_SYS
	s_wait_loadcnt 0x0
	global_inv scope:SCOPE_SYS
	v_cmp_eq_u32_e32 vcc_lo, 0, v1
	v_mov_b32_e32 v1, 0
	s_or_not1_b32 s3, vcc_lo, exec_lo
.LBB1_690:                              ;   in Loop: Header=BB1_688 Depth=2
	s_wait_xcnt 0x0
	s_or_b32 exec_lo, exec_lo, s6
	s_and_saveexec_b32 s6, s3
	s_cbranch_execz .LBB1_692
; %bb.691:                              ;   in Loop: Header=BB1_688 Depth=2
	s_wait_loadcnt 0x0
	v_cmp_eq_u32_e32 vcc_lo, s12, v7
	v_cmp_eq_u32_e64 s0, s12, v9
	s_and_b32 s0, vcc_lo, s0
	s_delay_alu instid0(SALU_CYCLE_1)
	s_or_not1_b32 s0, s0, exec_lo
.LBB1_692:                              ;   in Loop: Header=BB1_688 Depth=2
	s_or_b32 exec_lo, exec_lo, s6
	s_delay_alu instid0(SALU_CYCLE_1) | instskip(NEXT) | instid1(SALU_CYCLE_1)
	s_and_b32 s0, exec_lo, s0
	s_or_b32 s1, s0, s1
	s_delay_alu instid0(SALU_CYCLE_1)
	s_and_not1_b32 exec_lo, exec_lo, s1
	s_cbranch_execnz .LBB1_688
; %bb.693:                              ;   in Loop: Header=BB1_688 Depth=2
	s_or_b32 exec_lo, exec_lo, s1
	s_wait_loadcnt 0x0
	v_dual_mov_b32 v7, v8 :: v_dual_mov_b32 v1, 0
	s_mov_b32 s1, 0
	s_delay_alu instid0(VALU_DEP_1) | instskip(SKIP_1) | instid1(SALU_CYCLE_1)
	v_cmp_eq_u64_e32 vcc_lo, s[12:13], v[6:7]
	s_or_b32 s14, vcc_lo, s14
	s_and_not1_b32 exec_lo, exec_lo, s14
	s_cbranch_execnz .LBB1_688
; %bb.694:                              ;   in Loop: Header=BB1_1 Depth=1
	s_or_b32 exec_lo, exec_lo, s14
	s_add_co_i32 s6, s2, 0x63
	s_mov_b32 s14, 0
	s_mul_hi_u32 s0, s6, 0x10624dd3
	s_mov_b32 s15, s12
	s_lshr_b32 s0, s0, 6
	s_mov_b32 s17, s5
	s_mul_i32 s3, s0, 0x3e8
	s_or_b64 s[0:1], s[14:15], s[12:13]
	s_sub_co_i32 s3, s6, s3
	v_lshl_add_u64 v[6:7], s[4:5], 4, v[12:13]
	s_lshl_b32 s16, s3, 12
	v_dual_mov_b32 v2, s0 :: v_dual_mov_b32 v3, s1
	v_add_nc_u64_e32 v[14:15], s[16:17], v[10:11]
	v_dual_mov_b32 v5, s12 :: v_dual_mov_b32 v1, 0
	s_lshl_b32 s4, s3, 8
	s_mov_b32 s7, s5
	s_mov_b32 s1, s14
	global_store_b128 v[6:7], v[2:5], off th:TH_STORE_NT
.LBB1_695:                              ;   Parent Loop BB1_1 Depth=1
                                        ; =>  This Inner Loop Header: Depth=2
	s_wait_loadcnt 0x0
	global_load_b128 v[6:9], v[14:15], off th:TH_LOAD_NT
	v_add_nc_u32_e32 v1, 1, v1
	s_mov_b32 s0, -1
	s_mov_b32 s3, -1
	s_mov_b32 s12, exec_lo
	s_wait_xcnt 0x0
	v_cmpx_eq_u32_e32 0xf4240, v1
	s_cbranch_execz .LBB1_697
; %bb.696:                              ;   in Loop: Header=BB1_695 Depth=2
	s_wait_loadcnt 0x0
	s_wait_storecnt 0x0
	global_load_b32 v1, v4, s[10:11] scope:SCOPE_SYS
	s_wait_loadcnt 0x0
	global_inv scope:SCOPE_SYS
	v_cmp_eq_u32_e32 vcc_lo, 0, v1
	v_mov_b32_e32 v1, 0
	s_or_not1_b32 s3, vcc_lo, exec_lo
.LBB1_697:                              ;   in Loop: Header=BB1_695 Depth=2
	s_wait_xcnt 0x0
	s_or_b32 exec_lo, exec_lo, s12
	s_and_saveexec_b32 s12, s3
	s_cbranch_execz .LBB1_699
; %bb.698:                              ;   in Loop: Header=BB1_695 Depth=2
	s_wait_loadcnt 0x0
	v_cmp_eq_u32_e32 vcc_lo, s6, v7
	v_cmp_eq_u32_e64 s0, s6, v9
	s_and_b32 s0, vcc_lo, s0
	s_delay_alu instid0(SALU_CYCLE_1)
	s_or_not1_b32 s0, s0, exec_lo
.LBB1_699:                              ;   in Loop: Header=BB1_695 Depth=2
	s_or_b32 exec_lo, exec_lo, s12
	s_delay_alu instid0(SALU_CYCLE_1) | instskip(NEXT) | instid1(SALU_CYCLE_1)
	s_and_b32 s0, exec_lo, s0
	s_or_b32 s1, s0, s1
	s_delay_alu instid0(SALU_CYCLE_1)
	s_and_not1_b32 exec_lo, exec_lo, s1
	s_cbranch_execnz .LBB1_695
; %bb.700:                              ;   in Loop: Header=BB1_695 Depth=2
	s_or_b32 exec_lo, exec_lo, s1
	s_wait_loadcnt 0x0
	v_dual_mov_b32 v7, v8 :: v_dual_mov_b32 v1, 0
	s_mov_b32 s1, 0
	s_delay_alu instid0(VALU_DEP_1) | instskip(SKIP_1) | instid1(SALU_CYCLE_1)
	v_cmp_eq_u64_e32 vcc_lo, s[6:7], v[6:7]
	s_or_b32 s14, vcc_lo, s14
	s_and_not1_b32 exec_lo, exec_lo, s14
	s_cbranch_execnz .LBB1_695
; %bb.701:                              ;   in Loop: Header=BB1_1 Depth=1
	s_or_b32 exec_lo, exec_lo, s14
	s_add_co_i32 s12, s2, 0x64
	s_mov_b32 s14, 0
	s_mul_hi_u32 s0, s12, 0x10624dd3
	s_mov_b32 s15, s6
	s_lshr_b32 s0, s0, 6
	s_mov_b32 s17, s5
	s_mul_i32 s3, s0, 0x3e8
	s_or_b64 s[0:1], s[14:15], s[6:7]
	s_sub_co_i32 s3, s12, s3
	v_lshl_add_u64 v[6:7], s[4:5], 4, v[12:13]
	s_lshl_b32 s16, s3, 12
	v_dual_mov_b32 v2, s0 :: v_dual_mov_b32 v3, s1
	v_add_nc_u64_e32 v[14:15], s[16:17], v[10:11]
	v_dual_mov_b32 v5, s6 :: v_dual_mov_b32 v1, 0
	s_lshl_b32 s4, s3, 8
	s_mov_b32 s13, s5
	s_mov_b32 s1, s14
	global_store_b128 v[6:7], v[2:5], off th:TH_STORE_NT
.LBB1_702:                              ;   Parent Loop BB1_1 Depth=1
                                        ; =>  This Inner Loop Header: Depth=2
	s_wait_loadcnt 0x0
	global_load_b128 v[6:9], v[14:15], off th:TH_LOAD_NT
	v_add_nc_u32_e32 v1, 1, v1
	s_mov_b32 s0, -1
	s_mov_b32 s3, -1
	s_mov_b32 s6, exec_lo
	s_wait_xcnt 0x0
	v_cmpx_eq_u32_e32 0xf4240, v1
	s_cbranch_execz .LBB1_704
; %bb.703:                              ;   in Loop: Header=BB1_702 Depth=2
	s_wait_loadcnt 0x0
	s_wait_storecnt 0x0
	global_load_b32 v1, v4, s[10:11] scope:SCOPE_SYS
	s_wait_loadcnt 0x0
	global_inv scope:SCOPE_SYS
	v_cmp_eq_u32_e32 vcc_lo, 0, v1
	v_mov_b32_e32 v1, 0
	s_or_not1_b32 s3, vcc_lo, exec_lo
.LBB1_704:                              ;   in Loop: Header=BB1_702 Depth=2
	s_wait_xcnt 0x0
	s_or_b32 exec_lo, exec_lo, s6
	s_and_saveexec_b32 s6, s3
	s_cbranch_execz .LBB1_706
; %bb.705:                              ;   in Loop: Header=BB1_702 Depth=2
	s_wait_loadcnt 0x0
	v_cmp_eq_u32_e32 vcc_lo, s12, v7
	v_cmp_eq_u32_e64 s0, s12, v9
	s_and_b32 s0, vcc_lo, s0
	s_delay_alu instid0(SALU_CYCLE_1)
	s_or_not1_b32 s0, s0, exec_lo
.LBB1_706:                              ;   in Loop: Header=BB1_702 Depth=2
	s_or_b32 exec_lo, exec_lo, s6
	s_delay_alu instid0(SALU_CYCLE_1) | instskip(NEXT) | instid1(SALU_CYCLE_1)
	s_and_b32 s0, exec_lo, s0
	s_or_b32 s1, s0, s1
	s_delay_alu instid0(SALU_CYCLE_1)
	s_and_not1_b32 exec_lo, exec_lo, s1
	s_cbranch_execnz .LBB1_702
; %bb.707:                              ;   in Loop: Header=BB1_702 Depth=2
	s_or_b32 exec_lo, exec_lo, s1
	s_wait_loadcnt 0x0
	v_dual_mov_b32 v7, v8 :: v_dual_mov_b32 v1, 0
	s_mov_b32 s1, 0
	s_delay_alu instid0(VALU_DEP_1) | instskip(SKIP_1) | instid1(SALU_CYCLE_1)
	v_cmp_eq_u64_e32 vcc_lo, s[12:13], v[6:7]
	s_or_b32 s14, vcc_lo, s14
	s_and_not1_b32 exec_lo, exec_lo, s14
	s_cbranch_execnz .LBB1_702
; %bb.708:                              ;   in Loop: Header=BB1_1 Depth=1
	s_or_b32 exec_lo, exec_lo, s14
	s_add_co_i32 s6, s2, 0x65
	s_mov_b32 s14, 0
	s_mul_hi_u32 s0, s6, 0x10624dd3
	s_mov_b32 s15, s12
	s_lshr_b32 s0, s0, 6
	s_mov_b32 s17, s5
	s_mul_i32 s3, s0, 0x3e8
	s_or_b64 s[0:1], s[14:15], s[12:13]
	s_sub_co_i32 s3, s6, s3
	v_lshl_add_u64 v[6:7], s[4:5], 4, v[12:13]
	s_lshl_b32 s16, s3, 12
	v_dual_mov_b32 v2, s0 :: v_dual_mov_b32 v3, s1
	v_add_nc_u64_e32 v[14:15], s[16:17], v[10:11]
	v_dual_mov_b32 v5, s12 :: v_dual_mov_b32 v1, 0
	s_lshl_b32 s4, s3, 8
	s_mov_b32 s7, s5
	s_mov_b32 s1, s14
	global_store_b128 v[6:7], v[2:5], off th:TH_STORE_NT
.LBB1_709:                              ;   Parent Loop BB1_1 Depth=1
                                        ; =>  This Inner Loop Header: Depth=2
	s_wait_loadcnt 0x0
	global_load_b128 v[6:9], v[14:15], off th:TH_LOAD_NT
	v_add_nc_u32_e32 v1, 1, v1
	s_mov_b32 s0, -1
	s_mov_b32 s3, -1
	s_mov_b32 s12, exec_lo
	s_wait_xcnt 0x0
	v_cmpx_eq_u32_e32 0xf4240, v1
	s_cbranch_execz .LBB1_711
; %bb.710:                              ;   in Loop: Header=BB1_709 Depth=2
	s_wait_loadcnt 0x0
	s_wait_storecnt 0x0
	global_load_b32 v1, v4, s[10:11] scope:SCOPE_SYS
	s_wait_loadcnt 0x0
	global_inv scope:SCOPE_SYS
	v_cmp_eq_u32_e32 vcc_lo, 0, v1
	v_mov_b32_e32 v1, 0
	s_or_not1_b32 s3, vcc_lo, exec_lo
.LBB1_711:                              ;   in Loop: Header=BB1_709 Depth=2
	s_wait_xcnt 0x0
	s_or_b32 exec_lo, exec_lo, s12
	s_and_saveexec_b32 s12, s3
	s_cbranch_execz .LBB1_713
; %bb.712:                              ;   in Loop: Header=BB1_709 Depth=2
	s_wait_loadcnt 0x0
	v_cmp_eq_u32_e32 vcc_lo, s6, v7
	v_cmp_eq_u32_e64 s0, s6, v9
	s_and_b32 s0, vcc_lo, s0
	s_delay_alu instid0(SALU_CYCLE_1)
	s_or_not1_b32 s0, s0, exec_lo
.LBB1_713:                              ;   in Loop: Header=BB1_709 Depth=2
	s_or_b32 exec_lo, exec_lo, s12
	s_delay_alu instid0(SALU_CYCLE_1) | instskip(NEXT) | instid1(SALU_CYCLE_1)
	s_and_b32 s0, exec_lo, s0
	s_or_b32 s1, s0, s1
	s_delay_alu instid0(SALU_CYCLE_1)
	s_and_not1_b32 exec_lo, exec_lo, s1
	s_cbranch_execnz .LBB1_709
; %bb.714:                              ;   in Loop: Header=BB1_709 Depth=2
	s_or_b32 exec_lo, exec_lo, s1
	s_wait_loadcnt 0x0
	v_dual_mov_b32 v7, v8 :: v_dual_mov_b32 v1, 0
	s_mov_b32 s1, 0
	s_delay_alu instid0(VALU_DEP_1) | instskip(SKIP_1) | instid1(SALU_CYCLE_1)
	v_cmp_eq_u64_e32 vcc_lo, s[6:7], v[6:7]
	s_or_b32 s14, vcc_lo, s14
	s_and_not1_b32 exec_lo, exec_lo, s14
	s_cbranch_execnz .LBB1_709
; %bb.715:                              ;   in Loop: Header=BB1_1 Depth=1
	s_or_b32 exec_lo, exec_lo, s14
	s_add_co_i32 s12, s2, 0x66
	s_mov_b32 s14, 0
	s_mul_hi_u32 s0, s12, 0x10624dd3
	s_mov_b32 s15, s6
	s_lshr_b32 s0, s0, 6
	s_mov_b32 s17, s5
	s_mul_i32 s3, s0, 0x3e8
	s_or_b64 s[0:1], s[14:15], s[6:7]
	s_sub_co_i32 s3, s12, s3
	v_lshl_add_u64 v[6:7], s[4:5], 4, v[12:13]
	s_lshl_b32 s16, s3, 12
	v_dual_mov_b32 v2, s0 :: v_dual_mov_b32 v3, s1
	v_add_nc_u64_e32 v[14:15], s[16:17], v[10:11]
	v_dual_mov_b32 v5, s6 :: v_dual_mov_b32 v1, 0
	s_lshl_b32 s4, s3, 8
	s_mov_b32 s13, s5
	s_mov_b32 s1, s14
	global_store_b128 v[6:7], v[2:5], off th:TH_STORE_NT
.LBB1_716:                              ;   Parent Loop BB1_1 Depth=1
                                        ; =>  This Inner Loop Header: Depth=2
	s_wait_loadcnt 0x0
	global_load_b128 v[6:9], v[14:15], off th:TH_LOAD_NT
	v_add_nc_u32_e32 v1, 1, v1
	s_mov_b32 s0, -1
	s_mov_b32 s3, -1
	s_mov_b32 s6, exec_lo
	s_wait_xcnt 0x0
	v_cmpx_eq_u32_e32 0xf4240, v1
	s_cbranch_execz .LBB1_718
; %bb.717:                              ;   in Loop: Header=BB1_716 Depth=2
	s_wait_loadcnt 0x0
	s_wait_storecnt 0x0
	global_load_b32 v1, v4, s[10:11] scope:SCOPE_SYS
	s_wait_loadcnt 0x0
	global_inv scope:SCOPE_SYS
	v_cmp_eq_u32_e32 vcc_lo, 0, v1
	v_mov_b32_e32 v1, 0
	s_or_not1_b32 s3, vcc_lo, exec_lo
.LBB1_718:                              ;   in Loop: Header=BB1_716 Depth=2
	s_wait_xcnt 0x0
	s_or_b32 exec_lo, exec_lo, s6
	s_and_saveexec_b32 s6, s3
	s_cbranch_execz .LBB1_720
; %bb.719:                              ;   in Loop: Header=BB1_716 Depth=2
	s_wait_loadcnt 0x0
	v_cmp_eq_u32_e32 vcc_lo, s12, v7
	v_cmp_eq_u32_e64 s0, s12, v9
	s_and_b32 s0, vcc_lo, s0
	s_delay_alu instid0(SALU_CYCLE_1)
	s_or_not1_b32 s0, s0, exec_lo
.LBB1_720:                              ;   in Loop: Header=BB1_716 Depth=2
	s_or_b32 exec_lo, exec_lo, s6
	s_delay_alu instid0(SALU_CYCLE_1) | instskip(NEXT) | instid1(SALU_CYCLE_1)
	s_and_b32 s0, exec_lo, s0
	s_or_b32 s1, s0, s1
	s_delay_alu instid0(SALU_CYCLE_1)
	s_and_not1_b32 exec_lo, exec_lo, s1
	s_cbranch_execnz .LBB1_716
; %bb.721:                              ;   in Loop: Header=BB1_716 Depth=2
	s_or_b32 exec_lo, exec_lo, s1
	s_wait_loadcnt 0x0
	v_dual_mov_b32 v7, v8 :: v_dual_mov_b32 v1, 0
	s_mov_b32 s1, 0
	s_delay_alu instid0(VALU_DEP_1) | instskip(SKIP_1) | instid1(SALU_CYCLE_1)
	v_cmp_eq_u64_e32 vcc_lo, s[12:13], v[6:7]
	s_or_b32 s14, vcc_lo, s14
	s_and_not1_b32 exec_lo, exec_lo, s14
	s_cbranch_execnz .LBB1_716
; %bb.722:                              ;   in Loop: Header=BB1_1 Depth=1
	s_or_b32 exec_lo, exec_lo, s14
	s_add_co_i32 s6, s2, 0x67
	s_mov_b32 s14, 0
	s_mul_hi_u32 s0, s6, 0x10624dd3
	s_mov_b32 s15, s12
	s_lshr_b32 s0, s0, 6
	s_mov_b32 s17, s5
	s_mul_i32 s3, s0, 0x3e8
	s_or_b64 s[0:1], s[14:15], s[12:13]
	s_sub_co_i32 s3, s6, s3
	v_lshl_add_u64 v[6:7], s[4:5], 4, v[12:13]
	s_lshl_b32 s16, s3, 12
	v_dual_mov_b32 v2, s0 :: v_dual_mov_b32 v3, s1
	v_add_nc_u64_e32 v[14:15], s[16:17], v[10:11]
	v_dual_mov_b32 v5, s12 :: v_dual_mov_b32 v1, 0
	s_lshl_b32 s4, s3, 8
	s_mov_b32 s7, s5
	s_mov_b32 s1, s14
	global_store_b128 v[6:7], v[2:5], off th:TH_STORE_NT
.LBB1_723:                              ;   Parent Loop BB1_1 Depth=1
                                        ; =>  This Inner Loop Header: Depth=2
	s_wait_loadcnt 0x0
	global_load_b128 v[6:9], v[14:15], off th:TH_LOAD_NT
	v_add_nc_u32_e32 v1, 1, v1
	s_mov_b32 s0, -1
	s_mov_b32 s3, -1
	s_mov_b32 s12, exec_lo
	s_wait_xcnt 0x0
	v_cmpx_eq_u32_e32 0xf4240, v1
	s_cbranch_execz .LBB1_725
; %bb.724:                              ;   in Loop: Header=BB1_723 Depth=2
	s_wait_loadcnt 0x0
	s_wait_storecnt 0x0
	global_load_b32 v1, v4, s[10:11] scope:SCOPE_SYS
	s_wait_loadcnt 0x0
	global_inv scope:SCOPE_SYS
	v_cmp_eq_u32_e32 vcc_lo, 0, v1
	v_mov_b32_e32 v1, 0
	s_or_not1_b32 s3, vcc_lo, exec_lo
.LBB1_725:                              ;   in Loop: Header=BB1_723 Depth=2
	s_wait_xcnt 0x0
	s_or_b32 exec_lo, exec_lo, s12
	s_and_saveexec_b32 s12, s3
	s_cbranch_execz .LBB1_727
; %bb.726:                              ;   in Loop: Header=BB1_723 Depth=2
	s_wait_loadcnt 0x0
	v_cmp_eq_u32_e32 vcc_lo, s6, v7
	v_cmp_eq_u32_e64 s0, s6, v9
	s_and_b32 s0, vcc_lo, s0
	s_delay_alu instid0(SALU_CYCLE_1)
	s_or_not1_b32 s0, s0, exec_lo
.LBB1_727:                              ;   in Loop: Header=BB1_723 Depth=2
	s_or_b32 exec_lo, exec_lo, s12
	s_delay_alu instid0(SALU_CYCLE_1) | instskip(NEXT) | instid1(SALU_CYCLE_1)
	s_and_b32 s0, exec_lo, s0
	s_or_b32 s1, s0, s1
	s_delay_alu instid0(SALU_CYCLE_1)
	s_and_not1_b32 exec_lo, exec_lo, s1
	s_cbranch_execnz .LBB1_723
; %bb.728:                              ;   in Loop: Header=BB1_723 Depth=2
	s_or_b32 exec_lo, exec_lo, s1
	s_wait_loadcnt 0x0
	v_dual_mov_b32 v7, v8 :: v_dual_mov_b32 v1, 0
	s_mov_b32 s1, 0
	s_delay_alu instid0(VALU_DEP_1) | instskip(SKIP_1) | instid1(SALU_CYCLE_1)
	v_cmp_eq_u64_e32 vcc_lo, s[6:7], v[6:7]
	s_or_b32 s14, vcc_lo, s14
	s_and_not1_b32 exec_lo, exec_lo, s14
	s_cbranch_execnz .LBB1_723
; %bb.729:                              ;   in Loop: Header=BB1_1 Depth=1
	s_or_b32 exec_lo, exec_lo, s14
	s_add_co_i32 s12, s2, 0x68
	s_mov_b32 s14, 0
	s_mul_hi_u32 s0, s12, 0x10624dd3
	s_mov_b32 s15, s6
	s_lshr_b32 s0, s0, 6
	s_mov_b32 s17, s5
	s_mul_i32 s3, s0, 0x3e8
	s_or_b64 s[0:1], s[14:15], s[6:7]
	s_sub_co_i32 s3, s12, s3
	v_lshl_add_u64 v[6:7], s[4:5], 4, v[12:13]
	s_lshl_b32 s16, s3, 12
	v_dual_mov_b32 v2, s0 :: v_dual_mov_b32 v3, s1
	v_add_nc_u64_e32 v[14:15], s[16:17], v[10:11]
	v_dual_mov_b32 v5, s6 :: v_dual_mov_b32 v1, 0
	s_lshl_b32 s4, s3, 8
	s_mov_b32 s13, s5
	s_mov_b32 s1, s14
	global_store_b128 v[6:7], v[2:5], off th:TH_STORE_NT
.LBB1_730:                              ;   Parent Loop BB1_1 Depth=1
                                        ; =>  This Inner Loop Header: Depth=2
	s_wait_loadcnt 0x0
	global_load_b128 v[6:9], v[14:15], off th:TH_LOAD_NT
	v_add_nc_u32_e32 v1, 1, v1
	s_mov_b32 s0, -1
	s_mov_b32 s3, -1
	s_mov_b32 s6, exec_lo
	s_wait_xcnt 0x0
	v_cmpx_eq_u32_e32 0xf4240, v1
	s_cbranch_execz .LBB1_732
; %bb.731:                              ;   in Loop: Header=BB1_730 Depth=2
	s_wait_loadcnt 0x0
	s_wait_storecnt 0x0
	global_load_b32 v1, v4, s[10:11] scope:SCOPE_SYS
	s_wait_loadcnt 0x0
	global_inv scope:SCOPE_SYS
	v_cmp_eq_u32_e32 vcc_lo, 0, v1
	v_mov_b32_e32 v1, 0
	s_or_not1_b32 s3, vcc_lo, exec_lo
.LBB1_732:                              ;   in Loop: Header=BB1_730 Depth=2
	s_wait_xcnt 0x0
	s_or_b32 exec_lo, exec_lo, s6
	s_and_saveexec_b32 s6, s3
	s_cbranch_execz .LBB1_734
; %bb.733:                              ;   in Loop: Header=BB1_730 Depth=2
	s_wait_loadcnt 0x0
	v_cmp_eq_u32_e32 vcc_lo, s12, v7
	v_cmp_eq_u32_e64 s0, s12, v9
	s_and_b32 s0, vcc_lo, s0
	s_delay_alu instid0(SALU_CYCLE_1)
	s_or_not1_b32 s0, s0, exec_lo
.LBB1_734:                              ;   in Loop: Header=BB1_730 Depth=2
	s_or_b32 exec_lo, exec_lo, s6
	s_delay_alu instid0(SALU_CYCLE_1) | instskip(NEXT) | instid1(SALU_CYCLE_1)
	s_and_b32 s0, exec_lo, s0
	s_or_b32 s1, s0, s1
	s_delay_alu instid0(SALU_CYCLE_1)
	s_and_not1_b32 exec_lo, exec_lo, s1
	s_cbranch_execnz .LBB1_730
; %bb.735:                              ;   in Loop: Header=BB1_730 Depth=2
	s_or_b32 exec_lo, exec_lo, s1
	s_wait_loadcnt 0x0
	v_dual_mov_b32 v7, v8 :: v_dual_mov_b32 v1, 0
	s_mov_b32 s1, 0
	s_delay_alu instid0(VALU_DEP_1) | instskip(SKIP_1) | instid1(SALU_CYCLE_1)
	v_cmp_eq_u64_e32 vcc_lo, s[12:13], v[6:7]
	s_or_b32 s14, vcc_lo, s14
	s_and_not1_b32 exec_lo, exec_lo, s14
	s_cbranch_execnz .LBB1_730
; %bb.736:                              ;   in Loop: Header=BB1_1 Depth=1
	s_or_b32 exec_lo, exec_lo, s14
	s_add_co_i32 s6, s2, 0x69
	s_mov_b32 s14, 0
	s_mul_hi_u32 s0, s6, 0x10624dd3
	s_mov_b32 s15, s12
	s_lshr_b32 s0, s0, 6
	s_mov_b32 s17, s5
	s_mul_i32 s3, s0, 0x3e8
	s_or_b64 s[0:1], s[14:15], s[12:13]
	s_sub_co_i32 s3, s6, s3
	v_lshl_add_u64 v[6:7], s[4:5], 4, v[12:13]
	s_lshl_b32 s16, s3, 12
	v_dual_mov_b32 v2, s0 :: v_dual_mov_b32 v3, s1
	v_add_nc_u64_e32 v[14:15], s[16:17], v[10:11]
	v_dual_mov_b32 v5, s12 :: v_dual_mov_b32 v1, 0
	s_lshl_b32 s4, s3, 8
	s_mov_b32 s7, s5
	s_mov_b32 s1, s14
	global_store_b128 v[6:7], v[2:5], off th:TH_STORE_NT
.LBB1_737:                              ;   Parent Loop BB1_1 Depth=1
                                        ; =>  This Inner Loop Header: Depth=2
	s_wait_loadcnt 0x0
	global_load_b128 v[6:9], v[14:15], off th:TH_LOAD_NT
	v_add_nc_u32_e32 v1, 1, v1
	s_mov_b32 s0, -1
	s_mov_b32 s3, -1
	s_mov_b32 s12, exec_lo
	s_wait_xcnt 0x0
	v_cmpx_eq_u32_e32 0xf4240, v1
	s_cbranch_execz .LBB1_739
; %bb.738:                              ;   in Loop: Header=BB1_737 Depth=2
	s_wait_loadcnt 0x0
	s_wait_storecnt 0x0
	global_load_b32 v1, v4, s[10:11] scope:SCOPE_SYS
	s_wait_loadcnt 0x0
	global_inv scope:SCOPE_SYS
	v_cmp_eq_u32_e32 vcc_lo, 0, v1
	v_mov_b32_e32 v1, 0
	s_or_not1_b32 s3, vcc_lo, exec_lo
.LBB1_739:                              ;   in Loop: Header=BB1_737 Depth=2
	s_wait_xcnt 0x0
	s_or_b32 exec_lo, exec_lo, s12
	s_and_saveexec_b32 s12, s3
	s_cbranch_execz .LBB1_741
; %bb.740:                              ;   in Loop: Header=BB1_737 Depth=2
	s_wait_loadcnt 0x0
	v_cmp_eq_u32_e32 vcc_lo, s6, v7
	v_cmp_eq_u32_e64 s0, s6, v9
	s_and_b32 s0, vcc_lo, s0
	s_delay_alu instid0(SALU_CYCLE_1)
	s_or_not1_b32 s0, s0, exec_lo
.LBB1_741:                              ;   in Loop: Header=BB1_737 Depth=2
	s_or_b32 exec_lo, exec_lo, s12
	s_delay_alu instid0(SALU_CYCLE_1) | instskip(NEXT) | instid1(SALU_CYCLE_1)
	s_and_b32 s0, exec_lo, s0
	s_or_b32 s1, s0, s1
	s_delay_alu instid0(SALU_CYCLE_1)
	s_and_not1_b32 exec_lo, exec_lo, s1
	s_cbranch_execnz .LBB1_737
; %bb.742:                              ;   in Loop: Header=BB1_737 Depth=2
	s_or_b32 exec_lo, exec_lo, s1
	s_wait_loadcnt 0x0
	v_dual_mov_b32 v7, v8 :: v_dual_mov_b32 v1, 0
	s_mov_b32 s1, 0
	s_delay_alu instid0(VALU_DEP_1) | instskip(SKIP_1) | instid1(SALU_CYCLE_1)
	v_cmp_eq_u64_e32 vcc_lo, s[6:7], v[6:7]
	s_or_b32 s14, vcc_lo, s14
	s_and_not1_b32 exec_lo, exec_lo, s14
	s_cbranch_execnz .LBB1_737
; %bb.743:                              ;   in Loop: Header=BB1_1 Depth=1
	s_or_b32 exec_lo, exec_lo, s14
	s_add_co_i32 s12, s2, 0x6a
	s_mov_b32 s14, 0
	s_mul_hi_u32 s0, s12, 0x10624dd3
	s_mov_b32 s15, s6
	s_lshr_b32 s0, s0, 6
	s_mov_b32 s17, s5
	s_mul_i32 s3, s0, 0x3e8
	s_or_b64 s[0:1], s[14:15], s[6:7]
	s_sub_co_i32 s3, s12, s3
	v_lshl_add_u64 v[6:7], s[4:5], 4, v[12:13]
	s_lshl_b32 s16, s3, 12
	v_dual_mov_b32 v2, s0 :: v_dual_mov_b32 v3, s1
	v_add_nc_u64_e32 v[14:15], s[16:17], v[10:11]
	v_dual_mov_b32 v5, s6 :: v_dual_mov_b32 v1, 0
	s_lshl_b32 s4, s3, 8
	s_mov_b32 s13, s5
	s_mov_b32 s1, s14
	global_store_b128 v[6:7], v[2:5], off th:TH_STORE_NT
.LBB1_744:                              ;   Parent Loop BB1_1 Depth=1
                                        ; =>  This Inner Loop Header: Depth=2
	s_wait_loadcnt 0x0
	global_load_b128 v[6:9], v[14:15], off th:TH_LOAD_NT
	v_add_nc_u32_e32 v1, 1, v1
	s_mov_b32 s0, -1
	s_mov_b32 s3, -1
	s_mov_b32 s6, exec_lo
	s_wait_xcnt 0x0
	v_cmpx_eq_u32_e32 0xf4240, v1
	s_cbranch_execz .LBB1_746
; %bb.745:                              ;   in Loop: Header=BB1_744 Depth=2
	s_wait_loadcnt 0x0
	s_wait_storecnt 0x0
	global_load_b32 v1, v4, s[10:11] scope:SCOPE_SYS
	s_wait_loadcnt 0x0
	global_inv scope:SCOPE_SYS
	v_cmp_eq_u32_e32 vcc_lo, 0, v1
	v_mov_b32_e32 v1, 0
	s_or_not1_b32 s3, vcc_lo, exec_lo
.LBB1_746:                              ;   in Loop: Header=BB1_744 Depth=2
	s_wait_xcnt 0x0
	s_or_b32 exec_lo, exec_lo, s6
	s_and_saveexec_b32 s6, s3
	s_cbranch_execz .LBB1_748
; %bb.747:                              ;   in Loop: Header=BB1_744 Depth=2
	s_wait_loadcnt 0x0
	v_cmp_eq_u32_e32 vcc_lo, s12, v7
	v_cmp_eq_u32_e64 s0, s12, v9
	s_and_b32 s0, vcc_lo, s0
	s_delay_alu instid0(SALU_CYCLE_1)
	s_or_not1_b32 s0, s0, exec_lo
.LBB1_748:                              ;   in Loop: Header=BB1_744 Depth=2
	s_or_b32 exec_lo, exec_lo, s6
	s_delay_alu instid0(SALU_CYCLE_1) | instskip(NEXT) | instid1(SALU_CYCLE_1)
	s_and_b32 s0, exec_lo, s0
	s_or_b32 s1, s0, s1
	s_delay_alu instid0(SALU_CYCLE_1)
	s_and_not1_b32 exec_lo, exec_lo, s1
	s_cbranch_execnz .LBB1_744
; %bb.749:                              ;   in Loop: Header=BB1_744 Depth=2
	s_or_b32 exec_lo, exec_lo, s1
	s_wait_loadcnt 0x0
	v_dual_mov_b32 v7, v8 :: v_dual_mov_b32 v1, 0
	s_mov_b32 s1, 0
	s_delay_alu instid0(VALU_DEP_1) | instskip(SKIP_1) | instid1(SALU_CYCLE_1)
	v_cmp_eq_u64_e32 vcc_lo, s[12:13], v[6:7]
	s_or_b32 s14, vcc_lo, s14
	s_and_not1_b32 exec_lo, exec_lo, s14
	s_cbranch_execnz .LBB1_744
; %bb.750:                              ;   in Loop: Header=BB1_1 Depth=1
	s_or_b32 exec_lo, exec_lo, s14
	s_add_co_i32 s6, s2, 0x6b
	s_mov_b32 s14, 0
	s_mul_hi_u32 s0, s6, 0x10624dd3
	s_mov_b32 s15, s12
	s_lshr_b32 s0, s0, 6
	s_mov_b32 s17, s5
	s_mul_i32 s3, s0, 0x3e8
	s_or_b64 s[0:1], s[14:15], s[12:13]
	s_sub_co_i32 s3, s6, s3
	v_lshl_add_u64 v[6:7], s[4:5], 4, v[12:13]
	s_lshl_b32 s16, s3, 12
	v_dual_mov_b32 v2, s0 :: v_dual_mov_b32 v3, s1
	v_add_nc_u64_e32 v[14:15], s[16:17], v[10:11]
	v_dual_mov_b32 v5, s12 :: v_dual_mov_b32 v1, 0
	s_lshl_b32 s4, s3, 8
	s_mov_b32 s7, s5
	s_mov_b32 s1, s14
	global_store_b128 v[6:7], v[2:5], off th:TH_STORE_NT
.LBB1_751:                              ;   Parent Loop BB1_1 Depth=1
                                        ; =>  This Inner Loop Header: Depth=2
	s_wait_loadcnt 0x0
	global_load_b128 v[6:9], v[14:15], off th:TH_LOAD_NT
	v_add_nc_u32_e32 v1, 1, v1
	s_mov_b32 s0, -1
	s_mov_b32 s3, -1
	s_mov_b32 s12, exec_lo
	s_wait_xcnt 0x0
	v_cmpx_eq_u32_e32 0xf4240, v1
	s_cbranch_execz .LBB1_753
; %bb.752:                              ;   in Loop: Header=BB1_751 Depth=2
	s_wait_loadcnt 0x0
	s_wait_storecnt 0x0
	global_load_b32 v1, v4, s[10:11] scope:SCOPE_SYS
	s_wait_loadcnt 0x0
	global_inv scope:SCOPE_SYS
	v_cmp_eq_u32_e32 vcc_lo, 0, v1
	v_mov_b32_e32 v1, 0
	s_or_not1_b32 s3, vcc_lo, exec_lo
.LBB1_753:                              ;   in Loop: Header=BB1_751 Depth=2
	s_wait_xcnt 0x0
	s_or_b32 exec_lo, exec_lo, s12
	s_and_saveexec_b32 s12, s3
	s_cbranch_execz .LBB1_755
; %bb.754:                              ;   in Loop: Header=BB1_751 Depth=2
	s_wait_loadcnt 0x0
	v_cmp_eq_u32_e32 vcc_lo, s6, v7
	v_cmp_eq_u32_e64 s0, s6, v9
	s_and_b32 s0, vcc_lo, s0
	s_delay_alu instid0(SALU_CYCLE_1)
	s_or_not1_b32 s0, s0, exec_lo
.LBB1_755:                              ;   in Loop: Header=BB1_751 Depth=2
	s_or_b32 exec_lo, exec_lo, s12
	s_delay_alu instid0(SALU_CYCLE_1) | instskip(NEXT) | instid1(SALU_CYCLE_1)
	s_and_b32 s0, exec_lo, s0
	s_or_b32 s1, s0, s1
	s_delay_alu instid0(SALU_CYCLE_1)
	s_and_not1_b32 exec_lo, exec_lo, s1
	s_cbranch_execnz .LBB1_751
; %bb.756:                              ;   in Loop: Header=BB1_751 Depth=2
	s_or_b32 exec_lo, exec_lo, s1
	s_wait_loadcnt 0x0
	v_dual_mov_b32 v7, v8 :: v_dual_mov_b32 v1, 0
	s_mov_b32 s1, 0
	s_delay_alu instid0(VALU_DEP_1) | instskip(SKIP_1) | instid1(SALU_CYCLE_1)
	v_cmp_eq_u64_e32 vcc_lo, s[6:7], v[6:7]
	s_or_b32 s14, vcc_lo, s14
	s_and_not1_b32 exec_lo, exec_lo, s14
	s_cbranch_execnz .LBB1_751
; %bb.757:                              ;   in Loop: Header=BB1_1 Depth=1
	s_or_b32 exec_lo, exec_lo, s14
	s_add_co_i32 s12, s2, 0x6c
	s_mov_b32 s14, 0
	s_mul_hi_u32 s0, s12, 0x10624dd3
	s_mov_b32 s15, s6
	s_lshr_b32 s0, s0, 6
	s_mov_b32 s17, s5
	s_mul_i32 s3, s0, 0x3e8
	s_or_b64 s[0:1], s[14:15], s[6:7]
	s_sub_co_i32 s3, s12, s3
	v_lshl_add_u64 v[6:7], s[4:5], 4, v[12:13]
	s_lshl_b32 s16, s3, 12
	v_dual_mov_b32 v2, s0 :: v_dual_mov_b32 v3, s1
	v_add_nc_u64_e32 v[14:15], s[16:17], v[10:11]
	v_dual_mov_b32 v5, s6 :: v_dual_mov_b32 v1, 0
	s_lshl_b32 s4, s3, 8
	s_mov_b32 s13, s5
	s_mov_b32 s1, s14
	global_store_b128 v[6:7], v[2:5], off th:TH_STORE_NT
.LBB1_758:                              ;   Parent Loop BB1_1 Depth=1
                                        ; =>  This Inner Loop Header: Depth=2
	s_wait_loadcnt 0x0
	global_load_b128 v[6:9], v[14:15], off th:TH_LOAD_NT
	v_add_nc_u32_e32 v1, 1, v1
	s_mov_b32 s0, -1
	s_mov_b32 s3, -1
	s_mov_b32 s6, exec_lo
	s_wait_xcnt 0x0
	v_cmpx_eq_u32_e32 0xf4240, v1
	s_cbranch_execz .LBB1_760
; %bb.759:                              ;   in Loop: Header=BB1_758 Depth=2
	s_wait_loadcnt 0x0
	s_wait_storecnt 0x0
	global_load_b32 v1, v4, s[10:11] scope:SCOPE_SYS
	s_wait_loadcnt 0x0
	global_inv scope:SCOPE_SYS
	v_cmp_eq_u32_e32 vcc_lo, 0, v1
	v_mov_b32_e32 v1, 0
	s_or_not1_b32 s3, vcc_lo, exec_lo
.LBB1_760:                              ;   in Loop: Header=BB1_758 Depth=2
	s_wait_xcnt 0x0
	s_or_b32 exec_lo, exec_lo, s6
	s_and_saveexec_b32 s6, s3
	s_cbranch_execz .LBB1_762
; %bb.761:                              ;   in Loop: Header=BB1_758 Depth=2
	s_wait_loadcnt 0x0
	v_cmp_eq_u32_e32 vcc_lo, s12, v7
	v_cmp_eq_u32_e64 s0, s12, v9
	s_and_b32 s0, vcc_lo, s0
	s_delay_alu instid0(SALU_CYCLE_1)
	s_or_not1_b32 s0, s0, exec_lo
.LBB1_762:                              ;   in Loop: Header=BB1_758 Depth=2
	s_or_b32 exec_lo, exec_lo, s6
	s_delay_alu instid0(SALU_CYCLE_1) | instskip(NEXT) | instid1(SALU_CYCLE_1)
	s_and_b32 s0, exec_lo, s0
	s_or_b32 s1, s0, s1
	s_delay_alu instid0(SALU_CYCLE_1)
	s_and_not1_b32 exec_lo, exec_lo, s1
	s_cbranch_execnz .LBB1_758
; %bb.763:                              ;   in Loop: Header=BB1_758 Depth=2
	s_or_b32 exec_lo, exec_lo, s1
	s_wait_loadcnt 0x0
	v_dual_mov_b32 v7, v8 :: v_dual_mov_b32 v1, 0
	s_mov_b32 s1, 0
	s_delay_alu instid0(VALU_DEP_1) | instskip(SKIP_1) | instid1(SALU_CYCLE_1)
	v_cmp_eq_u64_e32 vcc_lo, s[12:13], v[6:7]
	s_or_b32 s14, vcc_lo, s14
	s_and_not1_b32 exec_lo, exec_lo, s14
	s_cbranch_execnz .LBB1_758
; %bb.764:                              ;   in Loop: Header=BB1_1 Depth=1
	s_or_b32 exec_lo, exec_lo, s14
	s_add_co_i32 s6, s2, 0x6d
	s_mov_b32 s14, 0
	s_mul_hi_u32 s0, s6, 0x10624dd3
	s_mov_b32 s15, s12
	s_lshr_b32 s0, s0, 6
	s_mov_b32 s17, s5
	s_mul_i32 s3, s0, 0x3e8
	s_or_b64 s[0:1], s[14:15], s[12:13]
	s_sub_co_i32 s3, s6, s3
	v_lshl_add_u64 v[6:7], s[4:5], 4, v[12:13]
	s_lshl_b32 s16, s3, 12
	v_dual_mov_b32 v2, s0 :: v_dual_mov_b32 v3, s1
	v_add_nc_u64_e32 v[14:15], s[16:17], v[10:11]
	v_dual_mov_b32 v5, s12 :: v_dual_mov_b32 v1, 0
	s_lshl_b32 s4, s3, 8
	s_mov_b32 s7, s5
	s_mov_b32 s1, s14
	global_store_b128 v[6:7], v[2:5], off th:TH_STORE_NT
.LBB1_765:                              ;   Parent Loop BB1_1 Depth=1
                                        ; =>  This Inner Loop Header: Depth=2
	s_wait_loadcnt 0x0
	global_load_b128 v[6:9], v[14:15], off th:TH_LOAD_NT
	v_add_nc_u32_e32 v1, 1, v1
	s_mov_b32 s0, -1
	s_mov_b32 s3, -1
	s_mov_b32 s12, exec_lo
	s_wait_xcnt 0x0
	v_cmpx_eq_u32_e32 0xf4240, v1
	s_cbranch_execz .LBB1_767
; %bb.766:                              ;   in Loop: Header=BB1_765 Depth=2
	s_wait_loadcnt 0x0
	s_wait_storecnt 0x0
	global_load_b32 v1, v4, s[10:11] scope:SCOPE_SYS
	s_wait_loadcnt 0x0
	global_inv scope:SCOPE_SYS
	v_cmp_eq_u32_e32 vcc_lo, 0, v1
	v_mov_b32_e32 v1, 0
	s_or_not1_b32 s3, vcc_lo, exec_lo
.LBB1_767:                              ;   in Loop: Header=BB1_765 Depth=2
	s_wait_xcnt 0x0
	s_or_b32 exec_lo, exec_lo, s12
	s_and_saveexec_b32 s12, s3
	s_cbranch_execz .LBB1_769
; %bb.768:                              ;   in Loop: Header=BB1_765 Depth=2
	s_wait_loadcnt 0x0
	v_cmp_eq_u32_e32 vcc_lo, s6, v7
	v_cmp_eq_u32_e64 s0, s6, v9
	s_and_b32 s0, vcc_lo, s0
	s_delay_alu instid0(SALU_CYCLE_1)
	s_or_not1_b32 s0, s0, exec_lo
.LBB1_769:                              ;   in Loop: Header=BB1_765 Depth=2
	s_or_b32 exec_lo, exec_lo, s12
	s_delay_alu instid0(SALU_CYCLE_1) | instskip(NEXT) | instid1(SALU_CYCLE_1)
	s_and_b32 s0, exec_lo, s0
	s_or_b32 s1, s0, s1
	s_delay_alu instid0(SALU_CYCLE_1)
	s_and_not1_b32 exec_lo, exec_lo, s1
	s_cbranch_execnz .LBB1_765
; %bb.770:                              ;   in Loop: Header=BB1_765 Depth=2
	s_or_b32 exec_lo, exec_lo, s1
	s_wait_loadcnt 0x0
	v_dual_mov_b32 v7, v8 :: v_dual_mov_b32 v1, 0
	s_mov_b32 s1, 0
	s_delay_alu instid0(VALU_DEP_1) | instskip(SKIP_1) | instid1(SALU_CYCLE_1)
	v_cmp_eq_u64_e32 vcc_lo, s[6:7], v[6:7]
	s_or_b32 s14, vcc_lo, s14
	s_and_not1_b32 exec_lo, exec_lo, s14
	s_cbranch_execnz .LBB1_765
; %bb.771:                              ;   in Loop: Header=BB1_1 Depth=1
	s_or_b32 exec_lo, exec_lo, s14
	s_add_co_i32 s12, s2, 0x6e
	s_mov_b32 s14, 0
	s_mul_hi_u32 s0, s12, 0x10624dd3
	s_mov_b32 s15, s6
	s_lshr_b32 s0, s0, 6
	s_mov_b32 s17, s5
	s_mul_i32 s3, s0, 0x3e8
	s_or_b64 s[0:1], s[14:15], s[6:7]
	s_sub_co_i32 s3, s12, s3
	v_lshl_add_u64 v[6:7], s[4:5], 4, v[12:13]
	s_lshl_b32 s16, s3, 12
	v_dual_mov_b32 v2, s0 :: v_dual_mov_b32 v3, s1
	v_add_nc_u64_e32 v[14:15], s[16:17], v[10:11]
	v_dual_mov_b32 v5, s6 :: v_dual_mov_b32 v1, 0
	s_lshl_b32 s4, s3, 8
	s_mov_b32 s13, s5
	s_mov_b32 s1, s14
	global_store_b128 v[6:7], v[2:5], off th:TH_STORE_NT
.LBB1_772:                              ;   Parent Loop BB1_1 Depth=1
                                        ; =>  This Inner Loop Header: Depth=2
	s_wait_loadcnt 0x0
	global_load_b128 v[6:9], v[14:15], off th:TH_LOAD_NT
	v_add_nc_u32_e32 v1, 1, v1
	s_mov_b32 s0, -1
	s_mov_b32 s3, -1
	s_mov_b32 s6, exec_lo
	s_wait_xcnt 0x0
	v_cmpx_eq_u32_e32 0xf4240, v1
	s_cbranch_execz .LBB1_774
; %bb.773:                              ;   in Loop: Header=BB1_772 Depth=2
	s_wait_loadcnt 0x0
	s_wait_storecnt 0x0
	global_load_b32 v1, v4, s[10:11] scope:SCOPE_SYS
	s_wait_loadcnt 0x0
	global_inv scope:SCOPE_SYS
	v_cmp_eq_u32_e32 vcc_lo, 0, v1
	v_mov_b32_e32 v1, 0
	s_or_not1_b32 s3, vcc_lo, exec_lo
.LBB1_774:                              ;   in Loop: Header=BB1_772 Depth=2
	s_wait_xcnt 0x0
	s_or_b32 exec_lo, exec_lo, s6
	s_and_saveexec_b32 s6, s3
	s_cbranch_execz .LBB1_776
; %bb.775:                              ;   in Loop: Header=BB1_772 Depth=2
	s_wait_loadcnt 0x0
	v_cmp_eq_u32_e32 vcc_lo, s12, v7
	v_cmp_eq_u32_e64 s0, s12, v9
	s_and_b32 s0, vcc_lo, s0
	s_delay_alu instid0(SALU_CYCLE_1)
	s_or_not1_b32 s0, s0, exec_lo
.LBB1_776:                              ;   in Loop: Header=BB1_772 Depth=2
	s_or_b32 exec_lo, exec_lo, s6
	s_delay_alu instid0(SALU_CYCLE_1) | instskip(NEXT) | instid1(SALU_CYCLE_1)
	s_and_b32 s0, exec_lo, s0
	s_or_b32 s1, s0, s1
	s_delay_alu instid0(SALU_CYCLE_1)
	s_and_not1_b32 exec_lo, exec_lo, s1
	s_cbranch_execnz .LBB1_772
; %bb.777:                              ;   in Loop: Header=BB1_772 Depth=2
	s_or_b32 exec_lo, exec_lo, s1
	s_wait_loadcnt 0x0
	v_dual_mov_b32 v7, v8 :: v_dual_mov_b32 v1, 0
	s_mov_b32 s1, 0
	s_delay_alu instid0(VALU_DEP_1) | instskip(SKIP_1) | instid1(SALU_CYCLE_1)
	v_cmp_eq_u64_e32 vcc_lo, s[12:13], v[6:7]
	s_or_b32 s14, vcc_lo, s14
	s_and_not1_b32 exec_lo, exec_lo, s14
	s_cbranch_execnz .LBB1_772
; %bb.778:                              ;   in Loop: Header=BB1_1 Depth=1
	s_or_b32 exec_lo, exec_lo, s14
	s_add_co_i32 s6, s2, 0x6f
	s_mov_b32 s14, 0
	s_mul_hi_u32 s0, s6, 0x10624dd3
	s_mov_b32 s15, s12
	s_lshr_b32 s0, s0, 6
	s_mov_b32 s17, s5
	s_mul_i32 s3, s0, 0x3e8
	s_or_b64 s[0:1], s[14:15], s[12:13]
	s_sub_co_i32 s3, s6, s3
	v_lshl_add_u64 v[6:7], s[4:5], 4, v[12:13]
	s_lshl_b32 s16, s3, 12
	v_dual_mov_b32 v2, s0 :: v_dual_mov_b32 v3, s1
	v_add_nc_u64_e32 v[14:15], s[16:17], v[10:11]
	v_dual_mov_b32 v5, s12 :: v_dual_mov_b32 v1, 0
	s_lshl_b32 s4, s3, 8
	s_mov_b32 s7, s5
	s_mov_b32 s1, s14
	global_store_b128 v[6:7], v[2:5], off th:TH_STORE_NT
.LBB1_779:                              ;   Parent Loop BB1_1 Depth=1
                                        ; =>  This Inner Loop Header: Depth=2
	s_wait_loadcnt 0x0
	global_load_b128 v[6:9], v[14:15], off th:TH_LOAD_NT
	v_add_nc_u32_e32 v1, 1, v1
	s_mov_b32 s0, -1
	s_mov_b32 s3, -1
	s_mov_b32 s12, exec_lo
	s_wait_xcnt 0x0
	v_cmpx_eq_u32_e32 0xf4240, v1
	s_cbranch_execz .LBB1_781
; %bb.780:                              ;   in Loop: Header=BB1_779 Depth=2
	s_wait_loadcnt 0x0
	s_wait_storecnt 0x0
	global_load_b32 v1, v4, s[10:11] scope:SCOPE_SYS
	s_wait_loadcnt 0x0
	global_inv scope:SCOPE_SYS
	v_cmp_eq_u32_e32 vcc_lo, 0, v1
	v_mov_b32_e32 v1, 0
	s_or_not1_b32 s3, vcc_lo, exec_lo
.LBB1_781:                              ;   in Loop: Header=BB1_779 Depth=2
	s_wait_xcnt 0x0
	s_or_b32 exec_lo, exec_lo, s12
	s_and_saveexec_b32 s12, s3
	s_cbranch_execz .LBB1_783
; %bb.782:                              ;   in Loop: Header=BB1_779 Depth=2
	s_wait_loadcnt 0x0
	v_cmp_eq_u32_e32 vcc_lo, s6, v7
	v_cmp_eq_u32_e64 s0, s6, v9
	s_and_b32 s0, vcc_lo, s0
	s_delay_alu instid0(SALU_CYCLE_1)
	s_or_not1_b32 s0, s0, exec_lo
.LBB1_783:                              ;   in Loop: Header=BB1_779 Depth=2
	s_or_b32 exec_lo, exec_lo, s12
	s_delay_alu instid0(SALU_CYCLE_1) | instskip(NEXT) | instid1(SALU_CYCLE_1)
	s_and_b32 s0, exec_lo, s0
	s_or_b32 s1, s0, s1
	s_delay_alu instid0(SALU_CYCLE_1)
	s_and_not1_b32 exec_lo, exec_lo, s1
	s_cbranch_execnz .LBB1_779
; %bb.784:                              ;   in Loop: Header=BB1_779 Depth=2
	s_or_b32 exec_lo, exec_lo, s1
	s_wait_loadcnt 0x0
	v_dual_mov_b32 v7, v8 :: v_dual_mov_b32 v1, 0
	s_mov_b32 s1, 0
	s_delay_alu instid0(VALU_DEP_1) | instskip(SKIP_1) | instid1(SALU_CYCLE_1)
	v_cmp_eq_u64_e32 vcc_lo, s[6:7], v[6:7]
	s_or_b32 s14, vcc_lo, s14
	s_and_not1_b32 exec_lo, exec_lo, s14
	s_cbranch_execnz .LBB1_779
; %bb.785:                              ;   in Loop: Header=BB1_1 Depth=1
	s_or_b32 exec_lo, exec_lo, s14
	s_add_co_i32 s12, s2, 0x70
	s_mov_b32 s14, 0
	s_mul_hi_u32 s0, s12, 0x10624dd3
	s_mov_b32 s15, s6
	s_lshr_b32 s0, s0, 6
	s_mov_b32 s17, s5
	s_mul_i32 s3, s0, 0x3e8
	s_or_b64 s[0:1], s[14:15], s[6:7]
	s_sub_co_i32 s3, s12, s3
	v_lshl_add_u64 v[6:7], s[4:5], 4, v[12:13]
	s_lshl_b32 s16, s3, 12
	v_dual_mov_b32 v2, s0 :: v_dual_mov_b32 v3, s1
	v_add_nc_u64_e32 v[14:15], s[16:17], v[10:11]
	v_dual_mov_b32 v5, s6 :: v_dual_mov_b32 v1, 0
	s_lshl_b32 s4, s3, 8
	s_mov_b32 s13, s5
	s_mov_b32 s1, s14
	global_store_b128 v[6:7], v[2:5], off th:TH_STORE_NT
.LBB1_786:                              ;   Parent Loop BB1_1 Depth=1
                                        ; =>  This Inner Loop Header: Depth=2
	s_wait_loadcnt 0x0
	global_load_b128 v[6:9], v[14:15], off th:TH_LOAD_NT
	v_add_nc_u32_e32 v1, 1, v1
	s_mov_b32 s0, -1
	s_mov_b32 s3, -1
	s_mov_b32 s6, exec_lo
	s_wait_xcnt 0x0
	v_cmpx_eq_u32_e32 0xf4240, v1
	s_cbranch_execz .LBB1_788
; %bb.787:                              ;   in Loop: Header=BB1_786 Depth=2
	s_wait_loadcnt 0x0
	s_wait_storecnt 0x0
	global_load_b32 v1, v4, s[10:11] scope:SCOPE_SYS
	s_wait_loadcnt 0x0
	global_inv scope:SCOPE_SYS
	v_cmp_eq_u32_e32 vcc_lo, 0, v1
	v_mov_b32_e32 v1, 0
	s_or_not1_b32 s3, vcc_lo, exec_lo
.LBB1_788:                              ;   in Loop: Header=BB1_786 Depth=2
	s_wait_xcnt 0x0
	s_or_b32 exec_lo, exec_lo, s6
	s_and_saveexec_b32 s6, s3
	s_cbranch_execz .LBB1_790
; %bb.789:                              ;   in Loop: Header=BB1_786 Depth=2
	s_wait_loadcnt 0x0
	v_cmp_eq_u32_e32 vcc_lo, s12, v7
	v_cmp_eq_u32_e64 s0, s12, v9
	s_and_b32 s0, vcc_lo, s0
	s_delay_alu instid0(SALU_CYCLE_1)
	s_or_not1_b32 s0, s0, exec_lo
.LBB1_790:                              ;   in Loop: Header=BB1_786 Depth=2
	s_or_b32 exec_lo, exec_lo, s6
	s_delay_alu instid0(SALU_CYCLE_1) | instskip(NEXT) | instid1(SALU_CYCLE_1)
	s_and_b32 s0, exec_lo, s0
	s_or_b32 s1, s0, s1
	s_delay_alu instid0(SALU_CYCLE_1)
	s_and_not1_b32 exec_lo, exec_lo, s1
	s_cbranch_execnz .LBB1_786
; %bb.791:                              ;   in Loop: Header=BB1_786 Depth=2
	s_or_b32 exec_lo, exec_lo, s1
	s_wait_loadcnt 0x0
	v_dual_mov_b32 v7, v8 :: v_dual_mov_b32 v1, 0
	s_mov_b32 s1, 0
	s_delay_alu instid0(VALU_DEP_1) | instskip(SKIP_1) | instid1(SALU_CYCLE_1)
	v_cmp_eq_u64_e32 vcc_lo, s[12:13], v[6:7]
	s_or_b32 s14, vcc_lo, s14
	s_and_not1_b32 exec_lo, exec_lo, s14
	s_cbranch_execnz .LBB1_786
; %bb.792:                              ;   in Loop: Header=BB1_1 Depth=1
	s_or_b32 exec_lo, exec_lo, s14
	s_add_co_i32 s6, s2, 0x71
	s_mov_b32 s14, 0
	s_mul_hi_u32 s0, s6, 0x10624dd3
	s_mov_b32 s15, s12
	s_lshr_b32 s0, s0, 6
	s_mov_b32 s17, s5
	s_mul_i32 s3, s0, 0x3e8
	s_or_b64 s[0:1], s[14:15], s[12:13]
	s_sub_co_i32 s3, s6, s3
	v_lshl_add_u64 v[6:7], s[4:5], 4, v[12:13]
	s_lshl_b32 s16, s3, 12
	v_dual_mov_b32 v2, s0 :: v_dual_mov_b32 v3, s1
	v_add_nc_u64_e32 v[14:15], s[16:17], v[10:11]
	v_dual_mov_b32 v5, s12 :: v_dual_mov_b32 v1, 0
	s_lshl_b32 s4, s3, 8
	s_mov_b32 s7, s5
	s_mov_b32 s1, s14
	global_store_b128 v[6:7], v[2:5], off th:TH_STORE_NT
.LBB1_793:                              ;   Parent Loop BB1_1 Depth=1
                                        ; =>  This Inner Loop Header: Depth=2
	s_wait_loadcnt 0x0
	global_load_b128 v[6:9], v[14:15], off th:TH_LOAD_NT
	v_add_nc_u32_e32 v1, 1, v1
	s_mov_b32 s0, -1
	s_mov_b32 s3, -1
	s_mov_b32 s12, exec_lo
	s_wait_xcnt 0x0
	v_cmpx_eq_u32_e32 0xf4240, v1
	s_cbranch_execz .LBB1_795
; %bb.794:                              ;   in Loop: Header=BB1_793 Depth=2
	s_wait_loadcnt 0x0
	s_wait_storecnt 0x0
	global_load_b32 v1, v4, s[10:11] scope:SCOPE_SYS
	s_wait_loadcnt 0x0
	global_inv scope:SCOPE_SYS
	v_cmp_eq_u32_e32 vcc_lo, 0, v1
	v_mov_b32_e32 v1, 0
	s_or_not1_b32 s3, vcc_lo, exec_lo
.LBB1_795:                              ;   in Loop: Header=BB1_793 Depth=2
	s_wait_xcnt 0x0
	s_or_b32 exec_lo, exec_lo, s12
	s_and_saveexec_b32 s12, s3
	s_cbranch_execz .LBB1_797
; %bb.796:                              ;   in Loop: Header=BB1_793 Depth=2
	s_wait_loadcnt 0x0
	v_cmp_eq_u32_e32 vcc_lo, s6, v7
	v_cmp_eq_u32_e64 s0, s6, v9
	s_and_b32 s0, vcc_lo, s0
	s_delay_alu instid0(SALU_CYCLE_1)
	s_or_not1_b32 s0, s0, exec_lo
.LBB1_797:                              ;   in Loop: Header=BB1_793 Depth=2
	s_or_b32 exec_lo, exec_lo, s12
	s_delay_alu instid0(SALU_CYCLE_1) | instskip(NEXT) | instid1(SALU_CYCLE_1)
	s_and_b32 s0, exec_lo, s0
	s_or_b32 s1, s0, s1
	s_delay_alu instid0(SALU_CYCLE_1)
	s_and_not1_b32 exec_lo, exec_lo, s1
	s_cbranch_execnz .LBB1_793
; %bb.798:                              ;   in Loop: Header=BB1_793 Depth=2
	s_or_b32 exec_lo, exec_lo, s1
	s_wait_loadcnt 0x0
	v_dual_mov_b32 v7, v8 :: v_dual_mov_b32 v1, 0
	s_mov_b32 s1, 0
	s_delay_alu instid0(VALU_DEP_1) | instskip(SKIP_1) | instid1(SALU_CYCLE_1)
	v_cmp_eq_u64_e32 vcc_lo, s[6:7], v[6:7]
	s_or_b32 s14, vcc_lo, s14
	s_and_not1_b32 exec_lo, exec_lo, s14
	s_cbranch_execnz .LBB1_793
; %bb.799:                              ;   in Loop: Header=BB1_1 Depth=1
	s_or_b32 exec_lo, exec_lo, s14
	s_add_co_i32 s12, s2, 0x72
	s_mov_b32 s14, 0
	s_mul_hi_u32 s0, s12, 0x10624dd3
	s_mov_b32 s15, s6
	s_lshr_b32 s0, s0, 6
	s_mov_b32 s17, s5
	s_mul_i32 s3, s0, 0x3e8
	s_or_b64 s[0:1], s[14:15], s[6:7]
	s_sub_co_i32 s3, s12, s3
	v_lshl_add_u64 v[6:7], s[4:5], 4, v[12:13]
	s_lshl_b32 s16, s3, 12
	v_dual_mov_b32 v2, s0 :: v_dual_mov_b32 v3, s1
	v_add_nc_u64_e32 v[14:15], s[16:17], v[10:11]
	v_dual_mov_b32 v5, s6 :: v_dual_mov_b32 v1, 0
	s_lshl_b32 s4, s3, 8
	s_mov_b32 s13, s5
	s_mov_b32 s1, s14
	global_store_b128 v[6:7], v[2:5], off th:TH_STORE_NT
.LBB1_800:                              ;   Parent Loop BB1_1 Depth=1
                                        ; =>  This Inner Loop Header: Depth=2
	s_wait_loadcnt 0x0
	global_load_b128 v[6:9], v[14:15], off th:TH_LOAD_NT
	v_add_nc_u32_e32 v1, 1, v1
	s_mov_b32 s0, -1
	s_mov_b32 s3, -1
	s_mov_b32 s6, exec_lo
	s_wait_xcnt 0x0
	v_cmpx_eq_u32_e32 0xf4240, v1
	s_cbranch_execz .LBB1_802
; %bb.801:                              ;   in Loop: Header=BB1_800 Depth=2
	s_wait_loadcnt 0x0
	s_wait_storecnt 0x0
	global_load_b32 v1, v4, s[10:11] scope:SCOPE_SYS
	s_wait_loadcnt 0x0
	global_inv scope:SCOPE_SYS
	v_cmp_eq_u32_e32 vcc_lo, 0, v1
	v_mov_b32_e32 v1, 0
	s_or_not1_b32 s3, vcc_lo, exec_lo
.LBB1_802:                              ;   in Loop: Header=BB1_800 Depth=2
	s_wait_xcnt 0x0
	s_or_b32 exec_lo, exec_lo, s6
	s_and_saveexec_b32 s6, s3
	s_cbranch_execz .LBB1_804
; %bb.803:                              ;   in Loop: Header=BB1_800 Depth=2
	s_wait_loadcnt 0x0
	v_cmp_eq_u32_e32 vcc_lo, s12, v7
	v_cmp_eq_u32_e64 s0, s12, v9
	s_and_b32 s0, vcc_lo, s0
	s_delay_alu instid0(SALU_CYCLE_1)
	s_or_not1_b32 s0, s0, exec_lo
.LBB1_804:                              ;   in Loop: Header=BB1_800 Depth=2
	s_or_b32 exec_lo, exec_lo, s6
	s_delay_alu instid0(SALU_CYCLE_1) | instskip(NEXT) | instid1(SALU_CYCLE_1)
	s_and_b32 s0, exec_lo, s0
	s_or_b32 s1, s0, s1
	s_delay_alu instid0(SALU_CYCLE_1)
	s_and_not1_b32 exec_lo, exec_lo, s1
	s_cbranch_execnz .LBB1_800
; %bb.805:                              ;   in Loop: Header=BB1_800 Depth=2
	s_or_b32 exec_lo, exec_lo, s1
	s_wait_loadcnt 0x0
	v_dual_mov_b32 v7, v8 :: v_dual_mov_b32 v1, 0
	s_mov_b32 s1, 0
	s_delay_alu instid0(VALU_DEP_1) | instskip(SKIP_1) | instid1(SALU_CYCLE_1)
	v_cmp_eq_u64_e32 vcc_lo, s[12:13], v[6:7]
	s_or_b32 s14, vcc_lo, s14
	s_and_not1_b32 exec_lo, exec_lo, s14
	s_cbranch_execnz .LBB1_800
; %bb.806:                              ;   in Loop: Header=BB1_1 Depth=1
	s_or_b32 exec_lo, exec_lo, s14
	s_add_co_i32 s6, s2, 0x73
	s_mov_b32 s14, 0
	s_mul_hi_u32 s0, s6, 0x10624dd3
	s_mov_b32 s15, s12
	s_lshr_b32 s0, s0, 6
	s_mov_b32 s17, s5
	s_mul_i32 s3, s0, 0x3e8
	s_or_b64 s[0:1], s[14:15], s[12:13]
	s_sub_co_i32 s3, s6, s3
	v_lshl_add_u64 v[6:7], s[4:5], 4, v[12:13]
	s_lshl_b32 s16, s3, 12
	v_dual_mov_b32 v2, s0 :: v_dual_mov_b32 v3, s1
	v_add_nc_u64_e32 v[14:15], s[16:17], v[10:11]
	v_dual_mov_b32 v5, s12 :: v_dual_mov_b32 v1, 0
	s_lshl_b32 s4, s3, 8
	s_mov_b32 s7, s5
	s_mov_b32 s1, s14
	global_store_b128 v[6:7], v[2:5], off th:TH_STORE_NT
.LBB1_807:                              ;   Parent Loop BB1_1 Depth=1
                                        ; =>  This Inner Loop Header: Depth=2
	s_wait_loadcnt 0x0
	global_load_b128 v[6:9], v[14:15], off th:TH_LOAD_NT
	v_add_nc_u32_e32 v1, 1, v1
	s_mov_b32 s0, -1
	s_mov_b32 s3, -1
	s_mov_b32 s12, exec_lo
	s_wait_xcnt 0x0
	v_cmpx_eq_u32_e32 0xf4240, v1
	s_cbranch_execz .LBB1_809
; %bb.808:                              ;   in Loop: Header=BB1_807 Depth=2
	s_wait_loadcnt 0x0
	s_wait_storecnt 0x0
	global_load_b32 v1, v4, s[10:11] scope:SCOPE_SYS
	s_wait_loadcnt 0x0
	global_inv scope:SCOPE_SYS
	v_cmp_eq_u32_e32 vcc_lo, 0, v1
	v_mov_b32_e32 v1, 0
	s_or_not1_b32 s3, vcc_lo, exec_lo
.LBB1_809:                              ;   in Loop: Header=BB1_807 Depth=2
	s_wait_xcnt 0x0
	s_or_b32 exec_lo, exec_lo, s12
	s_and_saveexec_b32 s12, s3
	s_cbranch_execz .LBB1_811
; %bb.810:                              ;   in Loop: Header=BB1_807 Depth=2
	s_wait_loadcnt 0x0
	v_cmp_eq_u32_e32 vcc_lo, s6, v7
	v_cmp_eq_u32_e64 s0, s6, v9
	s_and_b32 s0, vcc_lo, s0
	s_delay_alu instid0(SALU_CYCLE_1)
	s_or_not1_b32 s0, s0, exec_lo
.LBB1_811:                              ;   in Loop: Header=BB1_807 Depth=2
	s_or_b32 exec_lo, exec_lo, s12
	s_delay_alu instid0(SALU_CYCLE_1) | instskip(NEXT) | instid1(SALU_CYCLE_1)
	s_and_b32 s0, exec_lo, s0
	s_or_b32 s1, s0, s1
	s_delay_alu instid0(SALU_CYCLE_1)
	s_and_not1_b32 exec_lo, exec_lo, s1
	s_cbranch_execnz .LBB1_807
; %bb.812:                              ;   in Loop: Header=BB1_807 Depth=2
	s_or_b32 exec_lo, exec_lo, s1
	s_wait_loadcnt 0x0
	v_dual_mov_b32 v7, v8 :: v_dual_mov_b32 v1, 0
	s_mov_b32 s1, 0
	s_delay_alu instid0(VALU_DEP_1) | instskip(SKIP_1) | instid1(SALU_CYCLE_1)
	v_cmp_eq_u64_e32 vcc_lo, s[6:7], v[6:7]
	s_or_b32 s14, vcc_lo, s14
	s_and_not1_b32 exec_lo, exec_lo, s14
	s_cbranch_execnz .LBB1_807
; %bb.813:                              ;   in Loop: Header=BB1_1 Depth=1
	s_or_b32 exec_lo, exec_lo, s14
	s_add_co_i32 s12, s2, 0x74
	s_mov_b32 s14, 0
	s_mul_hi_u32 s0, s12, 0x10624dd3
	s_mov_b32 s15, s6
	s_lshr_b32 s0, s0, 6
	s_mov_b32 s17, s5
	s_mul_i32 s3, s0, 0x3e8
	s_or_b64 s[0:1], s[14:15], s[6:7]
	s_sub_co_i32 s3, s12, s3
	v_lshl_add_u64 v[6:7], s[4:5], 4, v[12:13]
	s_lshl_b32 s16, s3, 12
	v_dual_mov_b32 v2, s0 :: v_dual_mov_b32 v3, s1
	v_add_nc_u64_e32 v[14:15], s[16:17], v[10:11]
	v_dual_mov_b32 v5, s6 :: v_dual_mov_b32 v1, 0
	s_lshl_b32 s4, s3, 8
	s_mov_b32 s13, s5
	s_mov_b32 s1, s14
	global_store_b128 v[6:7], v[2:5], off th:TH_STORE_NT
.LBB1_814:                              ;   Parent Loop BB1_1 Depth=1
                                        ; =>  This Inner Loop Header: Depth=2
	s_wait_loadcnt 0x0
	global_load_b128 v[6:9], v[14:15], off th:TH_LOAD_NT
	v_add_nc_u32_e32 v1, 1, v1
	s_mov_b32 s0, -1
	s_mov_b32 s3, -1
	s_mov_b32 s6, exec_lo
	s_wait_xcnt 0x0
	v_cmpx_eq_u32_e32 0xf4240, v1
	s_cbranch_execz .LBB1_816
; %bb.815:                              ;   in Loop: Header=BB1_814 Depth=2
	s_wait_loadcnt 0x0
	s_wait_storecnt 0x0
	global_load_b32 v1, v4, s[10:11] scope:SCOPE_SYS
	s_wait_loadcnt 0x0
	global_inv scope:SCOPE_SYS
	v_cmp_eq_u32_e32 vcc_lo, 0, v1
	v_mov_b32_e32 v1, 0
	s_or_not1_b32 s3, vcc_lo, exec_lo
.LBB1_816:                              ;   in Loop: Header=BB1_814 Depth=2
	s_wait_xcnt 0x0
	s_or_b32 exec_lo, exec_lo, s6
	s_and_saveexec_b32 s6, s3
	s_cbranch_execz .LBB1_818
; %bb.817:                              ;   in Loop: Header=BB1_814 Depth=2
	s_wait_loadcnt 0x0
	v_cmp_eq_u32_e32 vcc_lo, s12, v7
	v_cmp_eq_u32_e64 s0, s12, v9
	s_and_b32 s0, vcc_lo, s0
	s_delay_alu instid0(SALU_CYCLE_1)
	s_or_not1_b32 s0, s0, exec_lo
.LBB1_818:                              ;   in Loop: Header=BB1_814 Depth=2
	s_or_b32 exec_lo, exec_lo, s6
	s_delay_alu instid0(SALU_CYCLE_1) | instskip(NEXT) | instid1(SALU_CYCLE_1)
	s_and_b32 s0, exec_lo, s0
	s_or_b32 s1, s0, s1
	s_delay_alu instid0(SALU_CYCLE_1)
	s_and_not1_b32 exec_lo, exec_lo, s1
	s_cbranch_execnz .LBB1_814
; %bb.819:                              ;   in Loop: Header=BB1_814 Depth=2
	s_or_b32 exec_lo, exec_lo, s1
	s_wait_loadcnt 0x0
	v_dual_mov_b32 v7, v8 :: v_dual_mov_b32 v1, 0
	s_mov_b32 s1, 0
	s_delay_alu instid0(VALU_DEP_1) | instskip(SKIP_1) | instid1(SALU_CYCLE_1)
	v_cmp_eq_u64_e32 vcc_lo, s[12:13], v[6:7]
	s_or_b32 s14, vcc_lo, s14
	s_and_not1_b32 exec_lo, exec_lo, s14
	s_cbranch_execnz .LBB1_814
; %bb.820:                              ;   in Loop: Header=BB1_1 Depth=1
	s_or_b32 exec_lo, exec_lo, s14
	s_add_co_i32 s6, s2, 0x75
	s_mov_b32 s14, 0
	s_mul_hi_u32 s0, s6, 0x10624dd3
	s_mov_b32 s15, s12
	s_lshr_b32 s0, s0, 6
	s_mov_b32 s17, s5
	s_mul_i32 s3, s0, 0x3e8
	s_or_b64 s[0:1], s[14:15], s[12:13]
	s_sub_co_i32 s3, s6, s3
	v_lshl_add_u64 v[6:7], s[4:5], 4, v[12:13]
	s_lshl_b32 s16, s3, 12
	v_dual_mov_b32 v2, s0 :: v_dual_mov_b32 v3, s1
	v_add_nc_u64_e32 v[14:15], s[16:17], v[10:11]
	v_dual_mov_b32 v5, s12 :: v_dual_mov_b32 v1, 0
	s_lshl_b32 s4, s3, 8
	s_mov_b32 s7, s5
	s_mov_b32 s1, s14
	global_store_b128 v[6:7], v[2:5], off th:TH_STORE_NT
.LBB1_821:                              ;   Parent Loop BB1_1 Depth=1
                                        ; =>  This Inner Loop Header: Depth=2
	s_wait_loadcnt 0x0
	global_load_b128 v[6:9], v[14:15], off th:TH_LOAD_NT
	v_add_nc_u32_e32 v1, 1, v1
	s_mov_b32 s0, -1
	s_mov_b32 s3, -1
	s_mov_b32 s12, exec_lo
	s_wait_xcnt 0x0
	v_cmpx_eq_u32_e32 0xf4240, v1
	s_cbranch_execz .LBB1_823
; %bb.822:                              ;   in Loop: Header=BB1_821 Depth=2
	s_wait_loadcnt 0x0
	s_wait_storecnt 0x0
	global_load_b32 v1, v4, s[10:11] scope:SCOPE_SYS
	s_wait_loadcnt 0x0
	global_inv scope:SCOPE_SYS
	v_cmp_eq_u32_e32 vcc_lo, 0, v1
	v_mov_b32_e32 v1, 0
	s_or_not1_b32 s3, vcc_lo, exec_lo
.LBB1_823:                              ;   in Loop: Header=BB1_821 Depth=2
	s_wait_xcnt 0x0
	s_or_b32 exec_lo, exec_lo, s12
	s_and_saveexec_b32 s12, s3
	s_cbranch_execz .LBB1_825
; %bb.824:                              ;   in Loop: Header=BB1_821 Depth=2
	s_wait_loadcnt 0x0
	v_cmp_eq_u32_e32 vcc_lo, s6, v7
	v_cmp_eq_u32_e64 s0, s6, v9
	s_and_b32 s0, vcc_lo, s0
	s_delay_alu instid0(SALU_CYCLE_1)
	s_or_not1_b32 s0, s0, exec_lo
.LBB1_825:                              ;   in Loop: Header=BB1_821 Depth=2
	s_or_b32 exec_lo, exec_lo, s12
	s_delay_alu instid0(SALU_CYCLE_1) | instskip(NEXT) | instid1(SALU_CYCLE_1)
	s_and_b32 s0, exec_lo, s0
	s_or_b32 s1, s0, s1
	s_delay_alu instid0(SALU_CYCLE_1)
	s_and_not1_b32 exec_lo, exec_lo, s1
	s_cbranch_execnz .LBB1_821
; %bb.826:                              ;   in Loop: Header=BB1_821 Depth=2
	s_or_b32 exec_lo, exec_lo, s1
	s_wait_loadcnt 0x0
	v_dual_mov_b32 v7, v8 :: v_dual_mov_b32 v1, 0
	s_mov_b32 s1, 0
	s_delay_alu instid0(VALU_DEP_1) | instskip(SKIP_1) | instid1(SALU_CYCLE_1)
	v_cmp_eq_u64_e32 vcc_lo, s[6:7], v[6:7]
	s_or_b32 s14, vcc_lo, s14
	s_and_not1_b32 exec_lo, exec_lo, s14
	s_cbranch_execnz .LBB1_821
; %bb.827:                              ;   in Loop: Header=BB1_1 Depth=1
	s_or_b32 exec_lo, exec_lo, s14
	s_add_co_i32 s12, s2, 0x76
	s_mov_b32 s14, 0
	s_mul_hi_u32 s0, s12, 0x10624dd3
	s_mov_b32 s15, s6
	s_lshr_b32 s0, s0, 6
	s_mov_b32 s17, s5
	s_mul_i32 s3, s0, 0x3e8
	s_or_b64 s[0:1], s[14:15], s[6:7]
	s_sub_co_i32 s3, s12, s3
	v_lshl_add_u64 v[6:7], s[4:5], 4, v[12:13]
	s_lshl_b32 s16, s3, 12
	v_dual_mov_b32 v2, s0 :: v_dual_mov_b32 v3, s1
	v_add_nc_u64_e32 v[14:15], s[16:17], v[10:11]
	v_dual_mov_b32 v5, s6 :: v_dual_mov_b32 v1, 0
	s_lshl_b32 s4, s3, 8
	s_mov_b32 s13, s5
	s_mov_b32 s1, s14
	global_store_b128 v[6:7], v[2:5], off th:TH_STORE_NT
.LBB1_828:                              ;   Parent Loop BB1_1 Depth=1
                                        ; =>  This Inner Loop Header: Depth=2
	s_wait_loadcnt 0x0
	global_load_b128 v[6:9], v[14:15], off th:TH_LOAD_NT
	v_add_nc_u32_e32 v1, 1, v1
	s_mov_b32 s0, -1
	s_mov_b32 s3, -1
	s_mov_b32 s6, exec_lo
	s_wait_xcnt 0x0
	v_cmpx_eq_u32_e32 0xf4240, v1
	s_cbranch_execz .LBB1_830
; %bb.829:                              ;   in Loop: Header=BB1_828 Depth=2
	s_wait_loadcnt 0x0
	s_wait_storecnt 0x0
	global_load_b32 v1, v4, s[10:11] scope:SCOPE_SYS
	s_wait_loadcnt 0x0
	global_inv scope:SCOPE_SYS
	v_cmp_eq_u32_e32 vcc_lo, 0, v1
	v_mov_b32_e32 v1, 0
	s_or_not1_b32 s3, vcc_lo, exec_lo
.LBB1_830:                              ;   in Loop: Header=BB1_828 Depth=2
	s_wait_xcnt 0x0
	s_or_b32 exec_lo, exec_lo, s6
	s_and_saveexec_b32 s6, s3
	s_cbranch_execz .LBB1_832
; %bb.831:                              ;   in Loop: Header=BB1_828 Depth=2
	s_wait_loadcnt 0x0
	v_cmp_eq_u32_e32 vcc_lo, s12, v7
	v_cmp_eq_u32_e64 s0, s12, v9
	s_and_b32 s0, vcc_lo, s0
	s_delay_alu instid0(SALU_CYCLE_1)
	s_or_not1_b32 s0, s0, exec_lo
.LBB1_832:                              ;   in Loop: Header=BB1_828 Depth=2
	s_or_b32 exec_lo, exec_lo, s6
	s_delay_alu instid0(SALU_CYCLE_1) | instskip(NEXT) | instid1(SALU_CYCLE_1)
	s_and_b32 s0, exec_lo, s0
	s_or_b32 s1, s0, s1
	s_delay_alu instid0(SALU_CYCLE_1)
	s_and_not1_b32 exec_lo, exec_lo, s1
	s_cbranch_execnz .LBB1_828
; %bb.833:                              ;   in Loop: Header=BB1_828 Depth=2
	s_or_b32 exec_lo, exec_lo, s1
	s_wait_loadcnt 0x0
	v_dual_mov_b32 v7, v8 :: v_dual_mov_b32 v1, 0
	s_mov_b32 s1, 0
	s_delay_alu instid0(VALU_DEP_1) | instskip(SKIP_1) | instid1(SALU_CYCLE_1)
	v_cmp_eq_u64_e32 vcc_lo, s[12:13], v[6:7]
	s_or_b32 s14, vcc_lo, s14
	s_and_not1_b32 exec_lo, exec_lo, s14
	s_cbranch_execnz .LBB1_828
; %bb.834:                              ;   in Loop: Header=BB1_1 Depth=1
	s_or_b32 exec_lo, exec_lo, s14
	s_add_co_i32 s6, s2, 0x77
	s_mov_b32 s14, 0
	s_mul_hi_u32 s0, s6, 0x10624dd3
	s_mov_b32 s15, s12
	s_lshr_b32 s0, s0, 6
	s_mov_b32 s17, s5
	s_mul_i32 s3, s0, 0x3e8
	s_or_b64 s[0:1], s[14:15], s[12:13]
	s_sub_co_i32 s3, s6, s3
	v_lshl_add_u64 v[6:7], s[4:5], 4, v[12:13]
	s_lshl_b32 s16, s3, 12
	v_dual_mov_b32 v2, s0 :: v_dual_mov_b32 v3, s1
	v_add_nc_u64_e32 v[14:15], s[16:17], v[10:11]
	v_dual_mov_b32 v5, s12 :: v_dual_mov_b32 v1, 0
	s_lshl_b32 s4, s3, 8
	s_mov_b32 s7, s5
	s_mov_b32 s1, s14
	global_store_b128 v[6:7], v[2:5], off th:TH_STORE_NT
.LBB1_835:                              ;   Parent Loop BB1_1 Depth=1
                                        ; =>  This Inner Loop Header: Depth=2
	s_wait_loadcnt 0x0
	global_load_b128 v[6:9], v[14:15], off th:TH_LOAD_NT
	v_add_nc_u32_e32 v1, 1, v1
	s_mov_b32 s0, -1
	s_mov_b32 s3, -1
	s_mov_b32 s12, exec_lo
	s_wait_xcnt 0x0
	v_cmpx_eq_u32_e32 0xf4240, v1
	s_cbranch_execz .LBB1_837
; %bb.836:                              ;   in Loop: Header=BB1_835 Depth=2
	s_wait_loadcnt 0x0
	s_wait_storecnt 0x0
	global_load_b32 v1, v4, s[10:11] scope:SCOPE_SYS
	s_wait_loadcnt 0x0
	global_inv scope:SCOPE_SYS
	v_cmp_eq_u32_e32 vcc_lo, 0, v1
	v_mov_b32_e32 v1, 0
	s_or_not1_b32 s3, vcc_lo, exec_lo
.LBB1_837:                              ;   in Loop: Header=BB1_835 Depth=2
	s_wait_xcnt 0x0
	s_or_b32 exec_lo, exec_lo, s12
	s_and_saveexec_b32 s12, s3
	s_cbranch_execz .LBB1_839
; %bb.838:                              ;   in Loop: Header=BB1_835 Depth=2
	s_wait_loadcnt 0x0
	v_cmp_eq_u32_e32 vcc_lo, s6, v7
	v_cmp_eq_u32_e64 s0, s6, v9
	s_and_b32 s0, vcc_lo, s0
	s_delay_alu instid0(SALU_CYCLE_1)
	s_or_not1_b32 s0, s0, exec_lo
.LBB1_839:                              ;   in Loop: Header=BB1_835 Depth=2
	s_or_b32 exec_lo, exec_lo, s12
	s_delay_alu instid0(SALU_CYCLE_1) | instskip(NEXT) | instid1(SALU_CYCLE_1)
	s_and_b32 s0, exec_lo, s0
	s_or_b32 s1, s0, s1
	s_delay_alu instid0(SALU_CYCLE_1)
	s_and_not1_b32 exec_lo, exec_lo, s1
	s_cbranch_execnz .LBB1_835
; %bb.840:                              ;   in Loop: Header=BB1_835 Depth=2
	s_or_b32 exec_lo, exec_lo, s1
	s_wait_loadcnt 0x0
	v_dual_mov_b32 v7, v8 :: v_dual_mov_b32 v1, 0
	s_mov_b32 s1, 0
	s_delay_alu instid0(VALU_DEP_1) | instskip(SKIP_1) | instid1(SALU_CYCLE_1)
	v_cmp_eq_u64_e32 vcc_lo, s[6:7], v[6:7]
	s_or_b32 s14, vcc_lo, s14
	s_and_not1_b32 exec_lo, exec_lo, s14
	s_cbranch_execnz .LBB1_835
; %bb.841:                              ;   in Loop: Header=BB1_1 Depth=1
	s_or_b32 exec_lo, exec_lo, s14
	s_add_co_i32 s12, s2, 0x78
	s_mov_b32 s14, 0
	s_mul_hi_u32 s0, s12, 0x10624dd3
	s_mov_b32 s15, s6
	s_lshr_b32 s0, s0, 6
	s_mov_b32 s17, s5
	s_mul_i32 s3, s0, 0x3e8
	s_or_b64 s[0:1], s[14:15], s[6:7]
	s_sub_co_i32 s3, s12, s3
	v_lshl_add_u64 v[6:7], s[4:5], 4, v[12:13]
	s_lshl_b32 s16, s3, 12
	v_dual_mov_b32 v2, s0 :: v_dual_mov_b32 v3, s1
	v_add_nc_u64_e32 v[14:15], s[16:17], v[10:11]
	v_dual_mov_b32 v5, s6 :: v_dual_mov_b32 v1, 0
	s_lshl_b32 s4, s3, 8
	s_mov_b32 s13, s5
	s_mov_b32 s1, s14
	global_store_b128 v[6:7], v[2:5], off th:TH_STORE_NT
.LBB1_842:                              ;   Parent Loop BB1_1 Depth=1
                                        ; =>  This Inner Loop Header: Depth=2
	s_wait_loadcnt 0x0
	global_load_b128 v[6:9], v[14:15], off th:TH_LOAD_NT
	v_add_nc_u32_e32 v1, 1, v1
	s_mov_b32 s0, -1
	s_mov_b32 s3, -1
	s_mov_b32 s6, exec_lo
	s_wait_xcnt 0x0
	v_cmpx_eq_u32_e32 0xf4240, v1
	s_cbranch_execz .LBB1_844
; %bb.843:                              ;   in Loop: Header=BB1_842 Depth=2
	s_wait_loadcnt 0x0
	s_wait_storecnt 0x0
	global_load_b32 v1, v4, s[10:11] scope:SCOPE_SYS
	s_wait_loadcnt 0x0
	global_inv scope:SCOPE_SYS
	v_cmp_eq_u32_e32 vcc_lo, 0, v1
	v_mov_b32_e32 v1, 0
	s_or_not1_b32 s3, vcc_lo, exec_lo
.LBB1_844:                              ;   in Loop: Header=BB1_842 Depth=2
	s_wait_xcnt 0x0
	s_or_b32 exec_lo, exec_lo, s6
	s_and_saveexec_b32 s6, s3
	s_cbranch_execz .LBB1_846
; %bb.845:                              ;   in Loop: Header=BB1_842 Depth=2
	s_wait_loadcnt 0x0
	v_cmp_eq_u32_e32 vcc_lo, s12, v7
	v_cmp_eq_u32_e64 s0, s12, v9
	s_and_b32 s0, vcc_lo, s0
	s_delay_alu instid0(SALU_CYCLE_1)
	s_or_not1_b32 s0, s0, exec_lo
.LBB1_846:                              ;   in Loop: Header=BB1_842 Depth=2
	s_or_b32 exec_lo, exec_lo, s6
	s_delay_alu instid0(SALU_CYCLE_1) | instskip(NEXT) | instid1(SALU_CYCLE_1)
	s_and_b32 s0, exec_lo, s0
	s_or_b32 s1, s0, s1
	s_delay_alu instid0(SALU_CYCLE_1)
	s_and_not1_b32 exec_lo, exec_lo, s1
	s_cbranch_execnz .LBB1_842
; %bb.847:                              ;   in Loop: Header=BB1_842 Depth=2
	s_or_b32 exec_lo, exec_lo, s1
	s_wait_loadcnt 0x0
	v_dual_mov_b32 v7, v8 :: v_dual_mov_b32 v1, 0
	s_mov_b32 s1, 0
	s_delay_alu instid0(VALU_DEP_1) | instskip(SKIP_1) | instid1(SALU_CYCLE_1)
	v_cmp_eq_u64_e32 vcc_lo, s[12:13], v[6:7]
	s_or_b32 s14, vcc_lo, s14
	s_and_not1_b32 exec_lo, exec_lo, s14
	s_cbranch_execnz .LBB1_842
; %bb.848:                              ;   in Loop: Header=BB1_1 Depth=1
	s_or_b32 exec_lo, exec_lo, s14
	s_add_co_i32 s6, s2, 0x79
	s_mov_b32 s14, 0
	s_mul_hi_u32 s0, s6, 0x10624dd3
	s_mov_b32 s15, s12
	s_lshr_b32 s0, s0, 6
	s_mov_b32 s17, s5
	s_mul_i32 s3, s0, 0x3e8
	s_or_b64 s[0:1], s[14:15], s[12:13]
	s_sub_co_i32 s3, s6, s3
	v_lshl_add_u64 v[6:7], s[4:5], 4, v[12:13]
	s_lshl_b32 s16, s3, 12
	v_dual_mov_b32 v2, s0 :: v_dual_mov_b32 v3, s1
	v_add_nc_u64_e32 v[14:15], s[16:17], v[10:11]
	v_dual_mov_b32 v5, s12 :: v_dual_mov_b32 v1, 0
	s_lshl_b32 s4, s3, 8
	s_mov_b32 s7, s5
	s_mov_b32 s1, s14
	global_store_b128 v[6:7], v[2:5], off th:TH_STORE_NT
.LBB1_849:                              ;   Parent Loop BB1_1 Depth=1
                                        ; =>  This Inner Loop Header: Depth=2
	s_wait_loadcnt 0x0
	global_load_b128 v[6:9], v[14:15], off th:TH_LOAD_NT
	v_add_nc_u32_e32 v1, 1, v1
	s_mov_b32 s0, -1
	s_mov_b32 s3, -1
	s_mov_b32 s12, exec_lo
	s_wait_xcnt 0x0
	v_cmpx_eq_u32_e32 0xf4240, v1
	s_cbranch_execz .LBB1_851
; %bb.850:                              ;   in Loop: Header=BB1_849 Depth=2
	s_wait_loadcnt 0x0
	s_wait_storecnt 0x0
	global_load_b32 v1, v4, s[10:11] scope:SCOPE_SYS
	s_wait_loadcnt 0x0
	global_inv scope:SCOPE_SYS
	v_cmp_eq_u32_e32 vcc_lo, 0, v1
	v_mov_b32_e32 v1, 0
	s_or_not1_b32 s3, vcc_lo, exec_lo
.LBB1_851:                              ;   in Loop: Header=BB1_849 Depth=2
	s_wait_xcnt 0x0
	s_or_b32 exec_lo, exec_lo, s12
	s_and_saveexec_b32 s12, s3
	s_cbranch_execz .LBB1_853
; %bb.852:                              ;   in Loop: Header=BB1_849 Depth=2
	s_wait_loadcnt 0x0
	v_cmp_eq_u32_e32 vcc_lo, s6, v7
	v_cmp_eq_u32_e64 s0, s6, v9
	s_and_b32 s0, vcc_lo, s0
	s_delay_alu instid0(SALU_CYCLE_1)
	s_or_not1_b32 s0, s0, exec_lo
.LBB1_853:                              ;   in Loop: Header=BB1_849 Depth=2
	s_or_b32 exec_lo, exec_lo, s12
	s_delay_alu instid0(SALU_CYCLE_1) | instskip(NEXT) | instid1(SALU_CYCLE_1)
	s_and_b32 s0, exec_lo, s0
	s_or_b32 s1, s0, s1
	s_delay_alu instid0(SALU_CYCLE_1)
	s_and_not1_b32 exec_lo, exec_lo, s1
	s_cbranch_execnz .LBB1_849
; %bb.854:                              ;   in Loop: Header=BB1_849 Depth=2
	s_or_b32 exec_lo, exec_lo, s1
	s_wait_loadcnt 0x0
	v_dual_mov_b32 v7, v8 :: v_dual_mov_b32 v1, 0
	s_mov_b32 s1, 0
	s_delay_alu instid0(VALU_DEP_1) | instskip(SKIP_1) | instid1(SALU_CYCLE_1)
	v_cmp_eq_u64_e32 vcc_lo, s[6:7], v[6:7]
	s_or_b32 s14, vcc_lo, s14
	s_and_not1_b32 exec_lo, exec_lo, s14
	s_cbranch_execnz .LBB1_849
; %bb.855:                              ;   in Loop: Header=BB1_1 Depth=1
	s_or_b32 exec_lo, exec_lo, s14
	s_add_co_i32 s12, s2, 0x7a
	s_mov_b32 s14, 0
	s_mul_hi_u32 s0, s12, 0x10624dd3
	s_mov_b32 s15, s6
	s_lshr_b32 s0, s0, 6
	s_mov_b32 s17, s5
	s_mul_i32 s3, s0, 0x3e8
	s_or_b64 s[0:1], s[14:15], s[6:7]
	s_sub_co_i32 s3, s12, s3
	v_lshl_add_u64 v[6:7], s[4:5], 4, v[12:13]
	s_lshl_b32 s16, s3, 12
	v_dual_mov_b32 v2, s0 :: v_dual_mov_b32 v3, s1
	v_add_nc_u64_e32 v[14:15], s[16:17], v[10:11]
	v_dual_mov_b32 v5, s6 :: v_dual_mov_b32 v1, 0
	s_lshl_b32 s4, s3, 8
	s_mov_b32 s13, s5
	s_mov_b32 s1, s14
	global_store_b128 v[6:7], v[2:5], off th:TH_STORE_NT
.LBB1_856:                              ;   Parent Loop BB1_1 Depth=1
                                        ; =>  This Inner Loop Header: Depth=2
	s_wait_loadcnt 0x0
	global_load_b128 v[6:9], v[14:15], off th:TH_LOAD_NT
	v_add_nc_u32_e32 v1, 1, v1
	s_mov_b32 s0, -1
	s_mov_b32 s3, -1
	s_mov_b32 s6, exec_lo
	s_wait_xcnt 0x0
	v_cmpx_eq_u32_e32 0xf4240, v1
	s_cbranch_execz .LBB1_858
; %bb.857:                              ;   in Loop: Header=BB1_856 Depth=2
	s_wait_loadcnt 0x0
	s_wait_storecnt 0x0
	global_load_b32 v1, v4, s[10:11] scope:SCOPE_SYS
	s_wait_loadcnt 0x0
	global_inv scope:SCOPE_SYS
	v_cmp_eq_u32_e32 vcc_lo, 0, v1
	v_mov_b32_e32 v1, 0
	s_or_not1_b32 s3, vcc_lo, exec_lo
.LBB1_858:                              ;   in Loop: Header=BB1_856 Depth=2
	s_wait_xcnt 0x0
	s_or_b32 exec_lo, exec_lo, s6
	s_and_saveexec_b32 s6, s3
	s_cbranch_execz .LBB1_860
; %bb.859:                              ;   in Loop: Header=BB1_856 Depth=2
	s_wait_loadcnt 0x0
	v_cmp_eq_u32_e32 vcc_lo, s12, v7
	v_cmp_eq_u32_e64 s0, s12, v9
	s_and_b32 s0, vcc_lo, s0
	s_delay_alu instid0(SALU_CYCLE_1)
	s_or_not1_b32 s0, s0, exec_lo
.LBB1_860:                              ;   in Loop: Header=BB1_856 Depth=2
	s_or_b32 exec_lo, exec_lo, s6
	s_delay_alu instid0(SALU_CYCLE_1) | instskip(NEXT) | instid1(SALU_CYCLE_1)
	s_and_b32 s0, exec_lo, s0
	s_or_b32 s1, s0, s1
	s_delay_alu instid0(SALU_CYCLE_1)
	s_and_not1_b32 exec_lo, exec_lo, s1
	s_cbranch_execnz .LBB1_856
; %bb.861:                              ;   in Loop: Header=BB1_856 Depth=2
	s_or_b32 exec_lo, exec_lo, s1
	s_wait_loadcnt 0x0
	v_dual_mov_b32 v7, v8 :: v_dual_mov_b32 v1, 0
	s_mov_b32 s1, 0
	s_delay_alu instid0(VALU_DEP_1) | instskip(SKIP_1) | instid1(SALU_CYCLE_1)
	v_cmp_eq_u64_e32 vcc_lo, s[12:13], v[6:7]
	s_or_b32 s14, vcc_lo, s14
	s_and_not1_b32 exec_lo, exec_lo, s14
	s_cbranch_execnz .LBB1_856
; %bb.862:                              ;   in Loop: Header=BB1_1 Depth=1
	s_or_b32 exec_lo, exec_lo, s14
	s_add_co_i32 s6, s2, 0x7b
	s_mov_b32 s14, 0
	s_mul_hi_u32 s0, s6, 0x10624dd3
	s_mov_b32 s15, s12
	s_lshr_b32 s0, s0, 6
	s_mov_b32 s17, s5
	s_mul_i32 s3, s0, 0x3e8
	s_or_b64 s[0:1], s[14:15], s[12:13]
	s_sub_co_i32 s3, s6, s3
	v_lshl_add_u64 v[6:7], s[4:5], 4, v[12:13]
	s_lshl_b32 s16, s3, 12
	v_dual_mov_b32 v2, s0 :: v_dual_mov_b32 v3, s1
	v_add_nc_u64_e32 v[14:15], s[16:17], v[10:11]
	v_dual_mov_b32 v5, s12 :: v_dual_mov_b32 v1, 0
	s_lshl_b32 s4, s3, 8
	s_mov_b32 s7, s5
	s_mov_b32 s1, s14
	global_store_b128 v[6:7], v[2:5], off th:TH_STORE_NT
.LBB1_863:                              ;   Parent Loop BB1_1 Depth=1
                                        ; =>  This Inner Loop Header: Depth=2
	s_wait_loadcnt 0x0
	global_load_b128 v[6:9], v[14:15], off th:TH_LOAD_NT
	v_add_nc_u32_e32 v1, 1, v1
	s_mov_b32 s0, -1
	s_mov_b32 s3, -1
	s_mov_b32 s12, exec_lo
	s_wait_xcnt 0x0
	v_cmpx_eq_u32_e32 0xf4240, v1
	s_cbranch_execz .LBB1_865
; %bb.864:                              ;   in Loop: Header=BB1_863 Depth=2
	s_wait_loadcnt 0x0
	s_wait_storecnt 0x0
	global_load_b32 v1, v4, s[10:11] scope:SCOPE_SYS
	s_wait_loadcnt 0x0
	global_inv scope:SCOPE_SYS
	v_cmp_eq_u32_e32 vcc_lo, 0, v1
	v_mov_b32_e32 v1, 0
	s_or_not1_b32 s3, vcc_lo, exec_lo
.LBB1_865:                              ;   in Loop: Header=BB1_863 Depth=2
	s_wait_xcnt 0x0
	s_or_b32 exec_lo, exec_lo, s12
	s_and_saveexec_b32 s12, s3
	s_cbranch_execz .LBB1_867
; %bb.866:                              ;   in Loop: Header=BB1_863 Depth=2
	s_wait_loadcnt 0x0
	v_cmp_eq_u32_e32 vcc_lo, s6, v7
	v_cmp_eq_u32_e64 s0, s6, v9
	s_and_b32 s0, vcc_lo, s0
	s_delay_alu instid0(SALU_CYCLE_1)
	s_or_not1_b32 s0, s0, exec_lo
.LBB1_867:                              ;   in Loop: Header=BB1_863 Depth=2
	s_or_b32 exec_lo, exec_lo, s12
	s_delay_alu instid0(SALU_CYCLE_1) | instskip(NEXT) | instid1(SALU_CYCLE_1)
	s_and_b32 s0, exec_lo, s0
	s_or_b32 s1, s0, s1
	s_delay_alu instid0(SALU_CYCLE_1)
	s_and_not1_b32 exec_lo, exec_lo, s1
	s_cbranch_execnz .LBB1_863
; %bb.868:                              ;   in Loop: Header=BB1_863 Depth=2
	s_or_b32 exec_lo, exec_lo, s1
	s_wait_loadcnt 0x0
	v_dual_mov_b32 v7, v8 :: v_dual_mov_b32 v1, 0
	s_mov_b32 s1, 0
	s_delay_alu instid0(VALU_DEP_1) | instskip(SKIP_1) | instid1(SALU_CYCLE_1)
	v_cmp_eq_u64_e32 vcc_lo, s[6:7], v[6:7]
	s_or_b32 s14, vcc_lo, s14
	s_and_not1_b32 exec_lo, exec_lo, s14
	s_cbranch_execnz .LBB1_863
; %bb.869:                              ;   in Loop: Header=BB1_1 Depth=1
	s_or_b32 exec_lo, exec_lo, s14
	s_add_co_i32 s12, s2, 0x7c
	s_mov_b32 s14, 0
	s_mul_hi_u32 s0, s12, 0x10624dd3
	s_mov_b32 s15, s6
	s_lshr_b32 s0, s0, 6
	s_mov_b32 s17, s5
	s_mul_i32 s3, s0, 0x3e8
	s_or_b64 s[0:1], s[14:15], s[6:7]
	s_sub_co_i32 s3, s12, s3
	v_lshl_add_u64 v[6:7], s[4:5], 4, v[12:13]
	s_lshl_b32 s16, s3, 12
	v_dual_mov_b32 v2, s0 :: v_dual_mov_b32 v3, s1
	v_add_nc_u64_e32 v[14:15], s[16:17], v[10:11]
	v_dual_mov_b32 v5, s6 :: v_dual_mov_b32 v1, 0
	s_lshl_b32 s4, s3, 8
	s_mov_b32 s13, s5
	s_mov_b32 s1, s14
	global_store_b128 v[6:7], v[2:5], off th:TH_STORE_NT
.LBB1_870:                              ;   Parent Loop BB1_1 Depth=1
                                        ; =>  This Inner Loop Header: Depth=2
	s_wait_loadcnt 0x0
	global_load_b128 v[6:9], v[14:15], off th:TH_LOAD_NT
	v_add_nc_u32_e32 v1, 1, v1
	s_mov_b32 s0, -1
	s_mov_b32 s3, -1
	s_mov_b32 s6, exec_lo
	s_wait_xcnt 0x0
	v_cmpx_eq_u32_e32 0xf4240, v1
	s_cbranch_execz .LBB1_872
; %bb.871:                              ;   in Loop: Header=BB1_870 Depth=2
	s_wait_loadcnt 0x0
	s_wait_storecnt 0x0
	global_load_b32 v1, v4, s[10:11] scope:SCOPE_SYS
	s_wait_loadcnt 0x0
	global_inv scope:SCOPE_SYS
	v_cmp_eq_u32_e32 vcc_lo, 0, v1
	v_mov_b32_e32 v1, 0
	s_or_not1_b32 s3, vcc_lo, exec_lo
.LBB1_872:                              ;   in Loop: Header=BB1_870 Depth=2
	s_wait_xcnt 0x0
	s_or_b32 exec_lo, exec_lo, s6
	s_and_saveexec_b32 s6, s3
	s_cbranch_execz .LBB1_874
; %bb.873:                              ;   in Loop: Header=BB1_870 Depth=2
	s_wait_loadcnt 0x0
	v_cmp_eq_u32_e32 vcc_lo, s12, v7
	v_cmp_eq_u32_e64 s0, s12, v9
	s_and_b32 s0, vcc_lo, s0
	s_delay_alu instid0(SALU_CYCLE_1)
	s_or_not1_b32 s0, s0, exec_lo
.LBB1_874:                              ;   in Loop: Header=BB1_870 Depth=2
	s_or_b32 exec_lo, exec_lo, s6
	s_delay_alu instid0(SALU_CYCLE_1) | instskip(NEXT) | instid1(SALU_CYCLE_1)
	s_and_b32 s0, exec_lo, s0
	s_or_b32 s1, s0, s1
	s_delay_alu instid0(SALU_CYCLE_1)
	s_and_not1_b32 exec_lo, exec_lo, s1
	s_cbranch_execnz .LBB1_870
; %bb.875:                              ;   in Loop: Header=BB1_870 Depth=2
	s_or_b32 exec_lo, exec_lo, s1
	s_wait_loadcnt 0x0
	v_dual_mov_b32 v7, v8 :: v_dual_mov_b32 v1, 0
	s_mov_b32 s1, 0
	s_delay_alu instid0(VALU_DEP_1) | instskip(SKIP_1) | instid1(SALU_CYCLE_1)
	v_cmp_eq_u64_e32 vcc_lo, s[12:13], v[6:7]
	s_or_b32 s14, vcc_lo, s14
	s_and_not1_b32 exec_lo, exec_lo, s14
	s_cbranch_execnz .LBB1_870
; %bb.876:                              ;   in Loop: Header=BB1_1 Depth=1
	s_or_b32 exec_lo, exec_lo, s14
	s_add_co_i32 s6, s2, 0x7d
	s_mov_b32 s14, 0
	s_mul_hi_u32 s0, s6, 0x10624dd3
	s_mov_b32 s15, s12
	s_lshr_b32 s0, s0, 6
	s_mov_b32 s17, s5
	s_mul_i32 s3, s0, 0x3e8
	s_or_b64 s[0:1], s[14:15], s[12:13]
	s_sub_co_i32 s3, s6, s3
	v_lshl_add_u64 v[6:7], s[4:5], 4, v[12:13]
	s_lshl_b32 s16, s3, 12
	v_dual_mov_b32 v2, s0 :: v_dual_mov_b32 v3, s1
	v_add_nc_u64_e32 v[14:15], s[16:17], v[10:11]
	v_dual_mov_b32 v5, s12 :: v_dual_mov_b32 v1, 0
	s_lshl_b32 s4, s3, 8
	s_mov_b32 s7, s5
	s_mov_b32 s1, s14
	global_store_b128 v[6:7], v[2:5], off th:TH_STORE_NT
.LBB1_877:                              ;   Parent Loop BB1_1 Depth=1
                                        ; =>  This Inner Loop Header: Depth=2
	s_wait_loadcnt 0x0
	global_load_b128 v[6:9], v[14:15], off th:TH_LOAD_NT
	v_add_nc_u32_e32 v1, 1, v1
	s_mov_b32 s0, -1
	s_mov_b32 s3, -1
	s_mov_b32 s12, exec_lo
	s_wait_xcnt 0x0
	v_cmpx_eq_u32_e32 0xf4240, v1
	s_cbranch_execz .LBB1_879
; %bb.878:                              ;   in Loop: Header=BB1_877 Depth=2
	s_wait_loadcnt 0x0
	s_wait_storecnt 0x0
	global_load_b32 v1, v4, s[10:11] scope:SCOPE_SYS
	s_wait_loadcnt 0x0
	global_inv scope:SCOPE_SYS
	v_cmp_eq_u32_e32 vcc_lo, 0, v1
	v_mov_b32_e32 v1, 0
	s_or_not1_b32 s3, vcc_lo, exec_lo
.LBB1_879:                              ;   in Loop: Header=BB1_877 Depth=2
	s_wait_xcnt 0x0
	s_or_b32 exec_lo, exec_lo, s12
	s_and_saveexec_b32 s12, s3
	s_cbranch_execz .LBB1_881
; %bb.880:                              ;   in Loop: Header=BB1_877 Depth=2
	s_wait_loadcnt 0x0
	v_cmp_eq_u32_e32 vcc_lo, s6, v7
	v_cmp_eq_u32_e64 s0, s6, v9
	s_and_b32 s0, vcc_lo, s0
	s_delay_alu instid0(SALU_CYCLE_1)
	s_or_not1_b32 s0, s0, exec_lo
.LBB1_881:                              ;   in Loop: Header=BB1_877 Depth=2
	s_or_b32 exec_lo, exec_lo, s12
	s_delay_alu instid0(SALU_CYCLE_1) | instskip(NEXT) | instid1(SALU_CYCLE_1)
	s_and_b32 s0, exec_lo, s0
	s_or_b32 s1, s0, s1
	s_delay_alu instid0(SALU_CYCLE_1)
	s_and_not1_b32 exec_lo, exec_lo, s1
	s_cbranch_execnz .LBB1_877
; %bb.882:                              ;   in Loop: Header=BB1_877 Depth=2
	s_or_b32 exec_lo, exec_lo, s1
	s_wait_loadcnt 0x0
	v_dual_mov_b32 v7, v8 :: v_dual_mov_b32 v1, 0
	s_mov_b32 s1, 0
	s_delay_alu instid0(VALU_DEP_1) | instskip(SKIP_1) | instid1(SALU_CYCLE_1)
	v_cmp_eq_u64_e32 vcc_lo, s[6:7], v[6:7]
	s_or_b32 s14, vcc_lo, s14
	s_and_not1_b32 exec_lo, exec_lo, s14
	s_cbranch_execnz .LBB1_877
; %bb.883:                              ;   in Loop: Header=BB1_1 Depth=1
	s_or_b32 exec_lo, exec_lo, s14
	s_add_co_i32 s12, s2, 0x7e
	s_mov_b32 s14, 0
	s_mul_hi_u32 s0, s12, 0x10624dd3
	s_mov_b32 s15, s6
	s_lshr_b32 s0, s0, 6
	s_mov_b32 s17, s5
	s_mul_i32 s3, s0, 0x3e8
	s_or_b64 s[0:1], s[14:15], s[6:7]
	s_sub_co_i32 s3, s12, s3
	v_lshl_add_u64 v[6:7], s[4:5], 4, v[12:13]
	s_lshl_b32 s16, s3, 12
	v_dual_mov_b32 v2, s0 :: v_dual_mov_b32 v3, s1
	v_add_nc_u64_e32 v[14:15], s[16:17], v[10:11]
	v_dual_mov_b32 v5, s6 :: v_dual_mov_b32 v1, 0
	s_lshl_b32 s4, s3, 8
	s_mov_b32 s13, s5
	s_mov_b32 s1, s14
	global_store_b128 v[6:7], v[2:5], off th:TH_STORE_NT
.LBB1_884:                              ;   Parent Loop BB1_1 Depth=1
                                        ; =>  This Inner Loop Header: Depth=2
	s_wait_loadcnt 0x0
	global_load_b128 v[6:9], v[14:15], off th:TH_LOAD_NT
	v_add_nc_u32_e32 v1, 1, v1
	s_mov_b32 s0, -1
	s_mov_b32 s3, -1
	s_mov_b32 s6, exec_lo
	s_wait_xcnt 0x0
	v_cmpx_eq_u32_e32 0xf4240, v1
	s_cbranch_execz .LBB1_886
; %bb.885:                              ;   in Loop: Header=BB1_884 Depth=2
	s_wait_loadcnt 0x0
	s_wait_storecnt 0x0
	global_load_b32 v1, v4, s[10:11] scope:SCOPE_SYS
	s_wait_loadcnt 0x0
	global_inv scope:SCOPE_SYS
	v_cmp_eq_u32_e32 vcc_lo, 0, v1
	v_mov_b32_e32 v1, 0
	s_or_not1_b32 s3, vcc_lo, exec_lo
.LBB1_886:                              ;   in Loop: Header=BB1_884 Depth=2
	s_wait_xcnt 0x0
	s_or_b32 exec_lo, exec_lo, s6
	s_and_saveexec_b32 s6, s3
	s_cbranch_execz .LBB1_888
; %bb.887:                              ;   in Loop: Header=BB1_884 Depth=2
	s_wait_loadcnt 0x0
	v_cmp_eq_u32_e32 vcc_lo, s12, v7
	v_cmp_eq_u32_e64 s0, s12, v9
	s_and_b32 s0, vcc_lo, s0
	s_delay_alu instid0(SALU_CYCLE_1)
	s_or_not1_b32 s0, s0, exec_lo
.LBB1_888:                              ;   in Loop: Header=BB1_884 Depth=2
	s_or_b32 exec_lo, exec_lo, s6
	s_delay_alu instid0(SALU_CYCLE_1) | instskip(NEXT) | instid1(SALU_CYCLE_1)
	s_and_b32 s0, exec_lo, s0
	s_or_b32 s1, s0, s1
	s_delay_alu instid0(SALU_CYCLE_1)
	s_and_not1_b32 exec_lo, exec_lo, s1
	s_cbranch_execnz .LBB1_884
; %bb.889:                              ;   in Loop: Header=BB1_884 Depth=2
	s_or_b32 exec_lo, exec_lo, s1
	s_wait_loadcnt 0x0
	v_dual_mov_b32 v7, v8 :: v_dual_mov_b32 v1, 0
	s_mov_b32 s1, 0
	s_delay_alu instid0(VALU_DEP_1) | instskip(SKIP_1) | instid1(SALU_CYCLE_1)
	v_cmp_eq_u64_e32 vcc_lo, s[12:13], v[6:7]
	s_or_b32 s14, vcc_lo, s14
	s_and_not1_b32 exec_lo, exec_lo, s14
	s_cbranch_execnz .LBB1_884
; %bb.890:                              ;   in Loop: Header=BB1_1 Depth=1
	s_or_b32 exec_lo, exec_lo, s14
	s_add_co_i32 s6, s2, 0x7f
	s_mov_b32 s14, 0
	s_mul_hi_u32 s0, s6, 0x10624dd3
	s_mov_b32 s15, s12
	s_lshr_b32 s0, s0, 6
	s_mov_b32 s17, s5
	s_mul_i32 s3, s0, 0x3e8
	s_or_b64 s[0:1], s[14:15], s[12:13]
	s_sub_co_i32 s3, s6, s3
	v_lshl_add_u64 v[6:7], s[4:5], 4, v[12:13]
	s_lshl_b32 s16, s3, 12
	v_dual_mov_b32 v2, s0 :: v_dual_mov_b32 v3, s1
	v_add_nc_u64_e32 v[14:15], s[16:17], v[10:11]
	v_dual_mov_b32 v5, s12 :: v_dual_mov_b32 v1, 0
	s_lshl_b32 s4, s3, 8
	s_mov_b32 s7, s5
	s_mov_b32 s1, s14
	global_store_b128 v[6:7], v[2:5], off th:TH_STORE_NT
.LBB1_891:                              ;   Parent Loop BB1_1 Depth=1
                                        ; =>  This Inner Loop Header: Depth=2
	s_wait_loadcnt 0x0
	global_load_b128 v[6:9], v[14:15], off th:TH_LOAD_NT
	v_add_nc_u32_e32 v1, 1, v1
	s_mov_b32 s0, -1
	s_mov_b32 s3, -1
	s_mov_b32 s12, exec_lo
	s_wait_xcnt 0x0
	v_cmpx_eq_u32_e32 0xf4240, v1
	s_cbranch_execz .LBB1_893
; %bb.892:                              ;   in Loop: Header=BB1_891 Depth=2
	s_wait_loadcnt 0x0
	s_wait_storecnt 0x0
	global_load_b32 v1, v4, s[10:11] scope:SCOPE_SYS
	s_wait_loadcnt 0x0
	global_inv scope:SCOPE_SYS
	v_cmp_eq_u32_e32 vcc_lo, 0, v1
	v_mov_b32_e32 v1, 0
	s_or_not1_b32 s3, vcc_lo, exec_lo
.LBB1_893:                              ;   in Loop: Header=BB1_891 Depth=2
	s_wait_xcnt 0x0
	s_or_b32 exec_lo, exec_lo, s12
	s_and_saveexec_b32 s12, s3
	s_cbranch_execz .LBB1_895
; %bb.894:                              ;   in Loop: Header=BB1_891 Depth=2
	s_wait_loadcnt 0x0
	v_cmp_eq_u32_e32 vcc_lo, s6, v7
	v_cmp_eq_u32_e64 s0, s6, v9
	s_and_b32 s0, vcc_lo, s0
	s_delay_alu instid0(SALU_CYCLE_1)
	s_or_not1_b32 s0, s0, exec_lo
.LBB1_895:                              ;   in Loop: Header=BB1_891 Depth=2
	s_or_b32 exec_lo, exec_lo, s12
	s_delay_alu instid0(SALU_CYCLE_1) | instskip(NEXT) | instid1(SALU_CYCLE_1)
	s_and_b32 s0, exec_lo, s0
	s_or_b32 s1, s0, s1
	s_delay_alu instid0(SALU_CYCLE_1)
	s_and_not1_b32 exec_lo, exec_lo, s1
	s_cbranch_execnz .LBB1_891
; %bb.896:                              ;   in Loop: Header=BB1_891 Depth=2
	s_or_b32 exec_lo, exec_lo, s1
	s_wait_loadcnt 0x0
	v_dual_mov_b32 v7, v8 :: v_dual_mov_b32 v1, 0
	s_mov_b32 s1, 0
	s_delay_alu instid0(VALU_DEP_1) | instskip(SKIP_1) | instid1(SALU_CYCLE_1)
	v_cmp_eq_u64_e32 vcc_lo, s[6:7], v[6:7]
	s_or_b32 s14, vcc_lo, s14
	s_and_not1_b32 exec_lo, exec_lo, s14
	s_cbranch_execnz .LBB1_891
; %bb.897:                              ;   in Loop: Header=BB1_1 Depth=1
	s_or_b32 exec_lo, exec_lo, s14
	s_add_co_i32 s12, s2, 0x80
	s_mov_b32 s14, 0
	s_mul_hi_u32 s0, s12, 0x10624dd3
	s_mov_b32 s15, s6
	s_lshr_b32 s3, s0, 6
	s_or_b64 s[0:1], s[14:15], s[6:7]
	s_mulk_i32 s3, 0x3e8
	v_dual_mov_b32 v2, s0 :: v_dual_mov_b32 v3, s1
	s_sub_co_i32 s3, s12, s3
	s_mov_b32 s1, s5
	s_lshl_b32 s0, s3, 12
	v_lshl_add_u64 v[6:7], s[4:5], 4, v[12:13]
	v_add_nc_u64_e32 v[14:15], s[0:1], v[10:11]
	v_dual_mov_b32 v5, s6 :: v_dual_mov_b32 v1, 0
	s_lshl_b32 s4, s3, 8
	s_mov_b32 s13, s5
	s_mov_b32 s1, s14
	global_store_b128 v[6:7], v[2:5], off th:TH_STORE_NT
.LBB1_898:                              ;   Parent Loop BB1_1 Depth=1
                                        ; =>  This Inner Loop Header: Depth=2
	s_wait_loadcnt 0x0
	global_load_b128 v[6:9], v[14:15], off th:TH_LOAD_NT
	v_add_nc_u32_e32 v1, 1, v1
	s_mov_b32 s0, -1
	s_mov_b32 s3, -1
	s_mov_b32 s6, exec_lo
	s_wait_xcnt 0x0
	v_cmpx_eq_u32_e32 0xf4240, v1
	s_cbranch_execz .LBB1_900
; %bb.899:                              ;   in Loop: Header=BB1_898 Depth=2
	s_wait_loadcnt 0x0
	s_wait_storecnt 0x0
	global_load_b32 v1, v4, s[10:11] scope:SCOPE_SYS
	s_wait_loadcnt 0x0
	global_inv scope:SCOPE_SYS
	v_cmp_eq_u32_e32 vcc_lo, 0, v1
	v_mov_b32_e32 v1, 0
	s_or_not1_b32 s3, vcc_lo, exec_lo
.LBB1_900:                              ;   in Loop: Header=BB1_898 Depth=2
	s_wait_xcnt 0x0
	s_or_b32 exec_lo, exec_lo, s6
	s_and_saveexec_b32 s6, s3
	s_cbranch_execz .LBB1_902
; %bb.901:                              ;   in Loop: Header=BB1_898 Depth=2
	s_wait_loadcnt 0x0
	v_cmp_eq_u32_e32 vcc_lo, s12, v7
	v_cmp_eq_u32_e64 s0, s12, v9
	s_and_b32 s0, vcc_lo, s0
	s_delay_alu instid0(SALU_CYCLE_1)
	s_or_not1_b32 s0, s0, exec_lo
.LBB1_902:                              ;   in Loop: Header=BB1_898 Depth=2
	s_or_b32 exec_lo, exec_lo, s6
	s_delay_alu instid0(SALU_CYCLE_1) | instskip(NEXT) | instid1(SALU_CYCLE_1)
	s_and_b32 s0, exec_lo, s0
	s_or_b32 s1, s0, s1
	s_delay_alu instid0(SALU_CYCLE_1)
	s_and_not1_b32 exec_lo, exec_lo, s1
	s_cbranch_execnz .LBB1_898
; %bb.903:                              ;   in Loop: Header=BB1_898 Depth=2
	s_or_b32 exec_lo, exec_lo, s1
	s_wait_loadcnt 0x0
	v_dual_mov_b32 v7, v8 :: v_dual_mov_b32 v1, 0
	s_mov_b32 s1, 0
	s_delay_alu instid0(VALU_DEP_1) | instskip(SKIP_1) | instid1(SALU_CYCLE_1)
	v_cmp_eq_u64_e32 vcc_lo, s[12:13], v[6:7]
	s_or_b32 s14, vcc_lo, s14
	s_and_not1_b32 exec_lo, exec_lo, s14
	s_cbranch_execnz .LBB1_898
; %bb.904:                              ;   in Loop: Header=BB1_1 Depth=1
	s_or_b32 exec_lo, exec_lo, s14
	s_add_co_i32 s6, s2, 0x81
	s_mov_b32 s14, 0
	s_mul_hi_u32 s0, s6, 0x10624dd3
	s_mov_b32 s15, s12
	s_lshr_b32 s3, s0, 6
	s_or_b64 s[0:1], s[14:15], s[12:13]
	s_mulk_i32 s3, 0x3e8
	v_dual_mov_b32 v2, s0 :: v_dual_mov_b32 v3, s1
	s_sub_co_i32 s3, s6, s3
	s_mov_b32 s1, s5
	s_lshl_b32 s0, s3, 12
	v_lshl_add_u64 v[6:7], s[4:5], 4, v[12:13]
	v_add_nc_u64_e32 v[14:15], s[0:1], v[10:11]
	v_dual_mov_b32 v5, s12 :: v_dual_mov_b32 v1, 0
	s_lshl_b32 s4, s3, 8
	s_mov_b32 s7, s5
	s_mov_b32 s1, s14
	global_store_b128 v[6:7], v[2:5], off th:TH_STORE_NT
.LBB1_905:                              ;   Parent Loop BB1_1 Depth=1
                                        ; =>  This Inner Loop Header: Depth=2
	s_wait_loadcnt 0x0
	global_load_b128 v[6:9], v[14:15], off th:TH_LOAD_NT
	v_add_nc_u32_e32 v1, 1, v1
	s_mov_b32 s0, -1
	s_mov_b32 s3, -1
	s_mov_b32 s12, exec_lo
	s_wait_xcnt 0x0
	v_cmpx_eq_u32_e32 0xf4240, v1
	s_cbranch_execz .LBB1_907
; %bb.906:                              ;   in Loop: Header=BB1_905 Depth=2
	s_wait_loadcnt 0x0
	s_wait_storecnt 0x0
	global_load_b32 v1, v4, s[10:11] scope:SCOPE_SYS
	s_wait_loadcnt 0x0
	global_inv scope:SCOPE_SYS
	v_cmp_eq_u32_e32 vcc_lo, 0, v1
	v_mov_b32_e32 v1, 0
	s_or_not1_b32 s3, vcc_lo, exec_lo
.LBB1_907:                              ;   in Loop: Header=BB1_905 Depth=2
	s_wait_xcnt 0x0
	s_or_b32 exec_lo, exec_lo, s12
	s_and_saveexec_b32 s12, s3
	s_cbranch_execz .LBB1_909
; %bb.908:                              ;   in Loop: Header=BB1_905 Depth=2
	s_wait_loadcnt 0x0
	v_cmp_eq_u32_e32 vcc_lo, s6, v7
	v_cmp_eq_u32_e64 s0, s6, v9
	s_and_b32 s0, vcc_lo, s0
	s_delay_alu instid0(SALU_CYCLE_1)
	s_or_not1_b32 s0, s0, exec_lo
.LBB1_909:                              ;   in Loop: Header=BB1_905 Depth=2
	s_or_b32 exec_lo, exec_lo, s12
	s_delay_alu instid0(SALU_CYCLE_1) | instskip(NEXT) | instid1(SALU_CYCLE_1)
	s_and_b32 s0, exec_lo, s0
	s_or_b32 s1, s0, s1
	s_delay_alu instid0(SALU_CYCLE_1)
	s_and_not1_b32 exec_lo, exec_lo, s1
	s_cbranch_execnz .LBB1_905
; %bb.910:                              ;   in Loop: Header=BB1_905 Depth=2
	s_or_b32 exec_lo, exec_lo, s1
	s_wait_loadcnt 0x0
	v_dual_mov_b32 v7, v8 :: v_dual_mov_b32 v1, 0
	s_mov_b32 s1, 0
	s_delay_alu instid0(VALU_DEP_1) | instskip(SKIP_1) | instid1(SALU_CYCLE_1)
	v_cmp_eq_u64_e32 vcc_lo, s[6:7], v[6:7]
	s_or_b32 s14, vcc_lo, s14
	s_and_not1_b32 exec_lo, exec_lo, s14
	s_cbranch_execnz .LBB1_905
; %bb.911:                              ;   in Loop: Header=BB1_1 Depth=1
	s_or_b32 exec_lo, exec_lo, s14
	s_add_co_i32 s12, s2, 0x82
	s_mov_b32 s14, 0
	s_mul_hi_u32 s0, s12, 0x10624dd3
	s_mov_b32 s15, s6
	s_lshr_b32 s3, s0, 6
	s_or_b64 s[0:1], s[14:15], s[6:7]
	s_mulk_i32 s3, 0x3e8
	v_dual_mov_b32 v2, s0 :: v_dual_mov_b32 v3, s1
	s_sub_co_i32 s3, s12, s3
	s_mov_b32 s1, s5
	s_lshl_b32 s0, s3, 12
	v_lshl_add_u64 v[6:7], s[4:5], 4, v[12:13]
	v_add_nc_u64_e32 v[14:15], s[0:1], v[10:11]
	v_dual_mov_b32 v5, s6 :: v_dual_mov_b32 v1, 0
	s_lshl_b32 s4, s3, 8
	s_mov_b32 s13, s5
	s_mov_b32 s1, s14
	global_store_b128 v[6:7], v[2:5], off th:TH_STORE_NT
.LBB1_912:                              ;   Parent Loop BB1_1 Depth=1
                                        ; =>  This Inner Loop Header: Depth=2
	s_wait_loadcnt 0x0
	global_load_b128 v[6:9], v[14:15], off th:TH_LOAD_NT
	v_add_nc_u32_e32 v1, 1, v1
	s_mov_b32 s0, -1
	s_mov_b32 s3, -1
	s_mov_b32 s6, exec_lo
	s_wait_xcnt 0x0
	v_cmpx_eq_u32_e32 0xf4240, v1
	s_cbranch_execz .LBB1_914
; %bb.913:                              ;   in Loop: Header=BB1_912 Depth=2
	s_wait_loadcnt 0x0
	s_wait_storecnt 0x0
	global_load_b32 v1, v4, s[10:11] scope:SCOPE_SYS
	s_wait_loadcnt 0x0
	global_inv scope:SCOPE_SYS
	v_cmp_eq_u32_e32 vcc_lo, 0, v1
	v_mov_b32_e32 v1, 0
	s_or_not1_b32 s3, vcc_lo, exec_lo
.LBB1_914:                              ;   in Loop: Header=BB1_912 Depth=2
	s_wait_xcnt 0x0
	s_or_b32 exec_lo, exec_lo, s6
	s_and_saveexec_b32 s6, s3
	s_cbranch_execz .LBB1_916
; %bb.915:                              ;   in Loop: Header=BB1_912 Depth=2
	s_wait_loadcnt 0x0
	v_cmp_eq_u32_e32 vcc_lo, s12, v7
	v_cmp_eq_u32_e64 s0, s12, v9
	s_and_b32 s0, vcc_lo, s0
	s_delay_alu instid0(SALU_CYCLE_1)
	s_or_not1_b32 s0, s0, exec_lo
.LBB1_916:                              ;   in Loop: Header=BB1_912 Depth=2
	s_or_b32 exec_lo, exec_lo, s6
	s_delay_alu instid0(SALU_CYCLE_1) | instskip(NEXT) | instid1(SALU_CYCLE_1)
	s_and_b32 s0, exec_lo, s0
	s_or_b32 s1, s0, s1
	s_delay_alu instid0(SALU_CYCLE_1)
	s_and_not1_b32 exec_lo, exec_lo, s1
	s_cbranch_execnz .LBB1_912
; %bb.917:                              ;   in Loop: Header=BB1_912 Depth=2
	s_or_b32 exec_lo, exec_lo, s1
	s_wait_loadcnt 0x0
	v_dual_mov_b32 v7, v8 :: v_dual_mov_b32 v1, 0
	s_mov_b32 s1, 0
	s_delay_alu instid0(VALU_DEP_1) | instskip(SKIP_1) | instid1(SALU_CYCLE_1)
	v_cmp_eq_u64_e32 vcc_lo, s[12:13], v[6:7]
	s_or_b32 s14, vcc_lo, s14
	s_and_not1_b32 exec_lo, exec_lo, s14
	s_cbranch_execnz .LBB1_912
; %bb.918:                              ;   in Loop: Header=BB1_1 Depth=1
	s_or_b32 exec_lo, exec_lo, s14
	s_add_co_i32 s6, s2, 0x83
	s_mov_b32 s14, 0
	s_mul_hi_u32 s0, s6, 0x10624dd3
	s_mov_b32 s15, s12
	s_lshr_b32 s3, s0, 6
	s_or_b64 s[0:1], s[14:15], s[12:13]
	s_mulk_i32 s3, 0x3e8
	v_dual_mov_b32 v2, s0 :: v_dual_mov_b32 v3, s1
	s_sub_co_i32 s3, s6, s3
	s_mov_b32 s1, s5
	s_lshl_b32 s0, s3, 12
	v_lshl_add_u64 v[6:7], s[4:5], 4, v[12:13]
	v_add_nc_u64_e32 v[14:15], s[0:1], v[10:11]
	v_dual_mov_b32 v5, s12 :: v_dual_mov_b32 v1, 0
	s_lshl_b32 s4, s3, 8
	s_mov_b32 s7, s5
	s_mov_b32 s1, s14
	global_store_b128 v[6:7], v[2:5], off th:TH_STORE_NT
.LBB1_919:                              ;   Parent Loop BB1_1 Depth=1
                                        ; =>  This Inner Loop Header: Depth=2
	s_wait_loadcnt 0x0
	global_load_b128 v[6:9], v[14:15], off th:TH_LOAD_NT
	v_add_nc_u32_e32 v1, 1, v1
	s_mov_b32 s0, -1
	s_mov_b32 s3, -1
	s_mov_b32 s12, exec_lo
	s_wait_xcnt 0x0
	v_cmpx_eq_u32_e32 0xf4240, v1
	s_cbranch_execz .LBB1_921
; %bb.920:                              ;   in Loop: Header=BB1_919 Depth=2
	s_wait_loadcnt 0x0
	s_wait_storecnt 0x0
	global_load_b32 v1, v4, s[10:11] scope:SCOPE_SYS
	s_wait_loadcnt 0x0
	global_inv scope:SCOPE_SYS
	v_cmp_eq_u32_e32 vcc_lo, 0, v1
	v_mov_b32_e32 v1, 0
	s_or_not1_b32 s3, vcc_lo, exec_lo
.LBB1_921:                              ;   in Loop: Header=BB1_919 Depth=2
	s_wait_xcnt 0x0
	s_or_b32 exec_lo, exec_lo, s12
	s_and_saveexec_b32 s12, s3
	s_cbranch_execz .LBB1_923
; %bb.922:                              ;   in Loop: Header=BB1_919 Depth=2
	s_wait_loadcnt 0x0
	v_cmp_eq_u32_e32 vcc_lo, s6, v7
	v_cmp_eq_u32_e64 s0, s6, v9
	s_and_b32 s0, vcc_lo, s0
	s_delay_alu instid0(SALU_CYCLE_1)
	s_or_not1_b32 s0, s0, exec_lo
.LBB1_923:                              ;   in Loop: Header=BB1_919 Depth=2
	s_or_b32 exec_lo, exec_lo, s12
	s_delay_alu instid0(SALU_CYCLE_1) | instskip(NEXT) | instid1(SALU_CYCLE_1)
	s_and_b32 s0, exec_lo, s0
	s_or_b32 s1, s0, s1
	s_delay_alu instid0(SALU_CYCLE_1)
	s_and_not1_b32 exec_lo, exec_lo, s1
	s_cbranch_execnz .LBB1_919
; %bb.924:                              ;   in Loop: Header=BB1_919 Depth=2
	s_or_b32 exec_lo, exec_lo, s1
	s_wait_loadcnt 0x0
	v_dual_mov_b32 v7, v8 :: v_dual_mov_b32 v1, 0
	s_mov_b32 s1, 0
	s_delay_alu instid0(VALU_DEP_1) | instskip(SKIP_1) | instid1(SALU_CYCLE_1)
	v_cmp_eq_u64_e32 vcc_lo, s[6:7], v[6:7]
	s_or_b32 s14, vcc_lo, s14
	s_and_not1_b32 exec_lo, exec_lo, s14
	s_cbranch_execnz .LBB1_919
; %bb.925:                              ;   in Loop: Header=BB1_1 Depth=1
	s_or_b32 exec_lo, exec_lo, s14
	s_add_co_i32 s12, s2, 0x84
	s_mov_b32 s14, 0
	s_mul_hi_u32 s0, s12, 0x10624dd3
	s_mov_b32 s15, s6
	s_lshr_b32 s3, s0, 6
	s_or_b64 s[0:1], s[14:15], s[6:7]
	s_mulk_i32 s3, 0x3e8
	v_dual_mov_b32 v2, s0 :: v_dual_mov_b32 v3, s1
	s_sub_co_i32 s3, s12, s3
	s_mov_b32 s1, s5
	s_lshl_b32 s0, s3, 12
	v_lshl_add_u64 v[6:7], s[4:5], 4, v[12:13]
	v_add_nc_u64_e32 v[14:15], s[0:1], v[10:11]
	v_dual_mov_b32 v5, s6 :: v_dual_mov_b32 v1, 0
	s_lshl_b32 s4, s3, 8
	s_mov_b32 s13, s5
	s_mov_b32 s1, s14
	global_store_b128 v[6:7], v[2:5], off th:TH_STORE_NT
.LBB1_926:                              ;   Parent Loop BB1_1 Depth=1
                                        ; =>  This Inner Loop Header: Depth=2
	s_wait_loadcnt 0x0
	global_load_b128 v[6:9], v[14:15], off th:TH_LOAD_NT
	v_add_nc_u32_e32 v1, 1, v1
	s_mov_b32 s0, -1
	s_mov_b32 s3, -1
	s_mov_b32 s6, exec_lo
	s_wait_xcnt 0x0
	v_cmpx_eq_u32_e32 0xf4240, v1
	s_cbranch_execz .LBB1_928
; %bb.927:                              ;   in Loop: Header=BB1_926 Depth=2
	s_wait_loadcnt 0x0
	s_wait_storecnt 0x0
	global_load_b32 v1, v4, s[10:11] scope:SCOPE_SYS
	s_wait_loadcnt 0x0
	global_inv scope:SCOPE_SYS
	v_cmp_eq_u32_e32 vcc_lo, 0, v1
	v_mov_b32_e32 v1, 0
	s_or_not1_b32 s3, vcc_lo, exec_lo
.LBB1_928:                              ;   in Loop: Header=BB1_926 Depth=2
	s_wait_xcnt 0x0
	s_or_b32 exec_lo, exec_lo, s6
	s_and_saveexec_b32 s6, s3
	s_cbranch_execz .LBB1_930
; %bb.929:                              ;   in Loop: Header=BB1_926 Depth=2
	s_wait_loadcnt 0x0
	v_cmp_eq_u32_e32 vcc_lo, s12, v7
	v_cmp_eq_u32_e64 s0, s12, v9
	s_and_b32 s0, vcc_lo, s0
	s_delay_alu instid0(SALU_CYCLE_1)
	s_or_not1_b32 s0, s0, exec_lo
.LBB1_930:                              ;   in Loop: Header=BB1_926 Depth=2
	s_or_b32 exec_lo, exec_lo, s6
	s_delay_alu instid0(SALU_CYCLE_1) | instskip(NEXT) | instid1(SALU_CYCLE_1)
	s_and_b32 s0, exec_lo, s0
	s_or_b32 s1, s0, s1
	s_delay_alu instid0(SALU_CYCLE_1)
	s_and_not1_b32 exec_lo, exec_lo, s1
	s_cbranch_execnz .LBB1_926
; %bb.931:                              ;   in Loop: Header=BB1_926 Depth=2
	s_or_b32 exec_lo, exec_lo, s1
	s_wait_loadcnt 0x0
	v_dual_mov_b32 v7, v8 :: v_dual_mov_b32 v1, 0
	s_mov_b32 s1, 0
	s_delay_alu instid0(VALU_DEP_1) | instskip(SKIP_1) | instid1(SALU_CYCLE_1)
	v_cmp_eq_u64_e32 vcc_lo, s[12:13], v[6:7]
	s_or_b32 s14, vcc_lo, s14
	s_and_not1_b32 exec_lo, exec_lo, s14
	s_cbranch_execnz .LBB1_926
; %bb.932:                              ;   in Loop: Header=BB1_1 Depth=1
	s_or_b32 exec_lo, exec_lo, s14
	s_add_co_i32 s6, s2, 0x85
	s_mov_b32 s14, 0
	s_mul_hi_u32 s0, s6, 0x10624dd3
	s_mov_b32 s15, s12
	s_lshr_b32 s3, s0, 6
	s_or_b64 s[0:1], s[14:15], s[12:13]
	s_mulk_i32 s3, 0x3e8
	v_dual_mov_b32 v2, s0 :: v_dual_mov_b32 v3, s1
	s_sub_co_i32 s3, s6, s3
	s_mov_b32 s1, s5
	s_lshl_b32 s0, s3, 12
	v_lshl_add_u64 v[6:7], s[4:5], 4, v[12:13]
	v_add_nc_u64_e32 v[14:15], s[0:1], v[10:11]
	v_dual_mov_b32 v5, s12 :: v_dual_mov_b32 v1, 0
	s_lshl_b32 s4, s3, 8
	s_mov_b32 s7, s5
	s_mov_b32 s1, s14
	global_store_b128 v[6:7], v[2:5], off th:TH_STORE_NT
.LBB1_933:                              ;   Parent Loop BB1_1 Depth=1
                                        ; =>  This Inner Loop Header: Depth=2
	s_wait_loadcnt 0x0
	global_load_b128 v[6:9], v[14:15], off th:TH_LOAD_NT
	v_add_nc_u32_e32 v1, 1, v1
	s_mov_b32 s0, -1
	s_mov_b32 s3, -1
	s_mov_b32 s12, exec_lo
	s_wait_xcnt 0x0
	v_cmpx_eq_u32_e32 0xf4240, v1
	s_cbranch_execz .LBB1_935
; %bb.934:                              ;   in Loop: Header=BB1_933 Depth=2
	s_wait_loadcnt 0x0
	s_wait_storecnt 0x0
	global_load_b32 v1, v4, s[10:11] scope:SCOPE_SYS
	s_wait_loadcnt 0x0
	global_inv scope:SCOPE_SYS
	v_cmp_eq_u32_e32 vcc_lo, 0, v1
	v_mov_b32_e32 v1, 0
	s_or_not1_b32 s3, vcc_lo, exec_lo
.LBB1_935:                              ;   in Loop: Header=BB1_933 Depth=2
	s_wait_xcnt 0x0
	s_or_b32 exec_lo, exec_lo, s12
	s_and_saveexec_b32 s12, s3
	s_cbranch_execz .LBB1_937
; %bb.936:                              ;   in Loop: Header=BB1_933 Depth=2
	s_wait_loadcnt 0x0
	v_cmp_eq_u32_e32 vcc_lo, s6, v7
	v_cmp_eq_u32_e64 s0, s6, v9
	s_and_b32 s0, vcc_lo, s0
	s_delay_alu instid0(SALU_CYCLE_1)
	s_or_not1_b32 s0, s0, exec_lo
.LBB1_937:                              ;   in Loop: Header=BB1_933 Depth=2
	s_or_b32 exec_lo, exec_lo, s12
	s_delay_alu instid0(SALU_CYCLE_1) | instskip(NEXT) | instid1(SALU_CYCLE_1)
	s_and_b32 s0, exec_lo, s0
	s_or_b32 s1, s0, s1
	s_delay_alu instid0(SALU_CYCLE_1)
	s_and_not1_b32 exec_lo, exec_lo, s1
	s_cbranch_execnz .LBB1_933
; %bb.938:                              ;   in Loop: Header=BB1_933 Depth=2
	s_or_b32 exec_lo, exec_lo, s1
	s_wait_loadcnt 0x0
	v_dual_mov_b32 v7, v8 :: v_dual_mov_b32 v1, 0
	s_mov_b32 s1, 0
	s_delay_alu instid0(VALU_DEP_1) | instskip(SKIP_1) | instid1(SALU_CYCLE_1)
	v_cmp_eq_u64_e32 vcc_lo, s[6:7], v[6:7]
	s_or_b32 s14, vcc_lo, s14
	s_and_not1_b32 exec_lo, exec_lo, s14
	s_cbranch_execnz .LBB1_933
; %bb.939:                              ;   in Loop: Header=BB1_1 Depth=1
	s_or_b32 exec_lo, exec_lo, s14
	s_add_co_i32 s12, s2, 0x86
	s_mov_b32 s14, 0
	s_mul_hi_u32 s0, s12, 0x10624dd3
	s_mov_b32 s15, s6
	s_lshr_b32 s3, s0, 6
	s_or_b64 s[0:1], s[14:15], s[6:7]
	s_mulk_i32 s3, 0x3e8
	v_dual_mov_b32 v2, s0 :: v_dual_mov_b32 v3, s1
	s_sub_co_i32 s3, s12, s3
	s_mov_b32 s1, s5
	s_lshl_b32 s0, s3, 12
	v_lshl_add_u64 v[6:7], s[4:5], 4, v[12:13]
	v_add_nc_u64_e32 v[14:15], s[0:1], v[10:11]
	v_dual_mov_b32 v5, s6 :: v_dual_mov_b32 v1, 0
	s_lshl_b32 s4, s3, 8
	s_mov_b32 s13, s5
	s_mov_b32 s1, s14
	global_store_b128 v[6:7], v[2:5], off th:TH_STORE_NT
.LBB1_940:                              ;   Parent Loop BB1_1 Depth=1
                                        ; =>  This Inner Loop Header: Depth=2
	s_wait_loadcnt 0x0
	global_load_b128 v[6:9], v[14:15], off th:TH_LOAD_NT
	v_add_nc_u32_e32 v1, 1, v1
	s_mov_b32 s0, -1
	s_mov_b32 s3, -1
	s_mov_b32 s6, exec_lo
	s_wait_xcnt 0x0
	v_cmpx_eq_u32_e32 0xf4240, v1
	s_cbranch_execz .LBB1_942
; %bb.941:                              ;   in Loop: Header=BB1_940 Depth=2
	s_wait_loadcnt 0x0
	s_wait_storecnt 0x0
	global_load_b32 v1, v4, s[10:11] scope:SCOPE_SYS
	s_wait_loadcnt 0x0
	global_inv scope:SCOPE_SYS
	v_cmp_eq_u32_e32 vcc_lo, 0, v1
	v_mov_b32_e32 v1, 0
	s_or_not1_b32 s3, vcc_lo, exec_lo
.LBB1_942:                              ;   in Loop: Header=BB1_940 Depth=2
	s_wait_xcnt 0x0
	s_or_b32 exec_lo, exec_lo, s6
	s_and_saveexec_b32 s6, s3
	s_cbranch_execz .LBB1_944
; %bb.943:                              ;   in Loop: Header=BB1_940 Depth=2
	s_wait_loadcnt 0x0
	v_cmp_eq_u32_e32 vcc_lo, s12, v7
	v_cmp_eq_u32_e64 s0, s12, v9
	s_and_b32 s0, vcc_lo, s0
	s_delay_alu instid0(SALU_CYCLE_1)
	s_or_not1_b32 s0, s0, exec_lo
.LBB1_944:                              ;   in Loop: Header=BB1_940 Depth=2
	s_or_b32 exec_lo, exec_lo, s6
	s_delay_alu instid0(SALU_CYCLE_1) | instskip(NEXT) | instid1(SALU_CYCLE_1)
	s_and_b32 s0, exec_lo, s0
	s_or_b32 s1, s0, s1
	s_delay_alu instid0(SALU_CYCLE_1)
	s_and_not1_b32 exec_lo, exec_lo, s1
	s_cbranch_execnz .LBB1_940
; %bb.945:                              ;   in Loop: Header=BB1_940 Depth=2
	s_or_b32 exec_lo, exec_lo, s1
	s_wait_loadcnt 0x0
	v_dual_mov_b32 v7, v8 :: v_dual_mov_b32 v1, 0
	s_mov_b32 s1, 0
	s_delay_alu instid0(VALU_DEP_1) | instskip(SKIP_1) | instid1(SALU_CYCLE_1)
	v_cmp_eq_u64_e32 vcc_lo, s[12:13], v[6:7]
	s_or_b32 s14, vcc_lo, s14
	s_and_not1_b32 exec_lo, exec_lo, s14
	s_cbranch_execnz .LBB1_940
; %bb.946:                              ;   in Loop: Header=BB1_1 Depth=1
	s_or_b32 exec_lo, exec_lo, s14
	s_add_co_i32 s6, s2, 0x87
	s_mov_b32 s14, 0
	s_mul_hi_u32 s0, s6, 0x10624dd3
	s_mov_b32 s15, s12
	s_lshr_b32 s3, s0, 6
	s_or_b64 s[0:1], s[14:15], s[12:13]
	s_mulk_i32 s3, 0x3e8
	v_dual_mov_b32 v2, s0 :: v_dual_mov_b32 v3, s1
	s_sub_co_i32 s3, s6, s3
	s_mov_b32 s1, s5
	s_lshl_b32 s0, s3, 12
	v_lshl_add_u64 v[6:7], s[4:5], 4, v[12:13]
	v_add_nc_u64_e32 v[14:15], s[0:1], v[10:11]
	v_dual_mov_b32 v5, s12 :: v_dual_mov_b32 v1, 0
	s_lshl_b32 s4, s3, 8
	s_mov_b32 s7, s5
	s_mov_b32 s1, s14
	global_store_b128 v[6:7], v[2:5], off th:TH_STORE_NT
.LBB1_947:                              ;   Parent Loop BB1_1 Depth=1
                                        ; =>  This Inner Loop Header: Depth=2
	s_wait_loadcnt 0x0
	global_load_b128 v[6:9], v[14:15], off th:TH_LOAD_NT
	v_add_nc_u32_e32 v1, 1, v1
	s_mov_b32 s0, -1
	s_mov_b32 s3, -1
	s_mov_b32 s12, exec_lo
	s_wait_xcnt 0x0
	v_cmpx_eq_u32_e32 0xf4240, v1
	s_cbranch_execz .LBB1_949
; %bb.948:                              ;   in Loop: Header=BB1_947 Depth=2
	s_wait_loadcnt 0x0
	s_wait_storecnt 0x0
	global_load_b32 v1, v4, s[10:11] scope:SCOPE_SYS
	s_wait_loadcnt 0x0
	global_inv scope:SCOPE_SYS
	v_cmp_eq_u32_e32 vcc_lo, 0, v1
	v_mov_b32_e32 v1, 0
	s_or_not1_b32 s3, vcc_lo, exec_lo
.LBB1_949:                              ;   in Loop: Header=BB1_947 Depth=2
	s_wait_xcnt 0x0
	s_or_b32 exec_lo, exec_lo, s12
	s_and_saveexec_b32 s12, s3
	s_cbranch_execz .LBB1_951
; %bb.950:                              ;   in Loop: Header=BB1_947 Depth=2
	s_wait_loadcnt 0x0
	v_cmp_eq_u32_e32 vcc_lo, s6, v7
	v_cmp_eq_u32_e64 s0, s6, v9
	s_and_b32 s0, vcc_lo, s0
	s_delay_alu instid0(SALU_CYCLE_1)
	s_or_not1_b32 s0, s0, exec_lo
.LBB1_951:                              ;   in Loop: Header=BB1_947 Depth=2
	s_or_b32 exec_lo, exec_lo, s12
	s_delay_alu instid0(SALU_CYCLE_1) | instskip(NEXT) | instid1(SALU_CYCLE_1)
	s_and_b32 s0, exec_lo, s0
	s_or_b32 s1, s0, s1
	s_delay_alu instid0(SALU_CYCLE_1)
	s_and_not1_b32 exec_lo, exec_lo, s1
	s_cbranch_execnz .LBB1_947
; %bb.952:                              ;   in Loop: Header=BB1_947 Depth=2
	s_or_b32 exec_lo, exec_lo, s1
	s_wait_loadcnt 0x0
	v_dual_mov_b32 v7, v8 :: v_dual_mov_b32 v1, 0
	s_mov_b32 s1, 0
	s_delay_alu instid0(VALU_DEP_1) | instskip(SKIP_1) | instid1(SALU_CYCLE_1)
	v_cmp_eq_u64_e32 vcc_lo, s[6:7], v[6:7]
	s_or_b32 s14, vcc_lo, s14
	s_and_not1_b32 exec_lo, exec_lo, s14
	s_cbranch_execnz .LBB1_947
; %bb.953:                              ;   in Loop: Header=BB1_1 Depth=1
	s_or_b32 exec_lo, exec_lo, s14
	s_add_co_i32 s12, s2, 0x88
	s_mov_b32 s14, 0
	s_mul_hi_u32 s0, s12, 0x10624dd3
	s_mov_b32 s15, s6
	s_lshr_b32 s3, s0, 6
	s_or_b64 s[0:1], s[14:15], s[6:7]
	s_mulk_i32 s3, 0x3e8
	v_dual_mov_b32 v2, s0 :: v_dual_mov_b32 v3, s1
	s_sub_co_i32 s3, s12, s3
	s_mov_b32 s1, s5
	s_lshl_b32 s0, s3, 12
	v_lshl_add_u64 v[6:7], s[4:5], 4, v[12:13]
	v_add_nc_u64_e32 v[14:15], s[0:1], v[10:11]
	v_dual_mov_b32 v5, s6 :: v_dual_mov_b32 v1, 0
	s_lshl_b32 s4, s3, 8
	s_mov_b32 s13, s5
	s_mov_b32 s1, s14
	global_store_b128 v[6:7], v[2:5], off th:TH_STORE_NT
.LBB1_954:                              ;   Parent Loop BB1_1 Depth=1
                                        ; =>  This Inner Loop Header: Depth=2
	s_wait_loadcnt 0x0
	global_load_b128 v[6:9], v[14:15], off th:TH_LOAD_NT
	v_add_nc_u32_e32 v1, 1, v1
	s_mov_b32 s0, -1
	s_mov_b32 s3, -1
	s_mov_b32 s6, exec_lo
	s_wait_xcnt 0x0
	v_cmpx_eq_u32_e32 0xf4240, v1
	s_cbranch_execz .LBB1_956
; %bb.955:                              ;   in Loop: Header=BB1_954 Depth=2
	s_wait_loadcnt 0x0
	s_wait_storecnt 0x0
	global_load_b32 v1, v4, s[10:11] scope:SCOPE_SYS
	s_wait_loadcnt 0x0
	global_inv scope:SCOPE_SYS
	v_cmp_eq_u32_e32 vcc_lo, 0, v1
	v_mov_b32_e32 v1, 0
	s_or_not1_b32 s3, vcc_lo, exec_lo
.LBB1_956:                              ;   in Loop: Header=BB1_954 Depth=2
	s_wait_xcnt 0x0
	s_or_b32 exec_lo, exec_lo, s6
	s_and_saveexec_b32 s6, s3
	s_cbranch_execz .LBB1_958
; %bb.957:                              ;   in Loop: Header=BB1_954 Depth=2
	s_wait_loadcnt 0x0
	v_cmp_eq_u32_e32 vcc_lo, s12, v7
	v_cmp_eq_u32_e64 s0, s12, v9
	s_and_b32 s0, vcc_lo, s0
	s_delay_alu instid0(SALU_CYCLE_1)
	s_or_not1_b32 s0, s0, exec_lo
.LBB1_958:                              ;   in Loop: Header=BB1_954 Depth=2
	s_or_b32 exec_lo, exec_lo, s6
	s_delay_alu instid0(SALU_CYCLE_1) | instskip(NEXT) | instid1(SALU_CYCLE_1)
	s_and_b32 s0, exec_lo, s0
	s_or_b32 s1, s0, s1
	s_delay_alu instid0(SALU_CYCLE_1)
	s_and_not1_b32 exec_lo, exec_lo, s1
	s_cbranch_execnz .LBB1_954
; %bb.959:                              ;   in Loop: Header=BB1_954 Depth=2
	s_or_b32 exec_lo, exec_lo, s1
	s_wait_loadcnt 0x0
	v_dual_mov_b32 v7, v8 :: v_dual_mov_b32 v1, 0
	s_mov_b32 s1, 0
	s_delay_alu instid0(VALU_DEP_1) | instskip(SKIP_1) | instid1(SALU_CYCLE_1)
	v_cmp_eq_u64_e32 vcc_lo, s[12:13], v[6:7]
	s_or_b32 s14, vcc_lo, s14
	s_and_not1_b32 exec_lo, exec_lo, s14
	s_cbranch_execnz .LBB1_954
; %bb.960:                              ;   in Loop: Header=BB1_1 Depth=1
	s_or_b32 exec_lo, exec_lo, s14
	s_add_co_i32 s6, s2, 0x89
	s_mov_b32 s14, 0
	s_mul_hi_u32 s0, s6, 0x10624dd3
	s_mov_b32 s15, s12
	s_lshr_b32 s3, s0, 6
	s_or_b64 s[0:1], s[14:15], s[12:13]
	s_mulk_i32 s3, 0x3e8
	v_dual_mov_b32 v2, s0 :: v_dual_mov_b32 v3, s1
	s_sub_co_i32 s3, s6, s3
	s_mov_b32 s1, s5
	s_lshl_b32 s0, s3, 12
	v_lshl_add_u64 v[6:7], s[4:5], 4, v[12:13]
	v_add_nc_u64_e32 v[14:15], s[0:1], v[10:11]
	v_dual_mov_b32 v5, s12 :: v_dual_mov_b32 v1, 0
	s_lshl_b32 s4, s3, 8
	s_mov_b32 s7, s5
	s_mov_b32 s1, s14
	global_store_b128 v[6:7], v[2:5], off th:TH_STORE_NT
.LBB1_961:                              ;   Parent Loop BB1_1 Depth=1
                                        ; =>  This Inner Loop Header: Depth=2
	s_wait_loadcnt 0x0
	global_load_b128 v[6:9], v[14:15], off th:TH_LOAD_NT
	v_add_nc_u32_e32 v1, 1, v1
	s_mov_b32 s0, -1
	s_mov_b32 s3, -1
	s_mov_b32 s12, exec_lo
	s_wait_xcnt 0x0
	v_cmpx_eq_u32_e32 0xf4240, v1
	s_cbranch_execz .LBB1_963
; %bb.962:                              ;   in Loop: Header=BB1_961 Depth=2
	s_wait_loadcnt 0x0
	s_wait_storecnt 0x0
	global_load_b32 v1, v4, s[10:11] scope:SCOPE_SYS
	s_wait_loadcnt 0x0
	global_inv scope:SCOPE_SYS
	v_cmp_eq_u32_e32 vcc_lo, 0, v1
	v_mov_b32_e32 v1, 0
	s_or_not1_b32 s3, vcc_lo, exec_lo
.LBB1_963:                              ;   in Loop: Header=BB1_961 Depth=2
	s_wait_xcnt 0x0
	s_or_b32 exec_lo, exec_lo, s12
	s_and_saveexec_b32 s12, s3
	s_cbranch_execz .LBB1_965
; %bb.964:                              ;   in Loop: Header=BB1_961 Depth=2
	s_wait_loadcnt 0x0
	v_cmp_eq_u32_e32 vcc_lo, s6, v7
	v_cmp_eq_u32_e64 s0, s6, v9
	s_and_b32 s0, vcc_lo, s0
	s_delay_alu instid0(SALU_CYCLE_1)
	s_or_not1_b32 s0, s0, exec_lo
.LBB1_965:                              ;   in Loop: Header=BB1_961 Depth=2
	s_or_b32 exec_lo, exec_lo, s12
	s_delay_alu instid0(SALU_CYCLE_1) | instskip(NEXT) | instid1(SALU_CYCLE_1)
	s_and_b32 s0, exec_lo, s0
	s_or_b32 s1, s0, s1
	s_delay_alu instid0(SALU_CYCLE_1)
	s_and_not1_b32 exec_lo, exec_lo, s1
	s_cbranch_execnz .LBB1_961
; %bb.966:                              ;   in Loop: Header=BB1_961 Depth=2
	s_or_b32 exec_lo, exec_lo, s1
	s_wait_loadcnt 0x0
	v_dual_mov_b32 v7, v8 :: v_dual_mov_b32 v1, 0
	s_mov_b32 s1, 0
	s_delay_alu instid0(VALU_DEP_1) | instskip(SKIP_1) | instid1(SALU_CYCLE_1)
	v_cmp_eq_u64_e32 vcc_lo, s[6:7], v[6:7]
	s_or_b32 s14, vcc_lo, s14
	s_and_not1_b32 exec_lo, exec_lo, s14
	s_cbranch_execnz .LBB1_961
; %bb.967:                              ;   in Loop: Header=BB1_1 Depth=1
	s_or_b32 exec_lo, exec_lo, s14
	s_add_co_i32 s12, s2, 0x8a
	s_mov_b32 s14, 0
	s_mul_hi_u32 s0, s12, 0x10624dd3
	s_mov_b32 s15, s6
	s_lshr_b32 s3, s0, 6
	s_or_b64 s[0:1], s[14:15], s[6:7]
	s_mulk_i32 s3, 0x3e8
	v_dual_mov_b32 v2, s0 :: v_dual_mov_b32 v3, s1
	s_sub_co_i32 s3, s12, s3
	s_mov_b32 s1, s5
	s_lshl_b32 s0, s3, 12
	v_lshl_add_u64 v[6:7], s[4:5], 4, v[12:13]
	v_add_nc_u64_e32 v[14:15], s[0:1], v[10:11]
	v_dual_mov_b32 v5, s6 :: v_dual_mov_b32 v1, 0
	s_lshl_b32 s4, s3, 8
	s_mov_b32 s13, s5
	s_mov_b32 s1, s14
	global_store_b128 v[6:7], v[2:5], off th:TH_STORE_NT
.LBB1_968:                              ;   Parent Loop BB1_1 Depth=1
                                        ; =>  This Inner Loop Header: Depth=2
	s_wait_loadcnt 0x0
	global_load_b128 v[6:9], v[14:15], off th:TH_LOAD_NT
	v_add_nc_u32_e32 v1, 1, v1
	s_mov_b32 s0, -1
	s_mov_b32 s3, -1
	s_mov_b32 s6, exec_lo
	s_wait_xcnt 0x0
	v_cmpx_eq_u32_e32 0xf4240, v1
	s_cbranch_execz .LBB1_970
; %bb.969:                              ;   in Loop: Header=BB1_968 Depth=2
	s_wait_loadcnt 0x0
	s_wait_storecnt 0x0
	global_load_b32 v1, v4, s[10:11] scope:SCOPE_SYS
	s_wait_loadcnt 0x0
	global_inv scope:SCOPE_SYS
	v_cmp_eq_u32_e32 vcc_lo, 0, v1
	v_mov_b32_e32 v1, 0
	s_or_not1_b32 s3, vcc_lo, exec_lo
.LBB1_970:                              ;   in Loop: Header=BB1_968 Depth=2
	s_wait_xcnt 0x0
	s_or_b32 exec_lo, exec_lo, s6
	s_and_saveexec_b32 s6, s3
	s_cbranch_execz .LBB1_972
; %bb.971:                              ;   in Loop: Header=BB1_968 Depth=2
	s_wait_loadcnt 0x0
	v_cmp_eq_u32_e32 vcc_lo, s12, v7
	v_cmp_eq_u32_e64 s0, s12, v9
	s_and_b32 s0, vcc_lo, s0
	s_delay_alu instid0(SALU_CYCLE_1)
	s_or_not1_b32 s0, s0, exec_lo
.LBB1_972:                              ;   in Loop: Header=BB1_968 Depth=2
	s_or_b32 exec_lo, exec_lo, s6
	s_delay_alu instid0(SALU_CYCLE_1) | instskip(NEXT) | instid1(SALU_CYCLE_1)
	s_and_b32 s0, exec_lo, s0
	s_or_b32 s1, s0, s1
	s_delay_alu instid0(SALU_CYCLE_1)
	s_and_not1_b32 exec_lo, exec_lo, s1
	s_cbranch_execnz .LBB1_968
; %bb.973:                              ;   in Loop: Header=BB1_968 Depth=2
	s_or_b32 exec_lo, exec_lo, s1
	s_wait_loadcnt 0x0
	v_dual_mov_b32 v7, v8 :: v_dual_mov_b32 v1, 0
	s_mov_b32 s1, 0
	s_delay_alu instid0(VALU_DEP_1) | instskip(SKIP_1) | instid1(SALU_CYCLE_1)
	v_cmp_eq_u64_e32 vcc_lo, s[12:13], v[6:7]
	s_or_b32 s14, vcc_lo, s14
	s_and_not1_b32 exec_lo, exec_lo, s14
	s_cbranch_execnz .LBB1_968
; %bb.974:                              ;   in Loop: Header=BB1_1 Depth=1
	s_or_b32 exec_lo, exec_lo, s14
	s_add_co_i32 s6, s2, 0x8b
	s_mov_b32 s14, 0
	s_mul_hi_u32 s0, s6, 0x10624dd3
	s_mov_b32 s15, s12
	s_lshr_b32 s3, s0, 6
	s_or_b64 s[0:1], s[14:15], s[12:13]
	s_mulk_i32 s3, 0x3e8
	v_dual_mov_b32 v2, s0 :: v_dual_mov_b32 v3, s1
	s_sub_co_i32 s3, s6, s3
	s_mov_b32 s1, s5
	s_lshl_b32 s0, s3, 12
	v_lshl_add_u64 v[6:7], s[4:5], 4, v[12:13]
	v_add_nc_u64_e32 v[14:15], s[0:1], v[10:11]
	v_dual_mov_b32 v5, s12 :: v_dual_mov_b32 v1, 0
	s_lshl_b32 s4, s3, 8
	s_mov_b32 s7, s5
	s_mov_b32 s1, s14
	global_store_b128 v[6:7], v[2:5], off th:TH_STORE_NT
.LBB1_975:                              ;   Parent Loop BB1_1 Depth=1
                                        ; =>  This Inner Loop Header: Depth=2
	s_wait_loadcnt 0x0
	global_load_b128 v[6:9], v[14:15], off th:TH_LOAD_NT
	v_add_nc_u32_e32 v1, 1, v1
	s_mov_b32 s0, -1
	s_mov_b32 s3, -1
	s_mov_b32 s12, exec_lo
	s_wait_xcnt 0x0
	v_cmpx_eq_u32_e32 0xf4240, v1
	s_cbranch_execz .LBB1_977
; %bb.976:                              ;   in Loop: Header=BB1_975 Depth=2
	s_wait_loadcnt 0x0
	s_wait_storecnt 0x0
	global_load_b32 v1, v4, s[10:11] scope:SCOPE_SYS
	s_wait_loadcnt 0x0
	global_inv scope:SCOPE_SYS
	v_cmp_eq_u32_e32 vcc_lo, 0, v1
	v_mov_b32_e32 v1, 0
	s_or_not1_b32 s3, vcc_lo, exec_lo
.LBB1_977:                              ;   in Loop: Header=BB1_975 Depth=2
	s_wait_xcnt 0x0
	s_or_b32 exec_lo, exec_lo, s12
	s_and_saveexec_b32 s12, s3
	s_cbranch_execz .LBB1_979
; %bb.978:                              ;   in Loop: Header=BB1_975 Depth=2
	s_wait_loadcnt 0x0
	v_cmp_eq_u32_e32 vcc_lo, s6, v7
	v_cmp_eq_u32_e64 s0, s6, v9
	s_and_b32 s0, vcc_lo, s0
	s_delay_alu instid0(SALU_CYCLE_1)
	s_or_not1_b32 s0, s0, exec_lo
.LBB1_979:                              ;   in Loop: Header=BB1_975 Depth=2
	s_or_b32 exec_lo, exec_lo, s12
	s_delay_alu instid0(SALU_CYCLE_1) | instskip(NEXT) | instid1(SALU_CYCLE_1)
	s_and_b32 s0, exec_lo, s0
	s_or_b32 s1, s0, s1
	s_delay_alu instid0(SALU_CYCLE_1)
	s_and_not1_b32 exec_lo, exec_lo, s1
	s_cbranch_execnz .LBB1_975
; %bb.980:                              ;   in Loop: Header=BB1_975 Depth=2
	s_or_b32 exec_lo, exec_lo, s1
	s_wait_loadcnt 0x0
	v_dual_mov_b32 v7, v8 :: v_dual_mov_b32 v1, 0
	s_mov_b32 s1, 0
	s_delay_alu instid0(VALU_DEP_1) | instskip(SKIP_1) | instid1(SALU_CYCLE_1)
	v_cmp_eq_u64_e32 vcc_lo, s[6:7], v[6:7]
	s_or_b32 s14, vcc_lo, s14
	s_and_not1_b32 exec_lo, exec_lo, s14
	s_cbranch_execnz .LBB1_975
; %bb.981:                              ;   in Loop: Header=BB1_1 Depth=1
	s_or_b32 exec_lo, exec_lo, s14
	s_add_co_i32 s12, s2, 0x8c
	s_mov_b32 s14, 0
	s_mul_hi_u32 s0, s12, 0x10624dd3
	s_mov_b32 s15, s6
	s_lshr_b32 s3, s0, 6
	s_or_b64 s[0:1], s[14:15], s[6:7]
	s_mulk_i32 s3, 0x3e8
	v_dual_mov_b32 v2, s0 :: v_dual_mov_b32 v3, s1
	s_sub_co_i32 s3, s12, s3
	s_mov_b32 s1, s5
	s_lshl_b32 s0, s3, 12
	v_lshl_add_u64 v[6:7], s[4:5], 4, v[12:13]
	v_add_nc_u64_e32 v[14:15], s[0:1], v[10:11]
	v_dual_mov_b32 v5, s6 :: v_dual_mov_b32 v1, 0
	s_lshl_b32 s4, s3, 8
	s_mov_b32 s13, s5
	s_mov_b32 s1, s14
	global_store_b128 v[6:7], v[2:5], off th:TH_STORE_NT
.LBB1_982:                              ;   Parent Loop BB1_1 Depth=1
                                        ; =>  This Inner Loop Header: Depth=2
	s_wait_loadcnt 0x0
	global_load_b128 v[6:9], v[14:15], off th:TH_LOAD_NT
	v_add_nc_u32_e32 v1, 1, v1
	s_mov_b32 s0, -1
	s_mov_b32 s3, -1
	s_mov_b32 s6, exec_lo
	s_wait_xcnt 0x0
	v_cmpx_eq_u32_e32 0xf4240, v1
	s_cbranch_execz .LBB1_984
; %bb.983:                              ;   in Loop: Header=BB1_982 Depth=2
	s_wait_loadcnt 0x0
	s_wait_storecnt 0x0
	global_load_b32 v1, v4, s[10:11] scope:SCOPE_SYS
	s_wait_loadcnt 0x0
	global_inv scope:SCOPE_SYS
	v_cmp_eq_u32_e32 vcc_lo, 0, v1
	v_mov_b32_e32 v1, 0
	s_or_not1_b32 s3, vcc_lo, exec_lo
.LBB1_984:                              ;   in Loop: Header=BB1_982 Depth=2
	s_wait_xcnt 0x0
	s_or_b32 exec_lo, exec_lo, s6
	s_and_saveexec_b32 s6, s3
	s_cbranch_execz .LBB1_986
; %bb.985:                              ;   in Loop: Header=BB1_982 Depth=2
	s_wait_loadcnt 0x0
	v_cmp_eq_u32_e32 vcc_lo, s12, v7
	v_cmp_eq_u32_e64 s0, s12, v9
	s_and_b32 s0, vcc_lo, s0
	s_delay_alu instid0(SALU_CYCLE_1)
	s_or_not1_b32 s0, s0, exec_lo
.LBB1_986:                              ;   in Loop: Header=BB1_982 Depth=2
	s_or_b32 exec_lo, exec_lo, s6
	s_delay_alu instid0(SALU_CYCLE_1) | instskip(NEXT) | instid1(SALU_CYCLE_1)
	s_and_b32 s0, exec_lo, s0
	s_or_b32 s1, s0, s1
	s_delay_alu instid0(SALU_CYCLE_1)
	s_and_not1_b32 exec_lo, exec_lo, s1
	s_cbranch_execnz .LBB1_982
; %bb.987:                              ;   in Loop: Header=BB1_982 Depth=2
	s_or_b32 exec_lo, exec_lo, s1
	s_wait_loadcnt 0x0
	v_dual_mov_b32 v7, v8 :: v_dual_mov_b32 v1, 0
	s_mov_b32 s1, 0
	s_delay_alu instid0(VALU_DEP_1) | instskip(SKIP_1) | instid1(SALU_CYCLE_1)
	v_cmp_eq_u64_e32 vcc_lo, s[12:13], v[6:7]
	s_or_b32 s14, vcc_lo, s14
	s_and_not1_b32 exec_lo, exec_lo, s14
	s_cbranch_execnz .LBB1_982
; %bb.988:                              ;   in Loop: Header=BB1_1 Depth=1
	s_or_b32 exec_lo, exec_lo, s14
	s_add_co_i32 s6, s2, 0x8d
	s_mov_b32 s14, 0
	s_mul_hi_u32 s0, s6, 0x10624dd3
	s_mov_b32 s15, s12
	s_lshr_b32 s3, s0, 6
	s_or_b64 s[0:1], s[14:15], s[12:13]
	s_mulk_i32 s3, 0x3e8
	v_dual_mov_b32 v2, s0 :: v_dual_mov_b32 v3, s1
	s_sub_co_i32 s3, s6, s3
	s_mov_b32 s1, s5
	s_lshl_b32 s0, s3, 12
	v_lshl_add_u64 v[6:7], s[4:5], 4, v[12:13]
	v_add_nc_u64_e32 v[14:15], s[0:1], v[10:11]
	v_dual_mov_b32 v5, s12 :: v_dual_mov_b32 v1, 0
	s_lshl_b32 s4, s3, 8
	s_mov_b32 s7, s5
	s_mov_b32 s1, s14
	global_store_b128 v[6:7], v[2:5], off th:TH_STORE_NT
.LBB1_989:                              ;   Parent Loop BB1_1 Depth=1
                                        ; =>  This Inner Loop Header: Depth=2
	s_wait_loadcnt 0x0
	global_load_b128 v[6:9], v[14:15], off th:TH_LOAD_NT
	v_add_nc_u32_e32 v1, 1, v1
	s_mov_b32 s0, -1
	s_mov_b32 s3, -1
	s_mov_b32 s12, exec_lo
	s_wait_xcnt 0x0
	v_cmpx_eq_u32_e32 0xf4240, v1
	s_cbranch_execz .LBB1_991
; %bb.990:                              ;   in Loop: Header=BB1_989 Depth=2
	s_wait_loadcnt 0x0
	s_wait_storecnt 0x0
	global_load_b32 v1, v4, s[10:11] scope:SCOPE_SYS
	s_wait_loadcnt 0x0
	global_inv scope:SCOPE_SYS
	v_cmp_eq_u32_e32 vcc_lo, 0, v1
	v_mov_b32_e32 v1, 0
	s_or_not1_b32 s3, vcc_lo, exec_lo
.LBB1_991:                              ;   in Loop: Header=BB1_989 Depth=2
	s_wait_xcnt 0x0
	s_or_b32 exec_lo, exec_lo, s12
	s_and_saveexec_b32 s12, s3
	s_cbranch_execz .LBB1_993
; %bb.992:                              ;   in Loop: Header=BB1_989 Depth=2
	s_wait_loadcnt 0x0
	v_cmp_eq_u32_e32 vcc_lo, s6, v7
	v_cmp_eq_u32_e64 s0, s6, v9
	s_and_b32 s0, vcc_lo, s0
	s_delay_alu instid0(SALU_CYCLE_1)
	s_or_not1_b32 s0, s0, exec_lo
.LBB1_993:                              ;   in Loop: Header=BB1_989 Depth=2
	s_or_b32 exec_lo, exec_lo, s12
	s_delay_alu instid0(SALU_CYCLE_1) | instskip(NEXT) | instid1(SALU_CYCLE_1)
	s_and_b32 s0, exec_lo, s0
	s_or_b32 s1, s0, s1
	s_delay_alu instid0(SALU_CYCLE_1)
	s_and_not1_b32 exec_lo, exec_lo, s1
	s_cbranch_execnz .LBB1_989
; %bb.994:                              ;   in Loop: Header=BB1_989 Depth=2
	s_or_b32 exec_lo, exec_lo, s1
	s_wait_loadcnt 0x0
	v_dual_mov_b32 v7, v8 :: v_dual_mov_b32 v1, 0
	s_mov_b32 s1, 0
	s_delay_alu instid0(VALU_DEP_1) | instskip(SKIP_1) | instid1(SALU_CYCLE_1)
	v_cmp_eq_u64_e32 vcc_lo, s[6:7], v[6:7]
	s_or_b32 s14, vcc_lo, s14
	s_and_not1_b32 exec_lo, exec_lo, s14
	s_cbranch_execnz .LBB1_989
; %bb.995:                              ;   in Loop: Header=BB1_1 Depth=1
	s_or_b32 exec_lo, exec_lo, s14
	s_add_co_i32 s12, s2, 0x8e
	s_mov_b32 s14, 0
	s_mul_hi_u32 s0, s12, 0x10624dd3
	s_mov_b32 s15, s6
	s_lshr_b32 s3, s0, 6
	s_or_b64 s[0:1], s[14:15], s[6:7]
	s_mulk_i32 s3, 0x3e8
	v_dual_mov_b32 v2, s0 :: v_dual_mov_b32 v3, s1
	s_sub_co_i32 s3, s12, s3
	s_mov_b32 s1, s5
	s_lshl_b32 s0, s3, 12
	v_lshl_add_u64 v[6:7], s[4:5], 4, v[12:13]
	v_add_nc_u64_e32 v[14:15], s[0:1], v[10:11]
	v_dual_mov_b32 v5, s6 :: v_dual_mov_b32 v1, 0
	s_lshl_b32 s4, s3, 8
	s_mov_b32 s13, s5
	s_mov_b32 s1, s14
	global_store_b128 v[6:7], v[2:5], off th:TH_STORE_NT
.LBB1_996:                              ;   Parent Loop BB1_1 Depth=1
                                        ; =>  This Inner Loop Header: Depth=2
	s_wait_loadcnt 0x0
	global_load_b128 v[6:9], v[14:15], off th:TH_LOAD_NT
	v_add_nc_u32_e32 v1, 1, v1
	s_mov_b32 s0, -1
	s_mov_b32 s3, -1
	s_mov_b32 s6, exec_lo
	s_wait_xcnt 0x0
	v_cmpx_eq_u32_e32 0xf4240, v1
	s_cbranch_execz .LBB1_998
; %bb.997:                              ;   in Loop: Header=BB1_996 Depth=2
	s_wait_loadcnt 0x0
	s_wait_storecnt 0x0
	global_load_b32 v1, v4, s[10:11] scope:SCOPE_SYS
	s_wait_loadcnt 0x0
	global_inv scope:SCOPE_SYS
	v_cmp_eq_u32_e32 vcc_lo, 0, v1
	v_mov_b32_e32 v1, 0
	s_or_not1_b32 s3, vcc_lo, exec_lo
.LBB1_998:                              ;   in Loop: Header=BB1_996 Depth=2
	s_wait_xcnt 0x0
	s_or_b32 exec_lo, exec_lo, s6
	s_and_saveexec_b32 s6, s3
	s_cbranch_execz .LBB1_1000
; %bb.999:                              ;   in Loop: Header=BB1_996 Depth=2
	s_wait_loadcnt 0x0
	v_cmp_eq_u32_e32 vcc_lo, s12, v7
	v_cmp_eq_u32_e64 s0, s12, v9
	s_and_b32 s0, vcc_lo, s0
	s_delay_alu instid0(SALU_CYCLE_1)
	s_or_not1_b32 s0, s0, exec_lo
.LBB1_1000:                             ;   in Loop: Header=BB1_996 Depth=2
	s_or_b32 exec_lo, exec_lo, s6
	s_delay_alu instid0(SALU_CYCLE_1) | instskip(NEXT) | instid1(SALU_CYCLE_1)
	s_and_b32 s0, exec_lo, s0
	s_or_b32 s1, s0, s1
	s_delay_alu instid0(SALU_CYCLE_1)
	s_and_not1_b32 exec_lo, exec_lo, s1
	s_cbranch_execnz .LBB1_996
; %bb.1001:                             ;   in Loop: Header=BB1_996 Depth=2
	s_or_b32 exec_lo, exec_lo, s1
	s_wait_loadcnt 0x0
	v_dual_mov_b32 v7, v8 :: v_dual_mov_b32 v1, 0
	s_mov_b32 s1, 0
	s_delay_alu instid0(VALU_DEP_1) | instskip(SKIP_1) | instid1(SALU_CYCLE_1)
	v_cmp_eq_u64_e32 vcc_lo, s[12:13], v[6:7]
	s_or_b32 s14, vcc_lo, s14
	s_and_not1_b32 exec_lo, exec_lo, s14
	s_cbranch_execnz .LBB1_996
; %bb.1002:                             ;   in Loop: Header=BB1_1 Depth=1
	s_or_b32 exec_lo, exec_lo, s14
	s_add_co_i32 s6, s2, 0x8f
	s_mov_b32 s14, 0
	s_mul_hi_u32 s0, s6, 0x10624dd3
	s_mov_b32 s15, s12
	s_lshr_b32 s3, s0, 6
	s_or_b64 s[0:1], s[14:15], s[12:13]
	s_mulk_i32 s3, 0x3e8
	v_dual_mov_b32 v2, s0 :: v_dual_mov_b32 v3, s1
	s_sub_co_i32 s3, s6, s3
	s_mov_b32 s1, s5
	s_lshl_b32 s0, s3, 12
	v_lshl_add_u64 v[6:7], s[4:5], 4, v[12:13]
	v_add_nc_u64_e32 v[14:15], s[0:1], v[10:11]
	v_dual_mov_b32 v5, s12 :: v_dual_mov_b32 v1, 0
	s_lshl_b32 s4, s3, 8
	s_mov_b32 s7, s5
	s_mov_b32 s1, s14
	global_store_b128 v[6:7], v[2:5], off th:TH_STORE_NT
.LBB1_1003:                             ;   Parent Loop BB1_1 Depth=1
                                        ; =>  This Inner Loop Header: Depth=2
	s_wait_loadcnt 0x0
	global_load_b128 v[6:9], v[14:15], off th:TH_LOAD_NT
	v_add_nc_u32_e32 v1, 1, v1
	s_mov_b32 s0, -1
	s_mov_b32 s3, -1
	s_mov_b32 s12, exec_lo
	s_wait_xcnt 0x0
	v_cmpx_eq_u32_e32 0xf4240, v1
	s_cbranch_execz .LBB1_1005
; %bb.1004:                             ;   in Loop: Header=BB1_1003 Depth=2
	s_wait_loadcnt 0x0
	s_wait_storecnt 0x0
	global_load_b32 v1, v4, s[10:11] scope:SCOPE_SYS
	s_wait_loadcnt 0x0
	global_inv scope:SCOPE_SYS
	v_cmp_eq_u32_e32 vcc_lo, 0, v1
	v_mov_b32_e32 v1, 0
	s_or_not1_b32 s3, vcc_lo, exec_lo
.LBB1_1005:                             ;   in Loop: Header=BB1_1003 Depth=2
	s_wait_xcnt 0x0
	s_or_b32 exec_lo, exec_lo, s12
	s_and_saveexec_b32 s12, s3
	s_cbranch_execz .LBB1_1007
; %bb.1006:                             ;   in Loop: Header=BB1_1003 Depth=2
	s_wait_loadcnt 0x0
	v_cmp_eq_u32_e32 vcc_lo, s6, v7
	v_cmp_eq_u32_e64 s0, s6, v9
	s_and_b32 s0, vcc_lo, s0
	s_delay_alu instid0(SALU_CYCLE_1)
	s_or_not1_b32 s0, s0, exec_lo
.LBB1_1007:                             ;   in Loop: Header=BB1_1003 Depth=2
	s_or_b32 exec_lo, exec_lo, s12
	s_delay_alu instid0(SALU_CYCLE_1) | instskip(NEXT) | instid1(SALU_CYCLE_1)
	s_and_b32 s0, exec_lo, s0
	s_or_b32 s1, s0, s1
	s_delay_alu instid0(SALU_CYCLE_1)
	s_and_not1_b32 exec_lo, exec_lo, s1
	s_cbranch_execnz .LBB1_1003
; %bb.1008:                             ;   in Loop: Header=BB1_1003 Depth=2
	s_or_b32 exec_lo, exec_lo, s1
	s_wait_loadcnt 0x0
	v_dual_mov_b32 v7, v8 :: v_dual_mov_b32 v1, 0
	s_mov_b32 s1, 0
	s_delay_alu instid0(VALU_DEP_1) | instskip(SKIP_1) | instid1(SALU_CYCLE_1)
	v_cmp_eq_u64_e32 vcc_lo, s[6:7], v[6:7]
	s_or_b32 s14, vcc_lo, s14
	s_and_not1_b32 exec_lo, exec_lo, s14
	s_cbranch_execnz .LBB1_1003
; %bb.1009:                             ;   in Loop: Header=BB1_1 Depth=1
	s_or_b32 exec_lo, exec_lo, s14
	s_add_co_i32 s12, s2, 0x90
	s_mov_b32 s14, 0
	s_mul_hi_u32 s0, s12, 0x10624dd3
	s_mov_b32 s15, s6
	s_lshr_b32 s3, s0, 6
	s_or_b64 s[0:1], s[14:15], s[6:7]
	s_mulk_i32 s3, 0x3e8
	v_dual_mov_b32 v2, s0 :: v_dual_mov_b32 v3, s1
	s_sub_co_i32 s3, s12, s3
	s_mov_b32 s1, s5
	s_lshl_b32 s0, s3, 12
	v_lshl_add_u64 v[6:7], s[4:5], 4, v[12:13]
	v_add_nc_u64_e32 v[14:15], s[0:1], v[10:11]
	v_dual_mov_b32 v5, s6 :: v_dual_mov_b32 v1, 0
	s_lshl_b32 s4, s3, 8
	s_mov_b32 s13, s5
	s_mov_b32 s1, s14
	global_store_b128 v[6:7], v[2:5], off th:TH_STORE_NT
.LBB1_1010:                             ;   Parent Loop BB1_1 Depth=1
                                        ; =>  This Inner Loop Header: Depth=2
	s_wait_loadcnt 0x0
	global_load_b128 v[6:9], v[14:15], off th:TH_LOAD_NT
	v_add_nc_u32_e32 v1, 1, v1
	s_mov_b32 s0, -1
	s_mov_b32 s3, -1
	s_mov_b32 s6, exec_lo
	s_wait_xcnt 0x0
	v_cmpx_eq_u32_e32 0xf4240, v1
	s_cbranch_execz .LBB1_1012
; %bb.1011:                             ;   in Loop: Header=BB1_1010 Depth=2
	s_wait_loadcnt 0x0
	s_wait_storecnt 0x0
	global_load_b32 v1, v4, s[10:11] scope:SCOPE_SYS
	s_wait_loadcnt 0x0
	global_inv scope:SCOPE_SYS
	v_cmp_eq_u32_e32 vcc_lo, 0, v1
	v_mov_b32_e32 v1, 0
	s_or_not1_b32 s3, vcc_lo, exec_lo
.LBB1_1012:                             ;   in Loop: Header=BB1_1010 Depth=2
	s_wait_xcnt 0x0
	s_or_b32 exec_lo, exec_lo, s6
	s_and_saveexec_b32 s6, s3
	s_cbranch_execz .LBB1_1014
; %bb.1013:                             ;   in Loop: Header=BB1_1010 Depth=2
	s_wait_loadcnt 0x0
	v_cmp_eq_u32_e32 vcc_lo, s12, v7
	v_cmp_eq_u32_e64 s0, s12, v9
	s_and_b32 s0, vcc_lo, s0
	s_delay_alu instid0(SALU_CYCLE_1)
	s_or_not1_b32 s0, s0, exec_lo
.LBB1_1014:                             ;   in Loop: Header=BB1_1010 Depth=2
	s_or_b32 exec_lo, exec_lo, s6
	s_delay_alu instid0(SALU_CYCLE_1) | instskip(NEXT) | instid1(SALU_CYCLE_1)
	s_and_b32 s0, exec_lo, s0
	s_or_b32 s1, s0, s1
	s_delay_alu instid0(SALU_CYCLE_1)
	s_and_not1_b32 exec_lo, exec_lo, s1
	s_cbranch_execnz .LBB1_1010
; %bb.1015:                             ;   in Loop: Header=BB1_1010 Depth=2
	s_or_b32 exec_lo, exec_lo, s1
	s_wait_loadcnt 0x0
	v_dual_mov_b32 v7, v8 :: v_dual_mov_b32 v1, 0
	s_mov_b32 s1, 0
	s_delay_alu instid0(VALU_DEP_1) | instskip(SKIP_1) | instid1(SALU_CYCLE_1)
	v_cmp_eq_u64_e32 vcc_lo, s[12:13], v[6:7]
	s_or_b32 s14, vcc_lo, s14
	s_and_not1_b32 exec_lo, exec_lo, s14
	s_cbranch_execnz .LBB1_1010
; %bb.1016:                             ;   in Loop: Header=BB1_1 Depth=1
	s_or_b32 exec_lo, exec_lo, s14
	s_add_co_i32 s6, s2, 0x91
	s_mov_b32 s14, 0
	s_mul_hi_u32 s0, s6, 0x10624dd3
	s_mov_b32 s15, s12
	s_lshr_b32 s3, s0, 6
	s_or_b64 s[0:1], s[14:15], s[12:13]
	s_mulk_i32 s3, 0x3e8
	v_dual_mov_b32 v2, s0 :: v_dual_mov_b32 v3, s1
	s_sub_co_i32 s3, s6, s3
	s_mov_b32 s1, s5
	s_lshl_b32 s0, s3, 12
	v_lshl_add_u64 v[6:7], s[4:5], 4, v[12:13]
	v_add_nc_u64_e32 v[14:15], s[0:1], v[10:11]
	v_dual_mov_b32 v5, s12 :: v_dual_mov_b32 v1, 0
	s_lshl_b32 s4, s3, 8
	s_mov_b32 s7, s5
	s_mov_b32 s1, s14
	global_store_b128 v[6:7], v[2:5], off th:TH_STORE_NT
.LBB1_1017:                             ;   Parent Loop BB1_1 Depth=1
                                        ; =>  This Inner Loop Header: Depth=2
	s_wait_loadcnt 0x0
	global_load_b128 v[6:9], v[14:15], off th:TH_LOAD_NT
	v_add_nc_u32_e32 v1, 1, v1
	s_mov_b32 s0, -1
	s_mov_b32 s3, -1
	s_mov_b32 s12, exec_lo
	s_wait_xcnt 0x0
	v_cmpx_eq_u32_e32 0xf4240, v1
	s_cbranch_execz .LBB1_1019
; %bb.1018:                             ;   in Loop: Header=BB1_1017 Depth=2
	s_wait_loadcnt 0x0
	s_wait_storecnt 0x0
	global_load_b32 v1, v4, s[10:11] scope:SCOPE_SYS
	s_wait_loadcnt 0x0
	global_inv scope:SCOPE_SYS
	v_cmp_eq_u32_e32 vcc_lo, 0, v1
	v_mov_b32_e32 v1, 0
	s_or_not1_b32 s3, vcc_lo, exec_lo
.LBB1_1019:                             ;   in Loop: Header=BB1_1017 Depth=2
	s_wait_xcnt 0x0
	s_or_b32 exec_lo, exec_lo, s12
	s_and_saveexec_b32 s12, s3
	s_cbranch_execz .LBB1_1021
; %bb.1020:                             ;   in Loop: Header=BB1_1017 Depth=2
	s_wait_loadcnt 0x0
	v_cmp_eq_u32_e32 vcc_lo, s6, v7
	v_cmp_eq_u32_e64 s0, s6, v9
	s_and_b32 s0, vcc_lo, s0
	s_delay_alu instid0(SALU_CYCLE_1)
	s_or_not1_b32 s0, s0, exec_lo
.LBB1_1021:                             ;   in Loop: Header=BB1_1017 Depth=2
	s_or_b32 exec_lo, exec_lo, s12
	s_delay_alu instid0(SALU_CYCLE_1) | instskip(NEXT) | instid1(SALU_CYCLE_1)
	s_and_b32 s0, exec_lo, s0
	s_or_b32 s1, s0, s1
	s_delay_alu instid0(SALU_CYCLE_1)
	s_and_not1_b32 exec_lo, exec_lo, s1
	s_cbranch_execnz .LBB1_1017
; %bb.1022:                             ;   in Loop: Header=BB1_1017 Depth=2
	s_or_b32 exec_lo, exec_lo, s1
	s_wait_loadcnt 0x0
	v_dual_mov_b32 v7, v8 :: v_dual_mov_b32 v1, 0
	s_mov_b32 s1, 0
	s_delay_alu instid0(VALU_DEP_1) | instskip(SKIP_1) | instid1(SALU_CYCLE_1)
	v_cmp_eq_u64_e32 vcc_lo, s[6:7], v[6:7]
	s_or_b32 s14, vcc_lo, s14
	s_and_not1_b32 exec_lo, exec_lo, s14
	s_cbranch_execnz .LBB1_1017
; %bb.1023:                             ;   in Loop: Header=BB1_1 Depth=1
	s_or_b32 exec_lo, exec_lo, s14
	s_add_co_i32 s12, s2, 0x92
	s_mov_b32 s14, 0
	s_mul_hi_u32 s0, s12, 0x10624dd3
	s_mov_b32 s15, s6
	s_lshr_b32 s3, s0, 6
	s_or_b64 s[0:1], s[14:15], s[6:7]
	s_mulk_i32 s3, 0x3e8
	v_dual_mov_b32 v2, s0 :: v_dual_mov_b32 v3, s1
	s_sub_co_i32 s3, s12, s3
	s_mov_b32 s1, s5
	s_lshl_b32 s0, s3, 12
	v_lshl_add_u64 v[6:7], s[4:5], 4, v[12:13]
	v_add_nc_u64_e32 v[14:15], s[0:1], v[10:11]
	v_dual_mov_b32 v5, s6 :: v_dual_mov_b32 v1, 0
	s_lshl_b32 s4, s3, 8
	s_mov_b32 s13, s5
	s_mov_b32 s1, s14
	global_store_b128 v[6:7], v[2:5], off th:TH_STORE_NT
.LBB1_1024:                             ;   Parent Loop BB1_1 Depth=1
                                        ; =>  This Inner Loop Header: Depth=2
	s_wait_loadcnt 0x0
	global_load_b128 v[6:9], v[14:15], off th:TH_LOAD_NT
	v_add_nc_u32_e32 v1, 1, v1
	s_mov_b32 s0, -1
	s_mov_b32 s3, -1
	s_mov_b32 s6, exec_lo
	s_wait_xcnt 0x0
	v_cmpx_eq_u32_e32 0xf4240, v1
	s_cbranch_execz .LBB1_1026
; %bb.1025:                             ;   in Loop: Header=BB1_1024 Depth=2
	s_wait_loadcnt 0x0
	s_wait_storecnt 0x0
	global_load_b32 v1, v4, s[10:11] scope:SCOPE_SYS
	s_wait_loadcnt 0x0
	global_inv scope:SCOPE_SYS
	v_cmp_eq_u32_e32 vcc_lo, 0, v1
	v_mov_b32_e32 v1, 0
	s_or_not1_b32 s3, vcc_lo, exec_lo
.LBB1_1026:                             ;   in Loop: Header=BB1_1024 Depth=2
	s_wait_xcnt 0x0
	s_or_b32 exec_lo, exec_lo, s6
	s_and_saveexec_b32 s6, s3
	s_cbranch_execz .LBB1_1028
; %bb.1027:                             ;   in Loop: Header=BB1_1024 Depth=2
	s_wait_loadcnt 0x0
	v_cmp_eq_u32_e32 vcc_lo, s12, v7
	v_cmp_eq_u32_e64 s0, s12, v9
	s_and_b32 s0, vcc_lo, s0
	s_delay_alu instid0(SALU_CYCLE_1)
	s_or_not1_b32 s0, s0, exec_lo
.LBB1_1028:                             ;   in Loop: Header=BB1_1024 Depth=2
	s_or_b32 exec_lo, exec_lo, s6
	s_delay_alu instid0(SALU_CYCLE_1) | instskip(NEXT) | instid1(SALU_CYCLE_1)
	s_and_b32 s0, exec_lo, s0
	s_or_b32 s1, s0, s1
	s_delay_alu instid0(SALU_CYCLE_1)
	s_and_not1_b32 exec_lo, exec_lo, s1
	s_cbranch_execnz .LBB1_1024
; %bb.1029:                             ;   in Loop: Header=BB1_1024 Depth=2
	s_or_b32 exec_lo, exec_lo, s1
	s_wait_loadcnt 0x0
	v_dual_mov_b32 v7, v8 :: v_dual_mov_b32 v1, 0
	s_mov_b32 s1, 0
	s_delay_alu instid0(VALU_DEP_1) | instskip(SKIP_1) | instid1(SALU_CYCLE_1)
	v_cmp_eq_u64_e32 vcc_lo, s[12:13], v[6:7]
	s_or_b32 s14, vcc_lo, s14
	s_and_not1_b32 exec_lo, exec_lo, s14
	s_cbranch_execnz .LBB1_1024
; %bb.1030:                             ;   in Loop: Header=BB1_1 Depth=1
	s_or_b32 exec_lo, exec_lo, s14
	s_add_co_i32 s6, s2, 0x93
	s_mov_b32 s14, 0
	s_mul_hi_u32 s0, s6, 0x10624dd3
	s_mov_b32 s15, s12
	s_lshr_b32 s3, s0, 6
	s_or_b64 s[0:1], s[14:15], s[12:13]
	s_mulk_i32 s3, 0x3e8
	v_dual_mov_b32 v2, s0 :: v_dual_mov_b32 v3, s1
	s_sub_co_i32 s3, s6, s3
	s_mov_b32 s1, s5
	s_lshl_b32 s0, s3, 12
	v_lshl_add_u64 v[6:7], s[4:5], 4, v[12:13]
	v_add_nc_u64_e32 v[14:15], s[0:1], v[10:11]
	v_dual_mov_b32 v5, s12 :: v_dual_mov_b32 v1, 0
	s_lshl_b32 s4, s3, 8
	s_mov_b32 s7, s5
	s_mov_b32 s1, s14
	global_store_b128 v[6:7], v[2:5], off th:TH_STORE_NT
.LBB1_1031:                             ;   Parent Loop BB1_1 Depth=1
                                        ; =>  This Inner Loop Header: Depth=2
	s_wait_loadcnt 0x0
	global_load_b128 v[6:9], v[14:15], off th:TH_LOAD_NT
	v_add_nc_u32_e32 v1, 1, v1
	s_mov_b32 s0, -1
	s_mov_b32 s3, -1
	s_mov_b32 s12, exec_lo
	s_wait_xcnt 0x0
	v_cmpx_eq_u32_e32 0xf4240, v1
	s_cbranch_execz .LBB1_1033
; %bb.1032:                             ;   in Loop: Header=BB1_1031 Depth=2
	s_wait_loadcnt 0x0
	s_wait_storecnt 0x0
	global_load_b32 v1, v4, s[10:11] scope:SCOPE_SYS
	s_wait_loadcnt 0x0
	global_inv scope:SCOPE_SYS
	v_cmp_eq_u32_e32 vcc_lo, 0, v1
	v_mov_b32_e32 v1, 0
	s_or_not1_b32 s3, vcc_lo, exec_lo
.LBB1_1033:                             ;   in Loop: Header=BB1_1031 Depth=2
	s_wait_xcnt 0x0
	s_or_b32 exec_lo, exec_lo, s12
	s_and_saveexec_b32 s12, s3
	s_cbranch_execz .LBB1_1035
; %bb.1034:                             ;   in Loop: Header=BB1_1031 Depth=2
	s_wait_loadcnt 0x0
	v_cmp_eq_u32_e32 vcc_lo, s6, v7
	v_cmp_eq_u32_e64 s0, s6, v9
	s_and_b32 s0, vcc_lo, s0
	s_delay_alu instid0(SALU_CYCLE_1)
	s_or_not1_b32 s0, s0, exec_lo
.LBB1_1035:                             ;   in Loop: Header=BB1_1031 Depth=2
	s_or_b32 exec_lo, exec_lo, s12
	s_delay_alu instid0(SALU_CYCLE_1) | instskip(NEXT) | instid1(SALU_CYCLE_1)
	s_and_b32 s0, exec_lo, s0
	s_or_b32 s1, s0, s1
	s_delay_alu instid0(SALU_CYCLE_1)
	s_and_not1_b32 exec_lo, exec_lo, s1
	s_cbranch_execnz .LBB1_1031
; %bb.1036:                             ;   in Loop: Header=BB1_1031 Depth=2
	s_or_b32 exec_lo, exec_lo, s1
	s_wait_loadcnt 0x0
	v_dual_mov_b32 v7, v8 :: v_dual_mov_b32 v1, 0
	s_mov_b32 s1, 0
	s_delay_alu instid0(VALU_DEP_1) | instskip(SKIP_1) | instid1(SALU_CYCLE_1)
	v_cmp_eq_u64_e32 vcc_lo, s[6:7], v[6:7]
	s_or_b32 s14, vcc_lo, s14
	s_and_not1_b32 exec_lo, exec_lo, s14
	s_cbranch_execnz .LBB1_1031
; %bb.1037:                             ;   in Loop: Header=BB1_1 Depth=1
	s_or_b32 exec_lo, exec_lo, s14
	s_add_co_i32 s12, s2, 0x94
	s_mov_b32 s14, 0
	s_mul_hi_u32 s0, s12, 0x10624dd3
	s_mov_b32 s15, s6
	s_lshr_b32 s3, s0, 6
	s_or_b64 s[0:1], s[14:15], s[6:7]
	s_mulk_i32 s3, 0x3e8
	v_dual_mov_b32 v2, s0 :: v_dual_mov_b32 v3, s1
	s_sub_co_i32 s3, s12, s3
	s_mov_b32 s1, s5
	s_lshl_b32 s0, s3, 12
	v_lshl_add_u64 v[6:7], s[4:5], 4, v[12:13]
	v_add_nc_u64_e32 v[14:15], s[0:1], v[10:11]
	v_dual_mov_b32 v5, s6 :: v_dual_mov_b32 v1, 0
	s_lshl_b32 s4, s3, 8
	s_mov_b32 s13, s5
	s_mov_b32 s1, s14
	global_store_b128 v[6:7], v[2:5], off th:TH_STORE_NT
.LBB1_1038:                             ;   Parent Loop BB1_1 Depth=1
                                        ; =>  This Inner Loop Header: Depth=2
	s_wait_loadcnt 0x0
	global_load_b128 v[6:9], v[14:15], off th:TH_LOAD_NT
	v_add_nc_u32_e32 v1, 1, v1
	s_mov_b32 s0, -1
	s_mov_b32 s3, -1
	s_mov_b32 s6, exec_lo
	s_wait_xcnt 0x0
	v_cmpx_eq_u32_e32 0xf4240, v1
	s_cbranch_execz .LBB1_1040
; %bb.1039:                             ;   in Loop: Header=BB1_1038 Depth=2
	s_wait_loadcnt 0x0
	s_wait_storecnt 0x0
	global_load_b32 v1, v4, s[10:11] scope:SCOPE_SYS
	s_wait_loadcnt 0x0
	global_inv scope:SCOPE_SYS
	v_cmp_eq_u32_e32 vcc_lo, 0, v1
	v_mov_b32_e32 v1, 0
	s_or_not1_b32 s3, vcc_lo, exec_lo
.LBB1_1040:                             ;   in Loop: Header=BB1_1038 Depth=2
	s_wait_xcnt 0x0
	s_or_b32 exec_lo, exec_lo, s6
	s_and_saveexec_b32 s6, s3
	s_cbranch_execz .LBB1_1042
; %bb.1041:                             ;   in Loop: Header=BB1_1038 Depth=2
	s_wait_loadcnt 0x0
	v_cmp_eq_u32_e32 vcc_lo, s12, v7
	v_cmp_eq_u32_e64 s0, s12, v9
	s_and_b32 s0, vcc_lo, s0
	s_delay_alu instid0(SALU_CYCLE_1)
	s_or_not1_b32 s0, s0, exec_lo
.LBB1_1042:                             ;   in Loop: Header=BB1_1038 Depth=2
	s_or_b32 exec_lo, exec_lo, s6
	s_delay_alu instid0(SALU_CYCLE_1) | instskip(NEXT) | instid1(SALU_CYCLE_1)
	s_and_b32 s0, exec_lo, s0
	s_or_b32 s1, s0, s1
	s_delay_alu instid0(SALU_CYCLE_1)
	s_and_not1_b32 exec_lo, exec_lo, s1
	s_cbranch_execnz .LBB1_1038
; %bb.1043:                             ;   in Loop: Header=BB1_1038 Depth=2
	s_or_b32 exec_lo, exec_lo, s1
	s_wait_loadcnt 0x0
	v_dual_mov_b32 v7, v8 :: v_dual_mov_b32 v1, 0
	s_mov_b32 s1, 0
	s_delay_alu instid0(VALU_DEP_1) | instskip(SKIP_1) | instid1(SALU_CYCLE_1)
	v_cmp_eq_u64_e32 vcc_lo, s[12:13], v[6:7]
	s_or_b32 s14, vcc_lo, s14
	s_and_not1_b32 exec_lo, exec_lo, s14
	s_cbranch_execnz .LBB1_1038
; %bb.1044:                             ;   in Loop: Header=BB1_1 Depth=1
	s_or_b32 exec_lo, exec_lo, s14
	s_add_co_i32 s6, s2, 0x95
	s_mov_b32 s14, 0
	s_mul_hi_u32 s0, s6, 0x10624dd3
	s_mov_b32 s15, s12
	s_lshr_b32 s3, s0, 6
	s_or_b64 s[0:1], s[14:15], s[12:13]
	s_mulk_i32 s3, 0x3e8
	v_dual_mov_b32 v2, s0 :: v_dual_mov_b32 v3, s1
	s_sub_co_i32 s3, s6, s3
	s_mov_b32 s1, s5
	s_lshl_b32 s0, s3, 12
	v_lshl_add_u64 v[6:7], s[4:5], 4, v[12:13]
	v_add_nc_u64_e32 v[14:15], s[0:1], v[10:11]
	v_dual_mov_b32 v5, s12 :: v_dual_mov_b32 v1, 0
	s_lshl_b32 s4, s3, 8
	s_mov_b32 s7, s5
	s_mov_b32 s1, s14
	global_store_b128 v[6:7], v[2:5], off th:TH_STORE_NT
.LBB1_1045:                             ;   Parent Loop BB1_1 Depth=1
                                        ; =>  This Inner Loop Header: Depth=2
	s_wait_loadcnt 0x0
	global_load_b128 v[6:9], v[14:15], off th:TH_LOAD_NT
	v_add_nc_u32_e32 v1, 1, v1
	s_mov_b32 s0, -1
	s_mov_b32 s3, -1
	s_mov_b32 s12, exec_lo
	s_wait_xcnt 0x0
	v_cmpx_eq_u32_e32 0xf4240, v1
	s_cbranch_execz .LBB1_1047
; %bb.1046:                             ;   in Loop: Header=BB1_1045 Depth=2
	s_wait_loadcnt 0x0
	s_wait_storecnt 0x0
	global_load_b32 v1, v4, s[10:11] scope:SCOPE_SYS
	s_wait_loadcnt 0x0
	global_inv scope:SCOPE_SYS
	v_cmp_eq_u32_e32 vcc_lo, 0, v1
	v_mov_b32_e32 v1, 0
	s_or_not1_b32 s3, vcc_lo, exec_lo
.LBB1_1047:                             ;   in Loop: Header=BB1_1045 Depth=2
	s_wait_xcnt 0x0
	s_or_b32 exec_lo, exec_lo, s12
	s_and_saveexec_b32 s12, s3
	s_cbranch_execz .LBB1_1049
; %bb.1048:                             ;   in Loop: Header=BB1_1045 Depth=2
	s_wait_loadcnt 0x0
	v_cmp_eq_u32_e32 vcc_lo, s6, v7
	v_cmp_eq_u32_e64 s0, s6, v9
	s_and_b32 s0, vcc_lo, s0
	s_delay_alu instid0(SALU_CYCLE_1)
	s_or_not1_b32 s0, s0, exec_lo
.LBB1_1049:                             ;   in Loop: Header=BB1_1045 Depth=2
	s_or_b32 exec_lo, exec_lo, s12
	s_delay_alu instid0(SALU_CYCLE_1) | instskip(NEXT) | instid1(SALU_CYCLE_1)
	s_and_b32 s0, exec_lo, s0
	s_or_b32 s1, s0, s1
	s_delay_alu instid0(SALU_CYCLE_1)
	s_and_not1_b32 exec_lo, exec_lo, s1
	s_cbranch_execnz .LBB1_1045
; %bb.1050:                             ;   in Loop: Header=BB1_1045 Depth=2
	s_or_b32 exec_lo, exec_lo, s1
	s_wait_loadcnt 0x0
	v_dual_mov_b32 v7, v8 :: v_dual_mov_b32 v1, 0
	s_mov_b32 s1, 0
	s_delay_alu instid0(VALU_DEP_1) | instskip(SKIP_1) | instid1(SALU_CYCLE_1)
	v_cmp_eq_u64_e32 vcc_lo, s[6:7], v[6:7]
	s_or_b32 s14, vcc_lo, s14
	s_and_not1_b32 exec_lo, exec_lo, s14
	s_cbranch_execnz .LBB1_1045
; %bb.1051:                             ;   in Loop: Header=BB1_1 Depth=1
	s_or_b32 exec_lo, exec_lo, s14
	s_add_co_i32 s12, s2, 0x96
	s_mov_b32 s14, 0
	s_mul_hi_u32 s0, s12, 0x10624dd3
	s_mov_b32 s15, s6
	s_lshr_b32 s3, s0, 6
	s_or_b64 s[0:1], s[14:15], s[6:7]
	s_mulk_i32 s3, 0x3e8
	v_dual_mov_b32 v2, s0 :: v_dual_mov_b32 v3, s1
	s_sub_co_i32 s3, s12, s3
	s_mov_b32 s1, s5
	s_lshl_b32 s0, s3, 12
	v_lshl_add_u64 v[6:7], s[4:5], 4, v[12:13]
	v_add_nc_u64_e32 v[14:15], s[0:1], v[10:11]
	v_dual_mov_b32 v5, s6 :: v_dual_mov_b32 v1, 0
	s_lshl_b32 s4, s3, 8
	s_mov_b32 s13, s5
	s_mov_b32 s1, s14
	global_store_b128 v[6:7], v[2:5], off th:TH_STORE_NT
.LBB1_1052:                             ;   Parent Loop BB1_1 Depth=1
                                        ; =>  This Inner Loop Header: Depth=2
	s_wait_loadcnt 0x0
	global_load_b128 v[6:9], v[14:15], off th:TH_LOAD_NT
	v_add_nc_u32_e32 v1, 1, v1
	s_mov_b32 s0, -1
	s_mov_b32 s3, -1
	s_mov_b32 s6, exec_lo
	s_wait_xcnt 0x0
	v_cmpx_eq_u32_e32 0xf4240, v1
	s_cbranch_execz .LBB1_1054
; %bb.1053:                             ;   in Loop: Header=BB1_1052 Depth=2
	s_wait_loadcnt 0x0
	s_wait_storecnt 0x0
	global_load_b32 v1, v4, s[10:11] scope:SCOPE_SYS
	s_wait_loadcnt 0x0
	global_inv scope:SCOPE_SYS
	v_cmp_eq_u32_e32 vcc_lo, 0, v1
	v_mov_b32_e32 v1, 0
	s_or_not1_b32 s3, vcc_lo, exec_lo
.LBB1_1054:                             ;   in Loop: Header=BB1_1052 Depth=2
	s_wait_xcnt 0x0
	s_or_b32 exec_lo, exec_lo, s6
	s_and_saveexec_b32 s6, s3
	s_cbranch_execz .LBB1_1056
; %bb.1055:                             ;   in Loop: Header=BB1_1052 Depth=2
	s_wait_loadcnt 0x0
	v_cmp_eq_u32_e32 vcc_lo, s12, v7
	v_cmp_eq_u32_e64 s0, s12, v9
	s_and_b32 s0, vcc_lo, s0
	s_delay_alu instid0(SALU_CYCLE_1)
	s_or_not1_b32 s0, s0, exec_lo
.LBB1_1056:                             ;   in Loop: Header=BB1_1052 Depth=2
	s_or_b32 exec_lo, exec_lo, s6
	s_delay_alu instid0(SALU_CYCLE_1) | instskip(NEXT) | instid1(SALU_CYCLE_1)
	s_and_b32 s0, exec_lo, s0
	s_or_b32 s1, s0, s1
	s_delay_alu instid0(SALU_CYCLE_1)
	s_and_not1_b32 exec_lo, exec_lo, s1
	s_cbranch_execnz .LBB1_1052
; %bb.1057:                             ;   in Loop: Header=BB1_1052 Depth=2
	s_or_b32 exec_lo, exec_lo, s1
	s_wait_loadcnt 0x0
	v_dual_mov_b32 v7, v8 :: v_dual_mov_b32 v1, 0
	s_mov_b32 s1, 0
	s_delay_alu instid0(VALU_DEP_1) | instskip(SKIP_1) | instid1(SALU_CYCLE_1)
	v_cmp_eq_u64_e32 vcc_lo, s[12:13], v[6:7]
	s_or_b32 s14, vcc_lo, s14
	s_and_not1_b32 exec_lo, exec_lo, s14
	s_cbranch_execnz .LBB1_1052
; %bb.1058:                             ;   in Loop: Header=BB1_1 Depth=1
	s_or_b32 exec_lo, exec_lo, s14
	s_add_co_i32 s6, s2, 0x97
	s_mov_b32 s14, 0
	s_mul_hi_u32 s0, s6, 0x10624dd3
	s_mov_b32 s15, s12
	s_lshr_b32 s3, s0, 6
	s_or_b64 s[0:1], s[14:15], s[12:13]
	s_mulk_i32 s3, 0x3e8
	v_dual_mov_b32 v2, s0 :: v_dual_mov_b32 v3, s1
	s_sub_co_i32 s3, s6, s3
	s_mov_b32 s1, s5
	s_lshl_b32 s0, s3, 12
	v_lshl_add_u64 v[6:7], s[4:5], 4, v[12:13]
	v_add_nc_u64_e32 v[14:15], s[0:1], v[10:11]
	v_dual_mov_b32 v5, s12 :: v_dual_mov_b32 v1, 0
	s_lshl_b32 s4, s3, 8
	s_mov_b32 s7, s5
	s_mov_b32 s1, s14
	global_store_b128 v[6:7], v[2:5], off th:TH_STORE_NT
.LBB1_1059:                             ;   Parent Loop BB1_1 Depth=1
                                        ; =>  This Inner Loop Header: Depth=2
	s_wait_loadcnt 0x0
	global_load_b128 v[6:9], v[14:15], off th:TH_LOAD_NT
	v_add_nc_u32_e32 v1, 1, v1
	s_mov_b32 s0, -1
	s_mov_b32 s3, -1
	s_mov_b32 s12, exec_lo
	s_wait_xcnt 0x0
	v_cmpx_eq_u32_e32 0xf4240, v1
	s_cbranch_execz .LBB1_1061
; %bb.1060:                             ;   in Loop: Header=BB1_1059 Depth=2
	s_wait_loadcnt 0x0
	s_wait_storecnt 0x0
	global_load_b32 v1, v4, s[10:11] scope:SCOPE_SYS
	s_wait_loadcnt 0x0
	global_inv scope:SCOPE_SYS
	v_cmp_eq_u32_e32 vcc_lo, 0, v1
	v_mov_b32_e32 v1, 0
	s_or_not1_b32 s3, vcc_lo, exec_lo
.LBB1_1061:                             ;   in Loop: Header=BB1_1059 Depth=2
	s_wait_xcnt 0x0
	s_or_b32 exec_lo, exec_lo, s12
	s_and_saveexec_b32 s12, s3
	s_cbranch_execz .LBB1_1063
; %bb.1062:                             ;   in Loop: Header=BB1_1059 Depth=2
	s_wait_loadcnt 0x0
	v_cmp_eq_u32_e32 vcc_lo, s6, v7
	v_cmp_eq_u32_e64 s0, s6, v9
	s_and_b32 s0, vcc_lo, s0
	s_delay_alu instid0(SALU_CYCLE_1)
	s_or_not1_b32 s0, s0, exec_lo
.LBB1_1063:                             ;   in Loop: Header=BB1_1059 Depth=2
	s_or_b32 exec_lo, exec_lo, s12
	s_delay_alu instid0(SALU_CYCLE_1) | instskip(NEXT) | instid1(SALU_CYCLE_1)
	s_and_b32 s0, exec_lo, s0
	s_or_b32 s1, s0, s1
	s_delay_alu instid0(SALU_CYCLE_1)
	s_and_not1_b32 exec_lo, exec_lo, s1
	s_cbranch_execnz .LBB1_1059
; %bb.1064:                             ;   in Loop: Header=BB1_1059 Depth=2
	s_or_b32 exec_lo, exec_lo, s1
	s_wait_loadcnt 0x0
	v_dual_mov_b32 v7, v8 :: v_dual_mov_b32 v1, 0
	s_mov_b32 s1, 0
	s_delay_alu instid0(VALU_DEP_1) | instskip(SKIP_1) | instid1(SALU_CYCLE_1)
	v_cmp_eq_u64_e32 vcc_lo, s[6:7], v[6:7]
	s_or_b32 s14, vcc_lo, s14
	s_and_not1_b32 exec_lo, exec_lo, s14
	s_cbranch_execnz .LBB1_1059
; %bb.1065:                             ;   in Loop: Header=BB1_1 Depth=1
	s_or_b32 exec_lo, exec_lo, s14
	s_add_co_i32 s12, s2, 0x98
	s_mov_b32 s14, 0
	s_mul_hi_u32 s0, s12, 0x10624dd3
	s_mov_b32 s15, s6
	s_lshr_b32 s3, s0, 6
	s_or_b64 s[0:1], s[14:15], s[6:7]
	s_mulk_i32 s3, 0x3e8
	v_dual_mov_b32 v2, s0 :: v_dual_mov_b32 v3, s1
	s_sub_co_i32 s3, s12, s3
	s_mov_b32 s1, s5
	s_lshl_b32 s0, s3, 12
	v_lshl_add_u64 v[6:7], s[4:5], 4, v[12:13]
	v_add_nc_u64_e32 v[14:15], s[0:1], v[10:11]
	v_dual_mov_b32 v5, s6 :: v_dual_mov_b32 v1, 0
	s_lshl_b32 s4, s3, 8
	s_mov_b32 s13, s5
	s_mov_b32 s1, s14
	global_store_b128 v[6:7], v[2:5], off th:TH_STORE_NT
.LBB1_1066:                             ;   Parent Loop BB1_1 Depth=1
                                        ; =>  This Inner Loop Header: Depth=2
	s_wait_loadcnt 0x0
	global_load_b128 v[6:9], v[14:15], off th:TH_LOAD_NT
	v_add_nc_u32_e32 v1, 1, v1
	s_mov_b32 s0, -1
	s_mov_b32 s3, -1
	s_mov_b32 s6, exec_lo
	s_wait_xcnt 0x0
	v_cmpx_eq_u32_e32 0xf4240, v1
	s_cbranch_execz .LBB1_1068
; %bb.1067:                             ;   in Loop: Header=BB1_1066 Depth=2
	s_wait_loadcnt 0x0
	s_wait_storecnt 0x0
	global_load_b32 v1, v4, s[10:11] scope:SCOPE_SYS
	s_wait_loadcnt 0x0
	global_inv scope:SCOPE_SYS
	v_cmp_eq_u32_e32 vcc_lo, 0, v1
	v_mov_b32_e32 v1, 0
	s_or_not1_b32 s3, vcc_lo, exec_lo
.LBB1_1068:                             ;   in Loop: Header=BB1_1066 Depth=2
	s_wait_xcnt 0x0
	s_or_b32 exec_lo, exec_lo, s6
	s_and_saveexec_b32 s6, s3
	s_cbranch_execz .LBB1_1070
; %bb.1069:                             ;   in Loop: Header=BB1_1066 Depth=2
	s_wait_loadcnt 0x0
	v_cmp_eq_u32_e32 vcc_lo, s12, v7
	v_cmp_eq_u32_e64 s0, s12, v9
	s_and_b32 s0, vcc_lo, s0
	s_delay_alu instid0(SALU_CYCLE_1)
	s_or_not1_b32 s0, s0, exec_lo
.LBB1_1070:                             ;   in Loop: Header=BB1_1066 Depth=2
	s_or_b32 exec_lo, exec_lo, s6
	s_delay_alu instid0(SALU_CYCLE_1) | instskip(NEXT) | instid1(SALU_CYCLE_1)
	s_and_b32 s0, exec_lo, s0
	s_or_b32 s1, s0, s1
	s_delay_alu instid0(SALU_CYCLE_1)
	s_and_not1_b32 exec_lo, exec_lo, s1
	s_cbranch_execnz .LBB1_1066
; %bb.1071:                             ;   in Loop: Header=BB1_1066 Depth=2
	s_or_b32 exec_lo, exec_lo, s1
	s_wait_loadcnt 0x0
	v_dual_mov_b32 v7, v8 :: v_dual_mov_b32 v1, 0
	s_mov_b32 s1, 0
	s_delay_alu instid0(VALU_DEP_1) | instskip(SKIP_1) | instid1(SALU_CYCLE_1)
	v_cmp_eq_u64_e32 vcc_lo, s[12:13], v[6:7]
	s_or_b32 s14, vcc_lo, s14
	s_and_not1_b32 exec_lo, exec_lo, s14
	s_cbranch_execnz .LBB1_1066
; %bb.1072:                             ;   in Loop: Header=BB1_1 Depth=1
	s_or_b32 exec_lo, exec_lo, s14
	s_add_co_i32 s6, s2, 0x99
	s_mov_b32 s14, 0
	s_mul_hi_u32 s0, s6, 0x10624dd3
	s_mov_b32 s15, s12
	s_lshr_b32 s3, s0, 6
	s_or_b64 s[0:1], s[14:15], s[12:13]
	s_mulk_i32 s3, 0x3e8
	v_dual_mov_b32 v2, s0 :: v_dual_mov_b32 v3, s1
	s_sub_co_i32 s3, s6, s3
	s_mov_b32 s1, s5
	s_lshl_b32 s0, s3, 12
	v_lshl_add_u64 v[6:7], s[4:5], 4, v[12:13]
	v_add_nc_u64_e32 v[14:15], s[0:1], v[10:11]
	v_dual_mov_b32 v5, s12 :: v_dual_mov_b32 v1, 0
	s_lshl_b32 s4, s3, 8
	s_mov_b32 s7, s5
	s_mov_b32 s1, s14
	global_store_b128 v[6:7], v[2:5], off th:TH_STORE_NT
.LBB1_1073:                             ;   Parent Loop BB1_1 Depth=1
                                        ; =>  This Inner Loop Header: Depth=2
	s_wait_loadcnt 0x0
	global_load_b128 v[6:9], v[14:15], off th:TH_LOAD_NT
	v_add_nc_u32_e32 v1, 1, v1
	s_mov_b32 s0, -1
	s_mov_b32 s3, -1
	s_mov_b32 s12, exec_lo
	s_wait_xcnt 0x0
	v_cmpx_eq_u32_e32 0xf4240, v1
	s_cbranch_execz .LBB1_1075
; %bb.1074:                             ;   in Loop: Header=BB1_1073 Depth=2
	s_wait_loadcnt 0x0
	s_wait_storecnt 0x0
	global_load_b32 v1, v4, s[10:11] scope:SCOPE_SYS
	s_wait_loadcnt 0x0
	global_inv scope:SCOPE_SYS
	v_cmp_eq_u32_e32 vcc_lo, 0, v1
	v_mov_b32_e32 v1, 0
	s_or_not1_b32 s3, vcc_lo, exec_lo
.LBB1_1075:                             ;   in Loop: Header=BB1_1073 Depth=2
	s_wait_xcnt 0x0
	s_or_b32 exec_lo, exec_lo, s12
	s_and_saveexec_b32 s12, s3
	s_cbranch_execz .LBB1_1077
; %bb.1076:                             ;   in Loop: Header=BB1_1073 Depth=2
	s_wait_loadcnt 0x0
	v_cmp_eq_u32_e32 vcc_lo, s6, v7
	v_cmp_eq_u32_e64 s0, s6, v9
	s_and_b32 s0, vcc_lo, s0
	s_delay_alu instid0(SALU_CYCLE_1)
	s_or_not1_b32 s0, s0, exec_lo
.LBB1_1077:                             ;   in Loop: Header=BB1_1073 Depth=2
	s_or_b32 exec_lo, exec_lo, s12
	s_delay_alu instid0(SALU_CYCLE_1) | instskip(NEXT) | instid1(SALU_CYCLE_1)
	s_and_b32 s0, exec_lo, s0
	s_or_b32 s1, s0, s1
	s_delay_alu instid0(SALU_CYCLE_1)
	s_and_not1_b32 exec_lo, exec_lo, s1
	s_cbranch_execnz .LBB1_1073
; %bb.1078:                             ;   in Loop: Header=BB1_1073 Depth=2
	s_or_b32 exec_lo, exec_lo, s1
	s_wait_loadcnt 0x0
	v_dual_mov_b32 v7, v8 :: v_dual_mov_b32 v1, 0
	s_mov_b32 s1, 0
	s_delay_alu instid0(VALU_DEP_1) | instskip(SKIP_1) | instid1(SALU_CYCLE_1)
	v_cmp_eq_u64_e32 vcc_lo, s[6:7], v[6:7]
	s_or_b32 s14, vcc_lo, s14
	s_and_not1_b32 exec_lo, exec_lo, s14
	s_cbranch_execnz .LBB1_1073
; %bb.1079:                             ;   in Loop: Header=BB1_1 Depth=1
	s_or_b32 exec_lo, exec_lo, s14
	s_add_co_i32 s12, s2, 0x9a
	s_mov_b32 s14, 0
	s_mul_hi_u32 s0, s12, 0x10624dd3
	s_mov_b32 s15, s6
	s_lshr_b32 s3, s0, 6
	s_or_b64 s[0:1], s[14:15], s[6:7]
	s_mulk_i32 s3, 0x3e8
	v_dual_mov_b32 v2, s0 :: v_dual_mov_b32 v3, s1
	s_sub_co_i32 s3, s12, s3
	s_mov_b32 s1, s5
	s_lshl_b32 s0, s3, 12
	v_lshl_add_u64 v[6:7], s[4:5], 4, v[12:13]
	v_add_nc_u64_e32 v[14:15], s[0:1], v[10:11]
	v_dual_mov_b32 v5, s6 :: v_dual_mov_b32 v1, 0
	s_lshl_b32 s4, s3, 8
	s_mov_b32 s13, s5
	s_mov_b32 s1, s14
	global_store_b128 v[6:7], v[2:5], off th:TH_STORE_NT
.LBB1_1080:                             ;   Parent Loop BB1_1 Depth=1
                                        ; =>  This Inner Loop Header: Depth=2
	s_wait_loadcnt 0x0
	global_load_b128 v[6:9], v[14:15], off th:TH_LOAD_NT
	v_add_nc_u32_e32 v1, 1, v1
	s_mov_b32 s0, -1
	s_mov_b32 s3, -1
	s_mov_b32 s6, exec_lo
	s_wait_xcnt 0x0
	v_cmpx_eq_u32_e32 0xf4240, v1
	s_cbranch_execz .LBB1_1082
; %bb.1081:                             ;   in Loop: Header=BB1_1080 Depth=2
	s_wait_loadcnt 0x0
	s_wait_storecnt 0x0
	global_load_b32 v1, v4, s[10:11] scope:SCOPE_SYS
	s_wait_loadcnt 0x0
	global_inv scope:SCOPE_SYS
	v_cmp_eq_u32_e32 vcc_lo, 0, v1
	v_mov_b32_e32 v1, 0
	s_or_not1_b32 s3, vcc_lo, exec_lo
.LBB1_1082:                             ;   in Loop: Header=BB1_1080 Depth=2
	s_wait_xcnt 0x0
	s_or_b32 exec_lo, exec_lo, s6
	s_and_saveexec_b32 s6, s3
	s_cbranch_execz .LBB1_1084
; %bb.1083:                             ;   in Loop: Header=BB1_1080 Depth=2
	s_wait_loadcnt 0x0
	v_cmp_eq_u32_e32 vcc_lo, s12, v7
	v_cmp_eq_u32_e64 s0, s12, v9
	s_and_b32 s0, vcc_lo, s0
	s_delay_alu instid0(SALU_CYCLE_1)
	s_or_not1_b32 s0, s0, exec_lo
.LBB1_1084:                             ;   in Loop: Header=BB1_1080 Depth=2
	s_or_b32 exec_lo, exec_lo, s6
	s_delay_alu instid0(SALU_CYCLE_1) | instskip(NEXT) | instid1(SALU_CYCLE_1)
	s_and_b32 s0, exec_lo, s0
	s_or_b32 s1, s0, s1
	s_delay_alu instid0(SALU_CYCLE_1)
	s_and_not1_b32 exec_lo, exec_lo, s1
	s_cbranch_execnz .LBB1_1080
; %bb.1085:                             ;   in Loop: Header=BB1_1080 Depth=2
	s_or_b32 exec_lo, exec_lo, s1
	s_wait_loadcnt 0x0
	v_dual_mov_b32 v7, v8 :: v_dual_mov_b32 v1, 0
	s_mov_b32 s1, 0
	s_delay_alu instid0(VALU_DEP_1) | instskip(SKIP_1) | instid1(SALU_CYCLE_1)
	v_cmp_eq_u64_e32 vcc_lo, s[12:13], v[6:7]
	s_or_b32 s14, vcc_lo, s14
	s_and_not1_b32 exec_lo, exec_lo, s14
	s_cbranch_execnz .LBB1_1080
; %bb.1086:                             ;   in Loop: Header=BB1_1 Depth=1
	s_or_b32 exec_lo, exec_lo, s14
	s_add_co_i32 s6, s2, 0x9b
	s_mov_b32 s14, 0
	s_mul_hi_u32 s0, s6, 0x10624dd3
	s_mov_b32 s15, s12
	s_lshr_b32 s3, s0, 6
	s_or_b64 s[0:1], s[14:15], s[12:13]
	s_mulk_i32 s3, 0x3e8
	v_dual_mov_b32 v2, s0 :: v_dual_mov_b32 v3, s1
	s_sub_co_i32 s3, s6, s3
	s_mov_b32 s1, s5
	s_lshl_b32 s0, s3, 12
	v_lshl_add_u64 v[6:7], s[4:5], 4, v[12:13]
	v_add_nc_u64_e32 v[14:15], s[0:1], v[10:11]
	v_dual_mov_b32 v5, s12 :: v_dual_mov_b32 v1, 0
	s_lshl_b32 s4, s3, 8
	s_mov_b32 s7, s5
	s_mov_b32 s1, s14
	global_store_b128 v[6:7], v[2:5], off th:TH_STORE_NT
.LBB1_1087:                             ;   Parent Loop BB1_1 Depth=1
                                        ; =>  This Inner Loop Header: Depth=2
	s_wait_loadcnt 0x0
	global_load_b128 v[6:9], v[14:15], off th:TH_LOAD_NT
	v_add_nc_u32_e32 v1, 1, v1
	s_mov_b32 s0, -1
	s_mov_b32 s3, -1
	s_mov_b32 s12, exec_lo
	s_wait_xcnt 0x0
	v_cmpx_eq_u32_e32 0xf4240, v1
	s_cbranch_execz .LBB1_1089
; %bb.1088:                             ;   in Loop: Header=BB1_1087 Depth=2
	s_wait_loadcnt 0x0
	s_wait_storecnt 0x0
	global_load_b32 v1, v4, s[10:11] scope:SCOPE_SYS
	s_wait_loadcnt 0x0
	global_inv scope:SCOPE_SYS
	v_cmp_eq_u32_e32 vcc_lo, 0, v1
	v_mov_b32_e32 v1, 0
	s_or_not1_b32 s3, vcc_lo, exec_lo
.LBB1_1089:                             ;   in Loop: Header=BB1_1087 Depth=2
	s_wait_xcnt 0x0
	s_or_b32 exec_lo, exec_lo, s12
	s_and_saveexec_b32 s12, s3
	s_cbranch_execz .LBB1_1091
; %bb.1090:                             ;   in Loop: Header=BB1_1087 Depth=2
	s_wait_loadcnt 0x0
	v_cmp_eq_u32_e32 vcc_lo, s6, v7
	v_cmp_eq_u32_e64 s0, s6, v9
	s_and_b32 s0, vcc_lo, s0
	s_delay_alu instid0(SALU_CYCLE_1)
	s_or_not1_b32 s0, s0, exec_lo
.LBB1_1091:                             ;   in Loop: Header=BB1_1087 Depth=2
	s_or_b32 exec_lo, exec_lo, s12
	s_delay_alu instid0(SALU_CYCLE_1) | instskip(NEXT) | instid1(SALU_CYCLE_1)
	s_and_b32 s0, exec_lo, s0
	s_or_b32 s1, s0, s1
	s_delay_alu instid0(SALU_CYCLE_1)
	s_and_not1_b32 exec_lo, exec_lo, s1
	s_cbranch_execnz .LBB1_1087
; %bb.1092:                             ;   in Loop: Header=BB1_1087 Depth=2
	s_or_b32 exec_lo, exec_lo, s1
	s_wait_loadcnt 0x0
	v_dual_mov_b32 v7, v8 :: v_dual_mov_b32 v1, 0
	s_mov_b32 s1, 0
	s_delay_alu instid0(VALU_DEP_1) | instskip(SKIP_1) | instid1(SALU_CYCLE_1)
	v_cmp_eq_u64_e32 vcc_lo, s[6:7], v[6:7]
	s_or_b32 s14, vcc_lo, s14
	s_and_not1_b32 exec_lo, exec_lo, s14
	s_cbranch_execnz .LBB1_1087
; %bb.1093:                             ;   in Loop: Header=BB1_1 Depth=1
	s_or_b32 exec_lo, exec_lo, s14
	s_add_co_i32 s12, s2, 0x9c
	s_mov_b32 s14, 0
	s_mul_hi_u32 s0, s12, 0x10624dd3
	s_mov_b32 s15, s6
	s_lshr_b32 s3, s0, 6
	s_or_b64 s[0:1], s[14:15], s[6:7]
	s_mulk_i32 s3, 0x3e8
	v_dual_mov_b32 v2, s0 :: v_dual_mov_b32 v3, s1
	s_sub_co_i32 s3, s12, s3
	s_mov_b32 s1, s5
	s_lshl_b32 s0, s3, 12
	v_lshl_add_u64 v[6:7], s[4:5], 4, v[12:13]
	v_add_nc_u64_e32 v[14:15], s[0:1], v[10:11]
	v_dual_mov_b32 v5, s6 :: v_dual_mov_b32 v1, 0
	s_lshl_b32 s4, s3, 8
	s_mov_b32 s13, s5
	s_mov_b32 s1, s14
	global_store_b128 v[6:7], v[2:5], off th:TH_STORE_NT
.LBB1_1094:                             ;   Parent Loop BB1_1 Depth=1
                                        ; =>  This Inner Loop Header: Depth=2
	s_wait_loadcnt 0x0
	global_load_b128 v[6:9], v[14:15], off th:TH_LOAD_NT
	v_add_nc_u32_e32 v1, 1, v1
	s_mov_b32 s0, -1
	s_mov_b32 s3, -1
	s_mov_b32 s6, exec_lo
	s_wait_xcnt 0x0
	v_cmpx_eq_u32_e32 0xf4240, v1
	s_cbranch_execz .LBB1_1096
; %bb.1095:                             ;   in Loop: Header=BB1_1094 Depth=2
	s_wait_loadcnt 0x0
	s_wait_storecnt 0x0
	global_load_b32 v1, v4, s[10:11] scope:SCOPE_SYS
	s_wait_loadcnt 0x0
	global_inv scope:SCOPE_SYS
	v_cmp_eq_u32_e32 vcc_lo, 0, v1
	v_mov_b32_e32 v1, 0
	s_or_not1_b32 s3, vcc_lo, exec_lo
.LBB1_1096:                             ;   in Loop: Header=BB1_1094 Depth=2
	s_wait_xcnt 0x0
	s_or_b32 exec_lo, exec_lo, s6
	s_and_saveexec_b32 s6, s3
	s_cbranch_execz .LBB1_1098
; %bb.1097:                             ;   in Loop: Header=BB1_1094 Depth=2
	s_wait_loadcnt 0x0
	v_cmp_eq_u32_e32 vcc_lo, s12, v7
	v_cmp_eq_u32_e64 s0, s12, v9
	s_and_b32 s0, vcc_lo, s0
	s_delay_alu instid0(SALU_CYCLE_1)
	s_or_not1_b32 s0, s0, exec_lo
.LBB1_1098:                             ;   in Loop: Header=BB1_1094 Depth=2
	s_or_b32 exec_lo, exec_lo, s6
	s_delay_alu instid0(SALU_CYCLE_1) | instskip(NEXT) | instid1(SALU_CYCLE_1)
	s_and_b32 s0, exec_lo, s0
	s_or_b32 s1, s0, s1
	s_delay_alu instid0(SALU_CYCLE_1)
	s_and_not1_b32 exec_lo, exec_lo, s1
	s_cbranch_execnz .LBB1_1094
; %bb.1099:                             ;   in Loop: Header=BB1_1094 Depth=2
	s_or_b32 exec_lo, exec_lo, s1
	s_wait_loadcnt 0x0
	v_dual_mov_b32 v7, v8 :: v_dual_mov_b32 v1, 0
	s_mov_b32 s1, 0
	s_delay_alu instid0(VALU_DEP_1) | instskip(SKIP_1) | instid1(SALU_CYCLE_1)
	v_cmp_eq_u64_e32 vcc_lo, s[12:13], v[6:7]
	s_or_b32 s14, vcc_lo, s14
	s_and_not1_b32 exec_lo, exec_lo, s14
	s_cbranch_execnz .LBB1_1094
; %bb.1100:                             ;   in Loop: Header=BB1_1 Depth=1
	s_or_b32 exec_lo, exec_lo, s14
	s_add_co_i32 s6, s2, 0x9d
	s_mov_b32 s14, 0
	s_mul_hi_u32 s0, s6, 0x10624dd3
	s_mov_b32 s15, s12
	s_lshr_b32 s3, s0, 6
	s_or_b64 s[0:1], s[14:15], s[12:13]
	s_mulk_i32 s3, 0x3e8
	v_dual_mov_b32 v2, s0 :: v_dual_mov_b32 v3, s1
	s_sub_co_i32 s3, s6, s3
	s_mov_b32 s1, s5
	s_lshl_b32 s0, s3, 12
	v_lshl_add_u64 v[6:7], s[4:5], 4, v[12:13]
	v_add_nc_u64_e32 v[14:15], s[0:1], v[10:11]
	v_dual_mov_b32 v5, s12 :: v_dual_mov_b32 v1, 0
	s_lshl_b32 s4, s3, 8
	s_mov_b32 s7, s5
	s_mov_b32 s1, s14
	global_store_b128 v[6:7], v[2:5], off th:TH_STORE_NT
.LBB1_1101:                             ;   Parent Loop BB1_1 Depth=1
                                        ; =>  This Inner Loop Header: Depth=2
	s_wait_loadcnt 0x0
	global_load_b128 v[6:9], v[14:15], off th:TH_LOAD_NT
	v_add_nc_u32_e32 v1, 1, v1
	s_mov_b32 s0, -1
	s_mov_b32 s3, -1
	s_mov_b32 s12, exec_lo
	s_wait_xcnt 0x0
	v_cmpx_eq_u32_e32 0xf4240, v1
	s_cbranch_execz .LBB1_1103
; %bb.1102:                             ;   in Loop: Header=BB1_1101 Depth=2
	s_wait_loadcnt 0x0
	s_wait_storecnt 0x0
	global_load_b32 v1, v4, s[10:11] scope:SCOPE_SYS
	s_wait_loadcnt 0x0
	global_inv scope:SCOPE_SYS
	v_cmp_eq_u32_e32 vcc_lo, 0, v1
	v_mov_b32_e32 v1, 0
	s_or_not1_b32 s3, vcc_lo, exec_lo
.LBB1_1103:                             ;   in Loop: Header=BB1_1101 Depth=2
	s_wait_xcnt 0x0
	s_or_b32 exec_lo, exec_lo, s12
	s_and_saveexec_b32 s12, s3
	s_cbranch_execz .LBB1_1105
; %bb.1104:                             ;   in Loop: Header=BB1_1101 Depth=2
	s_wait_loadcnt 0x0
	v_cmp_eq_u32_e32 vcc_lo, s6, v7
	v_cmp_eq_u32_e64 s0, s6, v9
	s_and_b32 s0, vcc_lo, s0
	s_delay_alu instid0(SALU_CYCLE_1)
	s_or_not1_b32 s0, s0, exec_lo
.LBB1_1105:                             ;   in Loop: Header=BB1_1101 Depth=2
	s_or_b32 exec_lo, exec_lo, s12
	s_delay_alu instid0(SALU_CYCLE_1) | instskip(NEXT) | instid1(SALU_CYCLE_1)
	s_and_b32 s0, exec_lo, s0
	s_or_b32 s1, s0, s1
	s_delay_alu instid0(SALU_CYCLE_1)
	s_and_not1_b32 exec_lo, exec_lo, s1
	s_cbranch_execnz .LBB1_1101
; %bb.1106:                             ;   in Loop: Header=BB1_1101 Depth=2
	s_or_b32 exec_lo, exec_lo, s1
	s_wait_loadcnt 0x0
	v_dual_mov_b32 v7, v8 :: v_dual_mov_b32 v1, 0
	s_mov_b32 s1, 0
	s_delay_alu instid0(VALU_DEP_1) | instskip(SKIP_1) | instid1(SALU_CYCLE_1)
	v_cmp_eq_u64_e32 vcc_lo, s[6:7], v[6:7]
	s_or_b32 s14, vcc_lo, s14
	s_and_not1_b32 exec_lo, exec_lo, s14
	s_cbranch_execnz .LBB1_1101
; %bb.1107:                             ;   in Loop: Header=BB1_1 Depth=1
	s_or_b32 exec_lo, exec_lo, s14
	s_add_co_i32 s12, s2, 0x9e
	s_mov_b32 s14, 0
	s_mul_hi_u32 s0, s12, 0x10624dd3
	s_mov_b32 s15, s6
	s_lshr_b32 s3, s0, 6
	s_or_b64 s[0:1], s[14:15], s[6:7]
	s_mulk_i32 s3, 0x3e8
	v_dual_mov_b32 v2, s0 :: v_dual_mov_b32 v3, s1
	s_sub_co_i32 s3, s12, s3
	s_mov_b32 s1, s5
	s_lshl_b32 s0, s3, 12
	v_lshl_add_u64 v[6:7], s[4:5], 4, v[12:13]
	v_add_nc_u64_e32 v[14:15], s[0:1], v[10:11]
	v_dual_mov_b32 v5, s6 :: v_dual_mov_b32 v1, 0
	s_lshl_b32 s4, s3, 8
	s_mov_b32 s13, s5
	s_mov_b32 s1, s14
	global_store_b128 v[6:7], v[2:5], off th:TH_STORE_NT
.LBB1_1108:                             ;   Parent Loop BB1_1 Depth=1
                                        ; =>  This Inner Loop Header: Depth=2
	s_wait_loadcnt 0x0
	global_load_b128 v[6:9], v[14:15], off th:TH_LOAD_NT
	v_add_nc_u32_e32 v1, 1, v1
	s_mov_b32 s0, -1
	s_mov_b32 s3, -1
	s_mov_b32 s6, exec_lo
	s_wait_xcnt 0x0
	v_cmpx_eq_u32_e32 0xf4240, v1
	s_cbranch_execz .LBB1_1110
; %bb.1109:                             ;   in Loop: Header=BB1_1108 Depth=2
	s_wait_loadcnt 0x0
	s_wait_storecnt 0x0
	global_load_b32 v1, v4, s[10:11] scope:SCOPE_SYS
	s_wait_loadcnt 0x0
	global_inv scope:SCOPE_SYS
	v_cmp_eq_u32_e32 vcc_lo, 0, v1
	v_mov_b32_e32 v1, 0
	s_or_not1_b32 s3, vcc_lo, exec_lo
.LBB1_1110:                             ;   in Loop: Header=BB1_1108 Depth=2
	s_wait_xcnt 0x0
	s_or_b32 exec_lo, exec_lo, s6
	s_and_saveexec_b32 s6, s3
	s_cbranch_execz .LBB1_1112
; %bb.1111:                             ;   in Loop: Header=BB1_1108 Depth=2
	s_wait_loadcnt 0x0
	v_cmp_eq_u32_e32 vcc_lo, s12, v7
	v_cmp_eq_u32_e64 s0, s12, v9
	s_and_b32 s0, vcc_lo, s0
	s_delay_alu instid0(SALU_CYCLE_1)
	s_or_not1_b32 s0, s0, exec_lo
.LBB1_1112:                             ;   in Loop: Header=BB1_1108 Depth=2
	s_or_b32 exec_lo, exec_lo, s6
	s_delay_alu instid0(SALU_CYCLE_1) | instskip(NEXT) | instid1(SALU_CYCLE_1)
	s_and_b32 s0, exec_lo, s0
	s_or_b32 s1, s0, s1
	s_delay_alu instid0(SALU_CYCLE_1)
	s_and_not1_b32 exec_lo, exec_lo, s1
	s_cbranch_execnz .LBB1_1108
; %bb.1113:                             ;   in Loop: Header=BB1_1108 Depth=2
	s_or_b32 exec_lo, exec_lo, s1
	s_wait_loadcnt 0x0
	v_dual_mov_b32 v7, v8 :: v_dual_mov_b32 v1, 0
	s_mov_b32 s1, 0
	s_delay_alu instid0(VALU_DEP_1) | instskip(SKIP_1) | instid1(SALU_CYCLE_1)
	v_cmp_eq_u64_e32 vcc_lo, s[12:13], v[6:7]
	s_or_b32 s14, vcc_lo, s14
	s_and_not1_b32 exec_lo, exec_lo, s14
	s_cbranch_execnz .LBB1_1108
; %bb.1114:                             ;   in Loop: Header=BB1_1 Depth=1
	s_or_b32 exec_lo, exec_lo, s14
	s_add_co_i32 s6, s2, 0x9f
	s_mov_b32 s14, 0
	s_mul_hi_u32 s0, s6, 0x10624dd3
	s_mov_b32 s15, s12
	s_lshr_b32 s3, s0, 6
	s_or_b64 s[0:1], s[14:15], s[12:13]
	s_mulk_i32 s3, 0x3e8
	v_dual_mov_b32 v2, s0 :: v_dual_mov_b32 v3, s1
	s_sub_co_i32 s3, s6, s3
	s_mov_b32 s1, s5
	s_lshl_b32 s0, s3, 12
	v_lshl_add_u64 v[6:7], s[4:5], 4, v[12:13]
	v_add_nc_u64_e32 v[14:15], s[0:1], v[10:11]
	v_dual_mov_b32 v5, s12 :: v_dual_mov_b32 v1, 0
	s_lshl_b32 s4, s3, 8
	s_mov_b32 s7, s5
	s_mov_b32 s1, s14
	global_store_b128 v[6:7], v[2:5], off th:TH_STORE_NT
.LBB1_1115:                             ;   Parent Loop BB1_1 Depth=1
                                        ; =>  This Inner Loop Header: Depth=2
	s_wait_loadcnt 0x0
	global_load_b128 v[6:9], v[14:15], off th:TH_LOAD_NT
	v_add_nc_u32_e32 v1, 1, v1
	s_mov_b32 s0, -1
	s_mov_b32 s3, -1
	s_mov_b32 s12, exec_lo
	s_wait_xcnt 0x0
	v_cmpx_eq_u32_e32 0xf4240, v1
	s_cbranch_execz .LBB1_1117
; %bb.1116:                             ;   in Loop: Header=BB1_1115 Depth=2
	s_wait_loadcnt 0x0
	s_wait_storecnt 0x0
	global_load_b32 v1, v4, s[10:11] scope:SCOPE_SYS
	s_wait_loadcnt 0x0
	global_inv scope:SCOPE_SYS
	v_cmp_eq_u32_e32 vcc_lo, 0, v1
	v_mov_b32_e32 v1, 0
	s_or_not1_b32 s3, vcc_lo, exec_lo
.LBB1_1117:                             ;   in Loop: Header=BB1_1115 Depth=2
	s_wait_xcnt 0x0
	s_or_b32 exec_lo, exec_lo, s12
	s_and_saveexec_b32 s12, s3
	s_cbranch_execz .LBB1_1119
; %bb.1118:                             ;   in Loop: Header=BB1_1115 Depth=2
	s_wait_loadcnt 0x0
	v_cmp_eq_u32_e32 vcc_lo, s6, v7
	v_cmp_eq_u32_e64 s0, s6, v9
	s_and_b32 s0, vcc_lo, s0
	s_delay_alu instid0(SALU_CYCLE_1)
	s_or_not1_b32 s0, s0, exec_lo
.LBB1_1119:                             ;   in Loop: Header=BB1_1115 Depth=2
	s_or_b32 exec_lo, exec_lo, s12
	s_delay_alu instid0(SALU_CYCLE_1) | instskip(NEXT) | instid1(SALU_CYCLE_1)
	s_and_b32 s0, exec_lo, s0
	s_or_b32 s1, s0, s1
	s_delay_alu instid0(SALU_CYCLE_1)
	s_and_not1_b32 exec_lo, exec_lo, s1
	s_cbranch_execnz .LBB1_1115
; %bb.1120:                             ;   in Loop: Header=BB1_1115 Depth=2
	s_or_b32 exec_lo, exec_lo, s1
	s_wait_loadcnt 0x0
	v_dual_mov_b32 v7, v8 :: v_dual_mov_b32 v1, 0
	s_mov_b32 s1, 0
	s_delay_alu instid0(VALU_DEP_1) | instskip(SKIP_1) | instid1(SALU_CYCLE_1)
	v_cmp_eq_u64_e32 vcc_lo, s[6:7], v[6:7]
	s_or_b32 s14, vcc_lo, s14
	s_and_not1_b32 exec_lo, exec_lo, s14
	s_cbranch_execnz .LBB1_1115
; %bb.1121:                             ;   in Loop: Header=BB1_1 Depth=1
	s_or_b32 exec_lo, exec_lo, s14
	s_add_co_i32 s12, s2, 0xa0
	s_mov_b32 s14, 0
	s_mul_hi_u32 s0, s12, 0x10624dd3
	s_mov_b32 s15, s6
	s_lshr_b32 s3, s0, 6
	s_or_b64 s[0:1], s[14:15], s[6:7]
	s_mulk_i32 s3, 0x3e8
	v_dual_mov_b32 v2, s0 :: v_dual_mov_b32 v3, s1
	s_sub_co_i32 s3, s12, s3
	s_mov_b32 s1, s5
	s_lshl_b32 s0, s3, 12
	v_lshl_add_u64 v[6:7], s[4:5], 4, v[12:13]
	v_add_nc_u64_e32 v[14:15], s[0:1], v[10:11]
	v_dual_mov_b32 v5, s6 :: v_dual_mov_b32 v1, 0
	s_lshl_b32 s4, s3, 8
	s_mov_b32 s13, s5
	s_mov_b32 s1, s14
	global_store_b128 v[6:7], v[2:5], off th:TH_STORE_NT
.LBB1_1122:                             ;   Parent Loop BB1_1 Depth=1
                                        ; =>  This Inner Loop Header: Depth=2
	s_wait_loadcnt 0x0
	global_load_b128 v[6:9], v[14:15], off th:TH_LOAD_NT
	v_add_nc_u32_e32 v1, 1, v1
	s_mov_b32 s0, -1
	s_mov_b32 s3, -1
	s_mov_b32 s6, exec_lo
	s_wait_xcnt 0x0
	v_cmpx_eq_u32_e32 0xf4240, v1
	s_cbranch_execz .LBB1_1124
; %bb.1123:                             ;   in Loop: Header=BB1_1122 Depth=2
	s_wait_loadcnt 0x0
	s_wait_storecnt 0x0
	global_load_b32 v1, v4, s[10:11] scope:SCOPE_SYS
	s_wait_loadcnt 0x0
	global_inv scope:SCOPE_SYS
	v_cmp_eq_u32_e32 vcc_lo, 0, v1
	v_mov_b32_e32 v1, 0
	s_or_not1_b32 s3, vcc_lo, exec_lo
.LBB1_1124:                             ;   in Loop: Header=BB1_1122 Depth=2
	s_wait_xcnt 0x0
	s_or_b32 exec_lo, exec_lo, s6
	s_and_saveexec_b32 s6, s3
	s_cbranch_execz .LBB1_1126
; %bb.1125:                             ;   in Loop: Header=BB1_1122 Depth=2
	s_wait_loadcnt 0x0
	v_cmp_eq_u32_e32 vcc_lo, s12, v7
	v_cmp_eq_u32_e64 s0, s12, v9
	s_and_b32 s0, vcc_lo, s0
	s_delay_alu instid0(SALU_CYCLE_1)
	s_or_not1_b32 s0, s0, exec_lo
.LBB1_1126:                             ;   in Loop: Header=BB1_1122 Depth=2
	s_or_b32 exec_lo, exec_lo, s6
	s_delay_alu instid0(SALU_CYCLE_1) | instskip(NEXT) | instid1(SALU_CYCLE_1)
	s_and_b32 s0, exec_lo, s0
	s_or_b32 s1, s0, s1
	s_delay_alu instid0(SALU_CYCLE_1)
	s_and_not1_b32 exec_lo, exec_lo, s1
	s_cbranch_execnz .LBB1_1122
; %bb.1127:                             ;   in Loop: Header=BB1_1122 Depth=2
	s_or_b32 exec_lo, exec_lo, s1
	s_wait_loadcnt 0x0
	v_dual_mov_b32 v7, v8 :: v_dual_mov_b32 v1, 0
	s_mov_b32 s1, 0
	s_delay_alu instid0(VALU_DEP_1) | instskip(SKIP_1) | instid1(SALU_CYCLE_1)
	v_cmp_eq_u64_e32 vcc_lo, s[12:13], v[6:7]
	s_or_b32 s14, vcc_lo, s14
	s_and_not1_b32 exec_lo, exec_lo, s14
	s_cbranch_execnz .LBB1_1122
; %bb.1128:                             ;   in Loop: Header=BB1_1 Depth=1
	s_or_b32 exec_lo, exec_lo, s14
	s_add_co_i32 s6, s2, 0xa1
	s_mov_b32 s14, 0
	s_mul_hi_u32 s0, s6, 0x10624dd3
	s_mov_b32 s15, s12
	s_lshr_b32 s3, s0, 6
	s_or_b64 s[0:1], s[14:15], s[12:13]
	s_mulk_i32 s3, 0x3e8
	v_dual_mov_b32 v2, s0 :: v_dual_mov_b32 v3, s1
	s_sub_co_i32 s3, s6, s3
	s_mov_b32 s1, s5
	s_lshl_b32 s0, s3, 12
	v_lshl_add_u64 v[6:7], s[4:5], 4, v[12:13]
	v_add_nc_u64_e32 v[14:15], s[0:1], v[10:11]
	v_dual_mov_b32 v5, s12 :: v_dual_mov_b32 v1, 0
	s_lshl_b32 s4, s3, 8
	s_mov_b32 s7, s5
	s_mov_b32 s1, s14
	global_store_b128 v[6:7], v[2:5], off th:TH_STORE_NT
.LBB1_1129:                             ;   Parent Loop BB1_1 Depth=1
                                        ; =>  This Inner Loop Header: Depth=2
	s_wait_loadcnt 0x0
	global_load_b128 v[6:9], v[14:15], off th:TH_LOAD_NT
	v_add_nc_u32_e32 v1, 1, v1
	s_mov_b32 s0, -1
	s_mov_b32 s3, -1
	s_mov_b32 s12, exec_lo
	s_wait_xcnt 0x0
	v_cmpx_eq_u32_e32 0xf4240, v1
	s_cbranch_execz .LBB1_1131
; %bb.1130:                             ;   in Loop: Header=BB1_1129 Depth=2
	s_wait_loadcnt 0x0
	s_wait_storecnt 0x0
	global_load_b32 v1, v4, s[10:11] scope:SCOPE_SYS
	s_wait_loadcnt 0x0
	global_inv scope:SCOPE_SYS
	v_cmp_eq_u32_e32 vcc_lo, 0, v1
	v_mov_b32_e32 v1, 0
	s_or_not1_b32 s3, vcc_lo, exec_lo
.LBB1_1131:                             ;   in Loop: Header=BB1_1129 Depth=2
	s_wait_xcnt 0x0
	s_or_b32 exec_lo, exec_lo, s12
	s_and_saveexec_b32 s12, s3
	s_cbranch_execz .LBB1_1133
; %bb.1132:                             ;   in Loop: Header=BB1_1129 Depth=2
	s_wait_loadcnt 0x0
	v_cmp_eq_u32_e32 vcc_lo, s6, v7
	v_cmp_eq_u32_e64 s0, s6, v9
	s_and_b32 s0, vcc_lo, s0
	s_delay_alu instid0(SALU_CYCLE_1)
	s_or_not1_b32 s0, s0, exec_lo
.LBB1_1133:                             ;   in Loop: Header=BB1_1129 Depth=2
	s_or_b32 exec_lo, exec_lo, s12
	s_delay_alu instid0(SALU_CYCLE_1) | instskip(NEXT) | instid1(SALU_CYCLE_1)
	s_and_b32 s0, exec_lo, s0
	s_or_b32 s1, s0, s1
	s_delay_alu instid0(SALU_CYCLE_1)
	s_and_not1_b32 exec_lo, exec_lo, s1
	s_cbranch_execnz .LBB1_1129
; %bb.1134:                             ;   in Loop: Header=BB1_1129 Depth=2
	s_or_b32 exec_lo, exec_lo, s1
	s_wait_loadcnt 0x0
	v_dual_mov_b32 v7, v8 :: v_dual_mov_b32 v1, 0
	s_mov_b32 s1, 0
	s_delay_alu instid0(VALU_DEP_1) | instskip(SKIP_1) | instid1(SALU_CYCLE_1)
	v_cmp_eq_u64_e32 vcc_lo, s[6:7], v[6:7]
	s_or_b32 s14, vcc_lo, s14
	s_and_not1_b32 exec_lo, exec_lo, s14
	s_cbranch_execnz .LBB1_1129
; %bb.1135:                             ;   in Loop: Header=BB1_1 Depth=1
	s_or_b32 exec_lo, exec_lo, s14
	s_add_co_i32 s12, s2, 0xa2
	s_mov_b32 s14, 0
	s_mul_hi_u32 s0, s12, 0x10624dd3
	s_mov_b32 s15, s6
	s_lshr_b32 s3, s0, 6
	s_or_b64 s[0:1], s[14:15], s[6:7]
	s_mulk_i32 s3, 0x3e8
	v_dual_mov_b32 v2, s0 :: v_dual_mov_b32 v3, s1
	s_sub_co_i32 s3, s12, s3
	s_mov_b32 s1, s5
	s_lshl_b32 s0, s3, 12
	v_lshl_add_u64 v[6:7], s[4:5], 4, v[12:13]
	v_add_nc_u64_e32 v[14:15], s[0:1], v[10:11]
	v_dual_mov_b32 v5, s6 :: v_dual_mov_b32 v1, 0
	s_lshl_b32 s4, s3, 8
	s_mov_b32 s13, s5
	s_mov_b32 s1, s14
	global_store_b128 v[6:7], v[2:5], off th:TH_STORE_NT
.LBB1_1136:                             ;   Parent Loop BB1_1 Depth=1
                                        ; =>  This Inner Loop Header: Depth=2
	s_wait_loadcnt 0x0
	global_load_b128 v[6:9], v[14:15], off th:TH_LOAD_NT
	v_add_nc_u32_e32 v1, 1, v1
	s_mov_b32 s0, -1
	s_mov_b32 s3, -1
	s_mov_b32 s6, exec_lo
	s_wait_xcnt 0x0
	v_cmpx_eq_u32_e32 0xf4240, v1
	s_cbranch_execz .LBB1_1138
; %bb.1137:                             ;   in Loop: Header=BB1_1136 Depth=2
	s_wait_loadcnt 0x0
	s_wait_storecnt 0x0
	global_load_b32 v1, v4, s[10:11] scope:SCOPE_SYS
	s_wait_loadcnt 0x0
	global_inv scope:SCOPE_SYS
	v_cmp_eq_u32_e32 vcc_lo, 0, v1
	v_mov_b32_e32 v1, 0
	s_or_not1_b32 s3, vcc_lo, exec_lo
.LBB1_1138:                             ;   in Loop: Header=BB1_1136 Depth=2
	s_wait_xcnt 0x0
	s_or_b32 exec_lo, exec_lo, s6
	s_and_saveexec_b32 s6, s3
	s_cbranch_execz .LBB1_1140
; %bb.1139:                             ;   in Loop: Header=BB1_1136 Depth=2
	s_wait_loadcnt 0x0
	v_cmp_eq_u32_e32 vcc_lo, s12, v7
	v_cmp_eq_u32_e64 s0, s12, v9
	s_and_b32 s0, vcc_lo, s0
	s_delay_alu instid0(SALU_CYCLE_1)
	s_or_not1_b32 s0, s0, exec_lo
.LBB1_1140:                             ;   in Loop: Header=BB1_1136 Depth=2
	s_or_b32 exec_lo, exec_lo, s6
	s_delay_alu instid0(SALU_CYCLE_1) | instskip(NEXT) | instid1(SALU_CYCLE_1)
	s_and_b32 s0, exec_lo, s0
	s_or_b32 s1, s0, s1
	s_delay_alu instid0(SALU_CYCLE_1)
	s_and_not1_b32 exec_lo, exec_lo, s1
	s_cbranch_execnz .LBB1_1136
; %bb.1141:                             ;   in Loop: Header=BB1_1136 Depth=2
	s_or_b32 exec_lo, exec_lo, s1
	s_wait_loadcnt 0x0
	v_dual_mov_b32 v7, v8 :: v_dual_mov_b32 v1, 0
	s_mov_b32 s1, 0
	s_delay_alu instid0(VALU_DEP_1) | instskip(SKIP_1) | instid1(SALU_CYCLE_1)
	v_cmp_eq_u64_e32 vcc_lo, s[12:13], v[6:7]
	s_or_b32 s14, vcc_lo, s14
	s_and_not1_b32 exec_lo, exec_lo, s14
	s_cbranch_execnz .LBB1_1136
; %bb.1142:                             ;   in Loop: Header=BB1_1 Depth=1
	s_or_b32 exec_lo, exec_lo, s14
	s_add_co_i32 s6, s2, 0xa3
	s_mov_b32 s14, 0
	s_mul_hi_u32 s0, s6, 0x10624dd3
	s_mov_b32 s15, s12
	s_lshr_b32 s3, s0, 6
	s_or_b64 s[0:1], s[14:15], s[12:13]
	s_mulk_i32 s3, 0x3e8
	v_dual_mov_b32 v2, s0 :: v_dual_mov_b32 v3, s1
	s_sub_co_i32 s3, s6, s3
	s_mov_b32 s1, s5
	s_lshl_b32 s0, s3, 12
	v_lshl_add_u64 v[6:7], s[4:5], 4, v[12:13]
	v_add_nc_u64_e32 v[14:15], s[0:1], v[10:11]
	v_dual_mov_b32 v5, s12 :: v_dual_mov_b32 v1, 0
	s_lshl_b32 s4, s3, 8
	s_mov_b32 s7, s5
	s_mov_b32 s1, s14
	global_store_b128 v[6:7], v[2:5], off th:TH_STORE_NT
.LBB1_1143:                             ;   Parent Loop BB1_1 Depth=1
                                        ; =>  This Inner Loop Header: Depth=2
	s_wait_loadcnt 0x0
	global_load_b128 v[6:9], v[14:15], off th:TH_LOAD_NT
	v_add_nc_u32_e32 v1, 1, v1
	s_mov_b32 s0, -1
	s_mov_b32 s3, -1
	s_mov_b32 s12, exec_lo
	s_wait_xcnt 0x0
	v_cmpx_eq_u32_e32 0xf4240, v1
	s_cbranch_execz .LBB1_1145
; %bb.1144:                             ;   in Loop: Header=BB1_1143 Depth=2
	s_wait_loadcnt 0x0
	s_wait_storecnt 0x0
	global_load_b32 v1, v4, s[10:11] scope:SCOPE_SYS
	s_wait_loadcnt 0x0
	global_inv scope:SCOPE_SYS
	v_cmp_eq_u32_e32 vcc_lo, 0, v1
	v_mov_b32_e32 v1, 0
	s_or_not1_b32 s3, vcc_lo, exec_lo
.LBB1_1145:                             ;   in Loop: Header=BB1_1143 Depth=2
	s_wait_xcnt 0x0
	s_or_b32 exec_lo, exec_lo, s12
	s_and_saveexec_b32 s12, s3
	s_cbranch_execz .LBB1_1147
; %bb.1146:                             ;   in Loop: Header=BB1_1143 Depth=2
	s_wait_loadcnt 0x0
	v_cmp_eq_u32_e32 vcc_lo, s6, v7
	v_cmp_eq_u32_e64 s0, s6, v9
	s_and_b32 s0, vcc_lo, s0
	s_delay_alu instid0(SALU_CYCLE_1)
	s_or_not1_b32 s0, s0, exec_lo
.LBB1_1147:                             ;   in Loop: Header=BB1_1143 Depth=2
	s_or_b32 exec_lo, exec_lo, s12
	s_delay_alu instid0(SALU_CYCLE_1) | instskip(NEXT) | instid1(SALU_CYCLE_1)
	s_and_b32 s0, exec_lo, s0
	s_or_b32 s1, s0, s1
	s_delay_alu instid0(SALU_CYCLE_1)
	s_and_not1_b32 exec_lo, exec_lo, s1
	s_cbranch_execnz .LBB1_1143
; %bb.1148:                             ;   in Loop: Header=BB1_1143 Depth=2
	s_or_b32 exec_lo, exec_lo, s1
	s_wait_loadcnt 0x0
	v_dual_mov_b32 v7, v8 :: v_dual_mov_b32 v1, 0
	s_mov_b32 s1, 0
	s_delay_alu instid0(VALU_DEP_1) | instskip(SKIP_1) | instid1(SALU_CYCLE_1)
	v_cmp_eq_u64_e32 vcc_lo, s[6:7], v[6:7]
	s_or_b32 s14, vcc_lo, s14
	s_and_not1_b32 exec_lo, exec_lo, s14
	s_cbranch_execnz .LBB1_1143
; %bb.1149:                             ;   in Loop: Header=BB1_1 Depth=1
	s_or_b32 exec_lo, exec_lo, s14
	s_add_co_i32 s12, s2, 0xa4
	s_mov_b32 s14, 0
	s_mul_hi_u32 s0, s12, 0x10624dd3
	s_mov_b32 s15, s6
	s_lshr_b32 s3, s0, 6
	s_or_b64 s[0:1], s[14:15], s[6:7]
	s_mulk_i32 s3, 0x3e8
	v_dual_mov_b32 v2, s0 :: v_dual_mov_b32 v3, s1
	s_sub_co_i32 s3, s12, s3
	s_mov_b32 s1, s5
	s_lshl_b32 s0, s3, 12
	v_lshl_add_u64 v[6:7], s[4:5], 4, v[12:13]
	v_add_nc_u64_e32 v[14:15], s[0:1], v[10:11]
	v_dual_mov_b32 v5, s6 :: v_dual_mov_b32 v1, 0
	s_lshl_b32 s4, s3, 8
	s_mov_b32 s13, s5
	s_mov_b32 s1, s14
	global_store_b128 v[6:7], v[2:5], off th:TH_STORE_NT
.LBB1_1150:                             ;   Parent Loop BB1_1 Depth=1
                                        ; =>  This Inner Loop Header: Depth=2
	s_wait_loadcnt 0x0
	global_load_b128 v[6:9], v[14:15], off th:TH_LOAD_NT
	v_add_nc_u32_e32 v1, 1, v1
	s_mov_b32 s0, -1
	s_mov_b32 s3, -1
	s_mov_b32 s6, exec_lo
	s_wait_xcnt 0x0
	v_cmpx_eq_u32_e32 0xf4240, v1
	s_cbranch_execz .LBB1_1152
; %bb.1151:                             ;   in Loop: Header=BB1_1150 Depth=2
	s_wait_loadcnt 0x0
	s_wait_storecnt 0x0
	global_load_b32 v1, v4, s[10:11] scope:SCOPE_SYS
	s_wait_loadcnt 0x0
	global_inv scope:SCOPE_SYS
	v_cmp_eq_u32_e32 vcc_lo, 0, v1
	v_mov_b32_e32 v1, 0
	s_or_not1_b32 s3, vcc_lo, exec_lo
.LBB1_1152:                             ;   in Loop: Header=BB1_1150 Depth=2
	s_wait_xcnt 0x0
	s_or_b32 exec_lo, exec_lo, s6
	s_and_saveexec_b32 s6, s3
	s_cbranch_execz .LBB1_1154
; %bb.1153:                             ;   in Loop: Header=BB1_1150 Depth=2
	s_wait_loadcnt 0x0
	v_cmp_eq_u32_e32 vcc_lo, s12, v7
	v_cmp_eq_u32_e64 s0, s12, v9
	s_and_b32 s0, vcc_lo, s0
	s_delay_alu instid0(SALU_CYCLE_1)
	s_or_not1_b32 s0, s0, exec_lo
.LBB1_1154:                             ;   in Loop: Header=BB1_1150 Depth=2
	s_or_b32 exec_lo, exec_lo, s6
	s_delay_alu instid0(SALU_CYCLE_1) | instskip(NEXT) | instid1(SALU_CYCLE_1)
	s_and_b32 s0, exec_lo, s0
	s_or_b32 s1, s0, s1
	s_delay_alu instid0(SALU_CYCLE_1)
	s_and_not1_b32 exec_lo, exec_lo, s1
	s_cbranch_execnz .LBB1_1150
; %bb.1155:                             ;   in Loop: Header=BB1_1150 Depth=2
	s_or_b32 exec_lo, exec_lo, s1
	s_wait_loadcnt 0x0
	v_dual_mov_b32 v7, v8 :: v_dual_mov_b32 v1, 0
	s_mov_b32 s1, 0
	s_delay_alu instid0(VALU_DEP_1) | instskip(SKIP_1) | instid1(SALU_CYCLE_1)
	v_cmp_eq_u64_e32 vcc_lo, s[12:13], v[6:7]
	s_or_b32 s14, vcc_lo, s14
	s_and_not1_b32 exec_lo, exec_lo, s14
	s_cbranch_execnz .LBB1_1150
; %bb.1156:                             ;   in Loop: Header=BB1_1 Depth=1
	s_or_b32 exec_lo, exec_lo, s14
	s_add_co_i32 s6, s2, 0xa5
	s_mov_b32 s14, 0
	s_mul_hi_u32 s0, s6, 0x10624dd3
	s_mov_b32 s15, s12
	s_lshr_b32 s3, s0, 6
	s_or_b64 s[0:1], s[14:15], s[12:13]
	s_mulk_i32 s3, 0x3e8
	v_dual_mov_b32 v2, s0 :: v_dual_mov_b32 v3, s1
	s_sub_co_i32 s3, s6, s3
	s_mov_b32 s1, s5
	s_lshl_b32 s0, s3, 12
	v_lshl_add_u64 v[6:7], s[4:5], 4, v[12:13]
	v_add_nc_u64_e32 v[14:15], s[0:1], v[10:11]
	v_dual_mov_b32 v5, s12 :: v_dual_mov_b32 v1, 0
	s_lshl_b32 s4, s3, 8
	s_mov_b32 s7, s5
	s_mov_b32 s1, s14
	global_store_b128 v[6:7], v[2:5], off th:TH_STORE_NT
.LBB1_1157:                             ;   Parent Loop BB1_1 Depth=1
                                        ; =>  This Inner Loop Header: Depth=2
	s_wait_loadcnt 0x0
	global_load_b128 v[6:9], v[14:15], off th:TH_LOAD_NT
	v_add_nc_u32_e32 v1, 1, v1
	s_mov_b32 s0, -1
	s_mov_b32 s3, -1
	s_mov_b32 s12, exec_lo
	s_wait_xcnt 0x0
	v_cmpx_eq_u32_e32 0xf4240, v1
	s_cbranch_execz .LBB1_1159
; %bb.1158:                             ;   in Loop: Header=BB1_1157 Depth=2
	s_wait_loadcnt 0x0
	s_wait_storecnt 0x0
	global_load_b32 v1, v4, s[10:11] scope:SCOPE_SYS
	s_wait_loadcnt 0x0
	global_inv scope:SCOPE_SYS
	v_cmp_eq_u32_e32 vcc_lo, 0, v1
	v_mov_b32_e32 v1, 0
	s_or_not1_b32 s3, vcc_lo, exec_lo
.LBB1_1159:                             ;   in Loop: Header=BB1_1157 Depth=2
	s_wait_xcnt 0x0
	s_or_b32 exec_lo, exec_lo, s12
	s_and_saveexec_b32 s12, s3
	s_cbranch_execz .LBB1_1161
; %bb.1160:                             ;   in Loop: Header=BB1_1157 Depth=2
	s_wait_loadcnt 0x0
	v_cmp_eq_u32_e32 vcc_lo, s6, v7
	v_cmp_eq_u32_e64 s0, s6, v9
	s_and_b32 s0, vcc_lo, s0
	s_delay_alu instid0(SALU_CYCLE_1)
	s_or_not1_b32 s0, s0, exec_lo
.LBB1_1161:                             ;   in Loop: Header=BB1_1157 Depth=2
	s_or_b32 exec_lo, exec_lo, s12
	s_delay_alu instid0(SALU_CYCLE_1) | instskip(NEXT) | instid1(SALU_CYCLE_1)
	s_and_b32 s0, exec_lo, s0
	s_or_b32 s1, s0, s1
	s_delay_alu instid0(SALU_CYCLE_1)
	s_and_not1_b32 exec_lo, exec_lo, s1
	s_cbranch_execnz .LBB1_1157
; %bb.1162:                             ;   in Loop: Header=BB1_1157 Depth=2
	s_or_b32 exec_lo, exec_lo, s1
	s_wait_loadcnt 0x0
	v_dual_mov_b32 v7, v8 :: v_dual_mov_b32 v1, 0
	s_mov_b32 s1, 0
	s_delay_alu instid0(VALU_DEP_1) | instskip(SKIP_1) | instid1(SALU_CYCLE_1)
	v_cmp_eq_u64_e32 vcc_lo, s[6:7], v[6:7]
	s_or_b32 s14, vcc_lo, s14
	s_and_not1_b32 exec_lo, exec_lo, s14
	s_cbranch_execnz .LBB1_1157
; %bb.1163:                             ;   in Loop: Header=BB1_1 Depth=1
	s_or_b32 exec_lo, exec_lo, s14
	s_add_co_i32 s12, s2, 0xa6
	s_mov_b32 s14, 0
	s_mul_hi_u32 s0, s12, 0x10624dd3
	s_mov_b32 s15, s6
	s_lshr_b32 s3, s0, 6
	s_or_b64 s[0:1], s[14:15], s[6:7]
	s_mulk_i32 s3, 0x3e8
	v_dual_mov_b32 v2, s0 :: v_dual_mov_b32 v3, s1
	s_sub_co_i32 s3, s12, s3
	s_mov_b32 s1, s5
	s_lshl_b32 s0, s3, 12
	v_lshl_add_u64 v[6:7], s[4:5], 4, v[12:13]
	v_add_nc_u64_e32 v[14:15], s[0:1], v[10:11]
	v_dual_mov_b32 v5, s6 :: v_dual_mov_b32 v1, 0
	s_lshl_b32 s4, s3, 8
	s_mov_b32 s13, s5
	s_mov_b32 s1, s14
	global_store_b128 v[6:7], v[2:5], off th:TH_STORE_NT
.LBB1_1164:                             ;   Parent Loop BB1_1 Depth=1
                                        ; =>  This Inner Loop Header: Depth=2
	s_wait_loadcnt 0x0
	global_load_b128 v[6:9], v[14:15], off th:TH_LOAD_NT
	v_add_nc_u32_e32 v1, 1, v1
	s_mov_b32 s0, -1
	s_mov_b32 s3, -1
	s_mov_b32 s6, exec_lo
	s_wait_xcnt 0x0
	v_cmpx_eq_u32_e32 0xf4240, v1
	s_cbranch_execz .LBB1_1166
; %bb.1165:                             ;   in Loop: Header=BB1_1164 Depth=2
	s_wait_loadcnt 0x0
	s_wait_storecnt 0x0
	global_load_b32 v1, v4, s[10:11] scope:SCOPE_SYS
	s_wait_loadcnt 0x0
	global_inv scope:SCOPE_SYS
	v_cmp_eq_u32_e32 vcc_lo, 0, v1
	v_mov_b32_e32 v1, 0
	s_or_not1_b32 s3, vcc_lo, exec_lo
.LBB1_1166:                             ;   in Loop: Header=BB1_1164 Depth=2
	s_wait_xcnt 0x0
	s_or_b32 exec_lo, exec_lo, s6
	s_and_saveexec_b32 s6, s3
	s_cbranch_execz .LBB1_1168
; %bb.1167:                             ;   in Loop: Header=BB1_1164 Depth=2
	s_wait_loadcnt 0x0
	v_cmp_eq_u32_e32 vcc_lo, s12, v7
	v_cmp_eq_u32_e64 s0, s12, v9
	s_and_b32 s0, vcc_lo, s0
	s_delay_alu instid0(SALU_CYCLE_1)
	s_or_not1_b32 s0, s0, exec_lo
.LBB1_1168:                             ;   in Loop: Header=BB1_1164 Depth=2
	s_or_b32 exec_lo, exec_lo, s6
	s_delay_alu instid0(SALU_CYCLE_1) | instskip(NEXT) | instid1(SALU_CYCLE_1)
	s_and_b32 s0, exec_lo, s0
	s_or_b32 s1, s0, s1
	s_delay_alu instid0(SALU_CYCLE_1)
	s_and_not1_b32 exec_lo, exec_lo, s1
	s_cbranch_execnz .LBB1_1164
; %bb.1169:                             ;   in Loop: Header=BB1_1164 Depth=2
	s_or_b32 exec_lo, exec_lo, s1
	s_wait_loadcnt 0x0
	v_dual_mov_b32 v7, v8 :: v_dual_mov_b32 v1, 0
	s_mov_b32 s1, 0
	s_delay_alu instid0(VALU_DEP_1) | instskip(SKIP_1) | instid1(SALU_CYCLE_1)
	v_cmp_eq_u64_e32 vcc_lo, s[12:13], v[6:7]
	s_or_b32 s14, vcc_lo, s14
	s_and_not1_b32 exec_lo, exec_lo, s14
	s_cbranch_execnz .LBB1_1164
; %bb.1170:                             ;   in Loop: Header=BB1_1 Depth=1
	s_or_b32 exec_lo, exec_lo, s14
	s_add_co_i32 s6, s2, 0xa7
	s_mov_b32 s14, 0
	s_mul_hi_u32 s0, s6, 0x10624dd3
	s_mov_b32 s15, s12
	s_lshr_b32 s3, s0, 6
	s_or_b64 s[0:1], s[14:15], s[12:13]
	s_mulk_i32 s3, 0x3e8
	v_dual_mov_b32 v2, s0 :: v_dual_mov_b32 v3, s1
	s_sub_co_i32 s3, s6, s3
	s_mov_b32 s1, s5
	s_lshl_b32 s0, s3, 12
	v_lshl_add_u64 v[6:7], s[4:5], 4, v[12:13]
	v_add_nc_u64_e32 v[14:15], s[0:1], v[10:11]
	v_dual_mov_b32 v5, s12 :: v_dual_mov_b32 v1, 0
	s_lshl_b32 s4, s3, 8
	s_mov_b32 s7, s5
	s_mov_b32 s1, s14
	global_store_b128 v[6:7], v[2:5], off th:TH_STORE_NT
.LBB1_1171:                             ;   Parent Loop BB1_1 Depth=1
                                        ; =>  This Inner Loop Header: Depth=2
	s_wait_loadcnt 0x0
	global_load_b128 v[6:9], v[14:15], off th:TH_LOAD_NT
	v_add_nc_u32_e32 v1, 1, v1
	s_mov_b32 s0, -1
	s_mov_b32 s3, -1
	s_mov_b32 s12, exec_lo
	s_wait_xcnt 0x0
	v_cmpx_eq_u32_e32 0xf4240, v1
	s_cbranch_execz .LBB1_1173
; %bb.1172:                             ;   in Loop: Header=BB1_1171 Depth=2
	s_wait_loadcnt 0x0
	s_wait_storecnt 0x0
	global_load_b32 v1, v4, s[10:11] scope:SCOPE_SYS
	s_wait_loadcnt 0x0
	global_inv scope:SCOPE_SYS
	v_cmp_eq_u32_e32 vcc_lo, 0, v1
	v_mov_b32_e32 v1, 0
	s_or_not1_b32 s3, vcc_lo, exec_lo
.LBB1_1173:                             ;   in Loop: Header=BB1_1171 Depth=2
	s_wait_xcnt 0x0
	s_or_b32 exec_lo, exec_lo, s12
	s_and_saveexec_b32 s12, s3
	s_cbranch_execz .LBB1_1175
; %bb.1174:                             ;   in Loop: Header=BB1_1171 Depth=2
	s_wait_loadcnt 0x0
	v_cmp_eq_u32_e32 vcc_lo, s6, v7
	v_cmp_eq_u32_e64 s0, s6, v9
	s_and_b32 s0, vcc_lo, s0
	s_delay_alu instid0(SALU_CYCLE_1)
	s_or_not1_b32 s0, s0, exec_lo
.LBB1_1175:                             ;   in Loop: Header=BB1_1171 Depth=2
	s_or_b32 exec_lo, exec_lo, s12
	s_delay_alu instid0(SALU_CYCLE_1) | instskip(NEXT) | instid1(SALU_CYCLE_1)
	s_and_b32 s0, exec_lo, s0
	s_or_b32 s1, s0, s1
	s_delay_alu instid0(SALU_CYCLE_1)
	s_and_not1_b32 exec_lo, exec_lo, s1
	s_cbranch_execnz .LBB1_1171
; %bb.1176:                             ;   in Loop: Header=BB1_1171 Depth=2
	s_or_b32 exec_lo, exec_lo, s1
	s_wait_loadcnt 0x0
	v_dual_mov_b32 v7, v8 :: v_dual_mov_b32 v1, 0
	s_mov_b32 s1, 0
	s_delay_alu instid0(VALU_DEP_1) | instskip(SKIP_1) | instid1(SALU_CYCLE_1)
	v_cmp_eq_u64_e32 vcc_lo, s[6:7], v[6:7]
	s_or_b32 s14, vcc_lo, s14
	s_and_not1_b32 exec_lo, exec_lo, s14
	s_cbranch_execnz .LBB1_1171
; %bb.1177:                             ;   in Loop: Header=BB1_1 Depth=1
	s_or_b32 exec_lo, exec_lo, s14
	s_add_co_i32 s12, s2, 0xa8
	s_mov_b32 s14, 0
	s_mul_hi_u32 s0, s12, 0x10624dd3
	s_mov_b32 s15, s6
	s_lshr_b32 s3, s0, 6
	s_or_b64 s[0:1], s[14:15], s[6:7]
	s_mulk_i32 s3, 0x3e8
	v_dual_mov_b32 v2, s0 :: v_dual_mov_b32 v3, s1
	s_sub_co_i32 s3, s12, s3
	s_mov_b32 s1, s5
	s_lshl_b32 s0, s3, 12
	v_lshl_add_u64 v[6:7], s[4:5], 4, v[12:13]
	v_add_nc_u64_e32 v[14:15], s[0:1], v[10:11]
	v_dual_mov_b32 v5, s6 :: v_dual_mov_b32 v1, 0
	s_lshl_b32 s4, s3, 8
	s_mov_b32 s13, s5
	s_mov_b32 s1, s14
	global_store_b128 v[6:7], v[2:5], off th:TH_STORE_NT
.LBB1_1178:                             ;   Parent Loop BB1_1 Depth=1
                                        ; =>  This Inner Loop Header: Depth=2
	s_wait_loadcnt 0x0
	global_load_b128 v[6:9], v[14:15], off th:TH_LOAD_NT
	v_add_nc_u32_e32 v1, 1, v1
	s_mov_b32 s0, -1
	s_mov_b32 s3, -1
	s_mov_b32 s6, exec_lo
	s_wait_xcnt 0x0
	v_cmpx_eq_u32_e32 0xf4240, v1
	s_cbranch_execz .LBB1_1180
; %bb.1179:                             ;   in Loop: Header=BB1_1178 Depth=2
	s_wait_loadcnt 0x0
	s_wait_storecnt 0x0
	global_load_b32 v1, v4, s[10:11] scope:SCOPE_SYS
	s_wait_loadcnt 0x0
	global_inv scope:SCOPE_SYS
	v_cmp_eq_u32_e32 vcc_lo, 0, v1
	v_mov_b32_e32 v1, 0
	s_or_not1_b32 s3, vcc_lo, exec_lo
.LBB1_1180:                             ;   in Loop: Header=BB1_1178 Depth=2
	s_wait_xcnt 0x0
	s_or_b32 exec_lo, exec_lo, s6
	s_and_saveexec_b32 s6, s3
	s_cbranch_execz .LBB1_1182
; %bb.1181:                             ;   in Loop: Header=BB1_1178 Depth=2
	s_wait_loadcnt 0x0
	v_cmp_eq_u32_e32 vcc_lo, s12, v7
	v_cmp_eq_u32_e64 s0, s12, v9
	s_and_b32 s0, vcc_lo, s0
	s_delay_alu instid0(SALU_CYCLE_1)
	s_or_not1_b32 s0, s0, exec_lo
.LBB1_1182:                             ;   in Loop: Header=BB1_1178 Depth=2
	s_or_b32 exec_lo, exec_lo, s6
	s_delay_alu instid0(SALU_CYCLE_1) | instskip(NEXT) | instid1(SALU_CYCLE_1)
	s_and_b32 s0, exec_lo, s0
	s_or_b32 s1, s0, s1
	s_delay_alu instid0(SALU_CYCLE_1)
	s_and_not1_b32 exec_lo, exec_lo, s1
	s_cbranch_execnz .LBB1_1178
; %bb.1183:                             ;   in Loop: Header=BB1_1178 Depth=2
	s_or_b32 exec_lo, exec_lo, s1
	s_wait_loadcnt 0x0
	v_dual_mov_b32 v7, v8 :: v_dual_mov_b32 v1, 0
	s_mov_b32 s1, 0
	s_delay_alu instid0(VALU_DEP_1) | instskip(SKIP_1) | instid1(SALU_CYCLE_1)
	v_cmp_eq_u64_e32 vcc_lo, s[12:13], v[6:7]
	s_or_b32 s14, vcc_lo, s14
	s_and_not1_b32 exec_lo, exec_lo, s14
	s_cbranch_execnz .LBB1_1178
; %bb.1184:                             ;   in Loop: Header=BB1_1 Depth=1
	s_or_b32 exec_lo, exec_lo, s14
	s_add_co_i32 s6, s2, 0xa9
	s_mov_b32 s14, 0
	s_mul_hi_u32 s0, s6, 0x10624dd3
	s_mov_b32 s15, s12
	s_lshr_b32 s3, s0, 6
	s_or_b64 s[0:1], s[14:15], s[12:13]
	s_mulk_i32 s3, 0x3e8
	v_dual_mov_b32 v2, s0 :: v_dual_mov_b32 v3, s1
	s_sub_co_i32 s3, s6, s3
	s_mov_b32 s1, s5
	s_lshl_b32 s0, s3, 12
	v_lshl_add_u64 v[6:7], s[4:5], 4, v[12:13]
	v_add_nc_u64_e32 v[14:15], s[0:1], v[10:11]
	v_dual_mov_b32 v5, s12 :: v_dual_mov_b32 v1, 0
	s_lshl_b32 s4, s3, 8
	s_mov_b32 s7, s5
	s_mov_b32 s1, s14
	global_store_b128 v[6:7], v[2:5], off th:TH_STORE_NT
.LBB1_1185:                             ;   Parent Loop BB1_1 Depth=1
                                        ; =>  This Inner Loop Header: Depth=2
	s_wait_loadcnt 0x0
	global_load_b128 v[6:9], v[14:15], off th:TH_LOAD_NT
	v_add_nc_u32_e32 v1, 1, v1
	s_mov_b32 s0, -1
	s_mov_b32 s3, -1
	s_mov_b32 s12, exec_lo
	s_wait_xcnt 0x0
	v_cmpx_eq_u32_e32 0xf4240, v1
	s_cbranch_execz .LBB1_1187
; %bb.1186:                             ;   in Loop: Header=BB1_1185 Depth=2
	s_wait_loadcnt 0x0
	s_wait_storecnt 0x0
	global_load_b32 v1, v4, s[10:11] scope:SCOPE_SYS
	s_wait_loadcnt 0x0
	global_inv scope:SCOPE_SYS
	v_cmp_eq_u32_e32 vcc_lo, 0, v1
	v_mov_b32_e32 v1, 0
	s_or_not1_b32 s3, vcc_lo, exec_lo
.LBB1_1187:                             ;   in Loop: Header=BB1_1185 Depth=2
	s_wait_xcnt 0x0
	s_or_b32 exec_lo, exec_lo, s12
	s_and_saveexec_b32 s12, s3
	s_cbranch_execz .LBB1_1189
; %bb.1188:                             ;   in Loop: Header=BB1_1185 Depth=2
	s_wait_loadcnt 0x0
	v_cmp_eq_u32_e32 vcc_lo, s6, v7
	v_cmp_eq_u32_e64 s0, s6, v9
	s_and_b32 s0, vcc_lo, s0
	s_delay_alu instid0(SALU_CYCLE_1)
	s_or_not1_b32 s0, s0, exec_lo
.LBB1_1189:                             ;   in Loop: Header=BB1_1185 Depth=2
	s_or_b32 exec_lo, exec_lo, s12
	s_delay_alu instid0(SALU_CYCLE_1) | instskip(NEXT) | instid1(SALU_CYCLE_1)
	s_and_b32 s0, exec_lo, s0
	s_or_b32 s1, s0, s1
	s_delay_alu instid0(SALU_CYCLE_1)
	s_and_not1_b32 exec_lo, exec_lo, s1
	s_cbranch_execnz .LBB1_1185
; %bb.1190:                             ;   in Loop: Header=BB1_1185 Depth=2
	s_or_b32 exec_lo, exec_lo, s1
	s_wait_loadcnt 0x0
	v_dual_mov_b32 v7, v8 :: v_dual_mov_b32 v1, 0
	s_mov_b32 s1, 0
	s_delay_alu instid0(VALU_DEP_1) | instskip(SKIP_1) | instid1(SALU_CYCLE_1)
	v_cmp_eq_u64_e32 vcc_lo, s[6:7], v[6:7]
	s_or_b32 s14, vcc_lo, s14
	s_and_not1_b32 exec_lo, exec_lo, s14
	s_cbranch_execnz .LBB1_1185
; %bb.1191:                             ;   in Loop: Header=BB1_1 Depth=1
	s_or_b32 exec_lo, exec_lo, s14
	s_add_co_i32 s12, s2, 0xaa
	s_mov_b32 s14, 0
	s_mul_hi_u32 s0, s12, 0x10624dd3
	s_mov_b32 s15, s6
	s_lshr_b32 s3, s0, 6
	s_or_b64 s[0:1], s[14:15], s[6:7]
	s_mulk_i32 s3, 0x3e8
	v_dual_mov_b32 v2, s0 :: v_dual_mov_b32 v3, s1
	s_sub_co_i32 s3, s12, s3
	s_mov_b32 s1, s5
	s_lshl_b32 s0, s3, 12
	v_lshl_add_u64 v[6:7], s[4:5], 4, v[12:13]
	v_add_nc_u64_e32 v[14:15], s[0:1], v[10:11]
	v_dual_mov_b32 v5, s6 :: v_dual_mov_b32 v1, 0
	s_lshl_b32 s4, s3, 8
	s_mov_b32 s13, s5
	s_mov_b32 s1, s14
	global_store_b128 v[6:7], v[2:5], off th:TH_STORE_NT
.LBB1_1192:                             ;   Parent Loop BB1_1 Depth=1
                                        ; =>  This Inner Loop Header: Depth=2
	s_wait_loadcnt 0x0
	global_load_b128 v[6:9], v[14:15], off th:TH_LOAD_NT
	v_add_nc_u32_e32 v1, 1, v1
	s_mov_b32 s0, -1
	s_mov_b32 s3, -1
	s_mov_b32 s6, exec_lo
	s_wait_xcnt 0x0
	v_cmpx_eq_u32_e32 0xf4240, v1
	s_cbranch_execz .LBB1_1194
; %bb.1193:                             ;   in Loop: Header=BB1_1192 Depth=2
	s_wait_loadcnt 0x0
	s_wait_storecnt 0x0
	global_load_b32 v1, v4, s[10:11] scope:SCOPE_SYS
	s_wait_loadcnt 0x0
	global_inv scope:SCOPE_SYS
	v_cmp_eq_u32_e32 vcc_lo, 0, v1
	v_mov_b32_e32 v1, 0
	s_or_not1_b32 s3, vcc_lo, exec_lo
.LBB1_1194:                             ;   in Loop: Header=BB1_1192 Depth=2
	s_wait_xcnt 0x0
	s_or_b32 exec_lo, exec_lo, s6
	s_and_saveexec_b32 s6, s3
	s_cbranch_execz .LBB1_1196
; %bb.1195:                             ;   in Loop: Header=BB1_1192 Depth=2
	s_wait_loadcnt 0x0
	v_cmp_eq_u32_e32 vcc_lo, s12, v7
	v_cmp_eq_u32_e64 s0, s12, v9
	s_and_b32 s0, vcc_lo, s0
	s_delay_alu instid0(SALU_CYCLE_1)
	s_or_not1_b32 s0, s0, exec_lo
.LBB1_1196:                             ;   in Loop: Header=BB1_1192 Depth=2
	s_or_b32 exec_lo, exec_lo, s6
	s_delay_alu instid0(SALU_CYCLE_1) | instskip(NEXT) | instid1(SALU_CYCLE_1)
	s_and_b32 s0, exec_lo, s0
	s_or_b32 s1, s0, s1
	s_delay_alu instid0(SALU_CYCLE_1)
	s_and_not1_b32 exec_lo, exec_lo, s1
	s_cbranch_execnz .LBB1_1192
; %bb.1197:                             ;   in Loop: Header=BB1_1192 Depth=2
	s_or_b32 exec_lo, exec_lo, s1
	s_wait_loadcnt 0x0
	v_dual_mov_b32 v7, v8 :: v_dual_mov_b32 v1, 0
	s_mov_b32 s1, 0
	s_delay_alu instid0(VALU_DEP_1) | instskip(SKIP_1) | instid1(SALU_CYCLE_1)
	v_cmp_eq_u64_e32 vcc_lo, s[12:13], v[6:7]
	s_or_b32 s14, vcc_lo, s14
	s_and_not1_b32 exec_lo, exec_lo, s14
	s_cbranch_execnz .LBB1_1192
; %bb.1198:                             ;   in Loop: Header=BB1_1 Depth=1
	s_or_b32 exec_lo, exec_lo, s14
	s_add_co_i32 s6, s2, 0xab
	s_mov_b32 s14, 0
	s_mul_hi_u32 s0, s6, 0x10624dd3
	s_mov_b32 s15, s12
	s_lshr_b32 s3, s0, 6
	s_or_b64 s[0:1], s[14:15], s[12:13]
	s_mulk_i32 s3, 0x3e8
	v_dual_mov_b32 v2, s0 :: v_dual_mov_b32 v3, s1
	s_sub_co_i32 s3, s6, s3
	s_mov_b32 s1, s5
	s_lshl_b32 s0, s3, 12
	v_lshl_add_u64 v[6:7], s[4:5], 4, v[12:13]
	v_add_nc_u64_e32 v[14:15], s[0:1], v[10:11]
	v_dual_mov_b32 v5, s12 :: v_dual_mov_b32 v1, 0
	s_lshl_b32 s4, s3, 8
	s_mov_b32 s7, s5
	s_mov_b32 s1, s14
	global_store_b128 v[6:7], v[2:5], off th:TH_STORE_NT
.LBB1_1199:                             ;   Parent Loop BB1_1 Depth=1
                                        ; =>  This Inner Loop Header: Depth=2
	s_wait_loadcnt 0x0
	global_load_b128 v[6:9], v[14:15], off th:TH_LOAD_NT
	v_add_nc_u32_e32 v1, 1, v1
	s_mov_b32 s0, -1
	s_mov_b32 s3, -1
	s_mov_b32 s12, exec_lo
	s_wait_xcnt 0x0
	v_cmpx_eq_u32_e32 0xf4240, v1
	s_cbranch_execz .LBB1_1201
; %bb.1200:                             ;   in Loop: Header=BB1_1199 Depth=2
	s_wait_loadcnt 0x0
	s_wait_storecnt 0x0
	global_load_b32 v1, v4, s[10:11] scope:SCOPE_SYS
	s_wait_loadcnt 0x0
	global_inv scope:SCOPE_SYS
	v_cmp_eq_u32_e32 vcc_lo, 0, v1
	v_mov_b32_e32 v1, 0
	s_or_not1_b32 s3, vcc_lo, exec_lo
.LBB1_1201:                             ;   in Loop: Header=BB1_1199 Depth=2
	s_wait_xcnt 0x0
	s_or_b32 exec_lo, exec_lo, s12
	s_and_saveexec_b32 s12, s3
	s_cbranch_execz .LBB1_1203
; %bb.1202:                             ;   in Loop: Header=BB1_1199 Depth=2
	s_wait_loadcnt 0x0
	v_cmp_eq_u32_e32 vcc_lo, s6, v7
	v_cmp_eq_u32_e64 s0, s6, v9
	s_and_b32 s0, vcc_lo, s0
	s_delay_alu instid0(SALU_CYCLE_1)
	s_or_not1_b32 s0, s0, exec_lo
.LBB1_1203:                             ;   in Loop: Header=BB1_1199 Depth=2
	s_or_b32 exec_lo, exec_lo, s12
	s_delay_alu instid0(SALU_CYCLE_1) | instskip(NEXT) | instid1(SALU_CYCLE_1)
	s_and_b32 s0, exec_lo, s0
	s_or_b32 s1, s0, s1
	s_delay_alu instid0(SALU_CYCLE_1)
	s_and_not1_b32 exec_lo, exec_lo, s1
	s_cbranch_execnz .LBB1_1199
; %bb.1204:                             ;   in Loop: Header=BB1_1199 Depth=2
	s_or_b32 exec_lo, exec_lo, s1
	s_wait_loadcnt 0x0
	v_dual_mov_b32 v7, v8 :: v_dual_mov_b32 v1, 0
	s_mov_b32 s1, 0
	s_delay_alu instid0(VALU_DEP_1) | instskip(SKIP_1) | instid1(SALU_CYCLE_1)
	v_cmp_eq_u64_e32 vcc_lo, s[6:7], v[6:7]
	s_or_b32 s14, vcc_lo, s14
	s_and_not1_b32 exec_lo, exec_lo, s14
	s_cbranch_execnz .LBB1_1199
; %bb.1205:                             ;   in Loop: Header=BB1_1 Depth=1
	s_or_b32 exec_lo, exec_lo, s14
	s_add_co_i32 s12, s2, 0xac
	s_mov_b32 s14, 0
	s_mul_hi_u32 s0, s12, 0x10624dd3
	s_mov_b32 s15, s6
	s_lshr_b32 s3, s0, 6
	s_or_b64 s[0:1], s[14:15], s[6:7]
	s_mulk_i32 s3, 0x3e8
	v_dual_mov_b32 v2, s0 :: v_dual_mov_b32 v3, s1
	s_sub_co_i32 s3, s12, s3
	s_mov_b32 s1, s5
	s_lshl_b32 s0, s3, 12
	v_lshl_add_u64 v[6:7], s[4:5], 4, v[12:13]
	v_add_nc_u64_e32 v[14:15], s[0:1], v[10:11]
	v_dual_mov_b32 v5, s6 :: v_dual_mov_b32 v1, 0
	s_lshl_b32 s4, s3, 8
	s_mov_b32 s13, s5
	s_mov_b32 s1, s14
	global_store_b128 v[6:7], v[2:5], off th:TH_STORE_NT
.LBB1_1206:                             ;   Parent Loop BB1_1 Depth=1
                                        ; =>  This Inner Loop Header: Depth=2
	s_wait_loadcnt 0x0
	global_load_b128 v[6:9], v[14:15], off th:TH_LOAD_NT
	v_add_nc_u32_e32 v1, 1, v1
	s_mov_b32 s0, -1
	s_mov_b32 s3, -1
	s_mov_b32 s6, exec_lo
	s_wait_xcnt 0x0
	v_cmpx_eq_u32_e32 0xf4240, v1
	s_cbranch_execz .LBB1_1208
; %bb.1207:                             ;   in Loop: Header=BB1_1206 Depth=2
	s_wait_loadcnt 0x0
	s_wait_storecnt 0x0
	global_load_b32 v1, v4, s[10:11] scope:SCOPE_SYS
	s_wait_loadcnt 0x0
	global_inv scope:SCOPE_SYS
	v_cmp_eq_u32_e32 vcc_lo, 0, v1
	v_mov_b32_e32 v1, 0
	s_or_not1_b32 s3, vcc_lo, exec_lo
.LBB1_1208:                             ;   in Loop: Header=BB1_1206 Depth=2
	s_wait_xcnt 0x0
	s_or_b32 exec_lo, exec_lo, s6
	s_and_saveexec_b32 s6, s3
	s_cbranch_execz .LBB1_1210
; %bb.1209:                             ;   in Loop: Header=BB1_1206 Depth=2
	s_wait_loadcnt 0x0
	v_cmp_eq_u32_e32 vcc_lo, s12, v7
	v_cmp_eq_u32_e64 s0, s12, v9
	s_and_b32 s0, vcc_lo, s0
	s_delay_alu instid0(SALU_CYCLE_1)
	s_or_not1_b32 s0, s0, exec_lo
.LBB1_1210:                             ;   in Loop: Header=BB1_1206 Depth=2
	s_or_b32 exec_lo, exec_lo, s6
	s_delay_alu instid0(SALU_CYCLE_1) | instskip(NEXT) | instid1(SALU_CYCLE_1)
	s_and_b32 s0, exec_lo, s0
	s_or_b32 s1, s0, s1
	s_delay_alu instid0(SALU_CYCLE_1)
	s_and_not1_b32 exec_lo, exec_lo, s1
	s_cbranch_execnz .LBB1_1206
; %bb.1211:                             ;   in Loop: Header=BB1_1206 Depth=2
	s_or_b32 exec_lo, exec_lo, s1
	s_wait_loadcnt 0x0
	v_dual_mov_b32 v7, v8 :: v_dual_mov_b32 v1, 0
	s_mov_b32 s1, 0
	s_delay_alu instid0(VALU_DEP_1) | instskip(SKIP_1) | instid1(SALU_CYCLE_1)
	v_cmp_eq_u64_e32 vcc_lo, s[12:13], v[6:7]
	s_or_b32 s14, vcc_lo, s14
	s_and_not1_b32 exec_lo, exec_lo, s14
	s_cbranch_execnz .LBB1_1206
; %bb.1212:                             ;   in Loop: Header=BB1_1 Depth=1
	s_or_b32 exec_lo, exec_lo, s14
	s_add_co_i32 s6, s2, 0xad
	s_mov_b32 s14, 0
	s_mul_hi_u32 s0, s6, 0x10624dd3
	s_mov_b32 s15, s12
	s_lshr_b32 s3, s0, 6
	s_or_b64 s[0:1], s[14:15], s[12:13]
	s_mulk_i32 s3, 0x3e8
	v_dual_mov_b32 v2, s0 :: v_dual_mov_b32 v3, s1
	s_sub_co_i32 s3, s6, s3
	s_mov_b32 s1, s5
	s_lshl_b32 s0, s3, 12
	v_lshl_add_u64 v[6:7], s[4:5], 4, v[12:13]
	v_add_nc_u64_e32 v[14:15], s[0:1], v[10:11]
	v_dual_mov_b32 v5, s12 :: v_dual_mov_b32 v1, 0
	s_lshl_b32 s4, s3, 8
	s_mov_b32 s7, s5
	s_mov_b32 s1, s14
	global_store_b128 v[6:7], v[2:5], off th:TH_STORE_NT
.LBB1_1213:                             ;   Parent Loop BB1_1 Depth=1
                                        ; =>  This Inner Loop Header: Depth=2
	s_wait_loadcnt 0x0
	global_load_b128 v[6:9], v[14:15], off th:TH_LOAD_NT
	v_add_nc_u32_e32 v1, 1, v1
	s_mov_b32 s0, -1
	s_mov_b32 s3, -1
	s_mov_b32 s12, exec_lo
	s_wait_xcnt 0x0
	v_cmpx_eq_u32_e32 0xf4240, v1
	s_cbranch_execz .LBB1_1215
; %bb.1214:                             ;   in Loop: Header=BB1_1213 Depth=2
	s_wait_loadcnt 0x0
	s_wait_storecnt 0x0
	global_load_b32 v1, v4, s[10:11] scope:SCOPE_SYS
	s_wait_loadcnt 0x0
	global_inv scope:SCOPE_SYS
	v_cmp_eq_u32_e32 vcc_lo, 0, v1
	v_mov_b32_e32 v1, 0
	s_or_not1_b32 s3, vcc_lo, exec_lo
.LBB1_1215:                             ;   in Loop: Header=BB1_1213 Depth=2
	s_wait_xcnt 0x0
	s_or_b32 exec_lo, exec_lo, s12
	s_and_saveexec_b32 s12, s3
	s_cbranch_execz .LBB1_1217
; %bb.1216:                             ;   in Loop: Header=BB1_1213 Depth=2
	s_wait_loadcnt 0x0
	v_cmp_eq_u32_e32 vcc_lo, s6, v7
	v_cmp_eq_u32_e64 s0, s6, v9
	s_and_b32 s0, vcc_lo, s0
	s_delay_alu instid0(SALU_CYCLE_1)
	s_or_not1_b32 s0, s0, exec_lo
.LBB1_1217:                             ;   in Loop: Header=BB1_1213 Depth=2
	s_or_b32 exec_lo, exec_lo, s12
	s_delay_alu instid0(SALU_CYCLE_1) | instskip(NEXT) | instid1(SALU_CYCLE_1)
	s_and_b32 s0, exec_lo, s0
	s_or_b32 s1, s0, s1
	s_delay_alu instid0(SALU_CYCLE_1)
	s_and_not1_b32 exec_lo, exec_lo, s1
	s_cbranch_execnz .LBB1_1213
; %bb.1218:                             ;   in Loop: Header=BB1_1213 Depth=2
	s_or_b32 exec_lo, exec_lo, s1
	s_wait_loadcnt 0x0
	v_dual_mov_b32 v7, v8 :: v_dual_mov_b32 v1, 0
	s_mov_b32 s1, 0
	s_delay_alu instid0(VALU_DEP_1) | instskip(SKIP_1) | instid1(SALU_CYCLE_1)
	v_cmp_eq_u64_e32 vcc_lo, s[6:7], v[6:7]
	s_or_b32 s14, vcc_lo, s14
	s_and_not1_b32 exec_lo, exec_lo, s14
	s_cbranch_execnz .LBB1_1213
; %bb.1219:                             ;   in Loop: Header=BB1_1 Depth=1
	s_or_b32 exec_lo, exec_lo, s14
	s_add_co_i32 s12, s2, 0xae
	s_mov_b32 s14, 0
	s_mul_hi_u32 s0, s12, 0x10624dd3
	s_mov_b32 s15, s6
	s_lshr_b32 s3, s0, 6
	s_or_b64 s[0:1], s[14:15], s[6:7]
	s_mulk_i32 s3, 0x3e8
	v_dual_mov_b32 v2, s0 :: v_dual_mov_b32 v3, s1
	s_sub_co_i32 s3, s12, s3
	s_mov_b32 s1, s5
	s_lshl_b32 s0, s3, 12
	v_lshl_add_u64 v[6:7], s[4:5], 4, v[12:13]
	v_add_nc_u64_e32 v[14:15], s[0:1], v[10:11]
	v_dual_mov_b32 v5, s6 :: v_dual_mov_b32 v1, 0
	s_lshl_b32 s4, s3, 8
	s_mov_b32 s13, s5
	s_mov_b32 s1, s14
	global_store_b128 v[6:7], v[2:5], off th:TH_STORE_NT
.LBB1_1220:                             ;   Parent Loop BB1_1 Depth=1
                                        ; =>  This Inner Loop Header: Depth=2
	s_wait_loadcnt 0x0
	global_load_b128 v[6:9], v[14:15], off th:TH_LOAD_NT
	v_add_nc_u32_e32 v1, 1, v1
	s_mov_b32 s0, -1
	s_mov_b32 s3, -1
	s_mov_b32 s6, exec_lo
	s_wait_xcnt 0x0
	v_cmpx_eq_u32_e32 0xf4240, v1
	s_cbranch_execz .LBB1_1222
; %bb.1221:                             ;   in Loop: Header=BB1_1220 Depth=2
	s_wait_loadcnt 0x0
	s_wait_storecnt 0x0
	global_load_b32 v1, v4, s[10:11] scope:SCOPE_SYS
	s_wait_loadcnt 0x0
	global_inv scope:SCOPE_SYS
	v_cmp_eq_u32_e32 vcc_lo, 0, v1
	v_mov_b32_e32 v1, 0
	s_or_not1_b32 s3, vcc_lo, exec_lo
.LBB1_1222:                             ;   in Loop: Header=BB1_1220 Depth=2
	s_wait_xcnt 0x0
	s_or_b32 exec_lo, exec_lo, s6
	s_and_saveexec_b32 s6, s3
	s_cbranch_execz .LBB1_1224
; %bb.1223:                             ;   in Loop: Header=BB1_1220 Depth=2
	s_wait_loadcnt 0x0
	v_cmp_eq_u32_e32 vcc_lo, s12, v7
	v_cmp_eq_u32_e64 s0, s12, v9
	s_and_b32 s0, vcc_lo, s0
	s_delay_alu instid0(SALU_CYCLE_1)
	s_or_not1_b32 s0, s0, exec_lo
.LBB1_1224:                             ;   in Loop: Header=BB1_1220 Depth=2
	s_or_b32 exec_lo, exec_lo, s6
	s_delay_alu instid0(SALU_CYCLE_1) | instskip(NEXT) | instid1(SALU_CYCLE_1)
	s_and_b32 s0, exec_lo, s0
	s_or_b32 s1, s0, s1
	s_delay_alu instid0(SALU_CYCLE_1)
	s_and_not1_b32 exec_lo, exec_lo, s1
	s_cbranch_execnz .LBB1_1220
; %bb.1225:                             ;   in Loop: Header=BB1_1220 Depth=2
	s_or_b32 exec_lo, exec_lo, s1
	s_wait_loadcnt 0x0
	v_dual_mov_b32 v7, v8 :: v_dual_mov_b32 v1, 0
	s_mov_b32 s1, 0
	s_delay_alu instid0(VALU_DEP_1) | instskip(SKIP_1) | instid1(SALU_CYCLE_1)
	v_cmp_eq_u64_e32 vcc_lo, s[12:13], v[6:7]
	s_or_b32 s14, vcc_lo, s14
	s_and_not1_b32 exec_lo, exec_lo, s14
	s_cbranch_execnz .LBB1_1220
; %bb.1226:                             ;   in Loop: Header=BB1_1 Depth=1
	s_or_b32 exec_lo, exec_lo, s14
	s_add_co_i32 s6, s2, 0xaf
	s_mov_b32 s14, 0
	s_mul_hi_u32 s0, s6, 0x10624dd3
	s_mov_b32 s15, s12
	s_lshr_b32 s3, s0, 6
	s_or_b64 s[0:1], s[14:15], s[12:13]
	s_mulk_i32 s3, 0x3e8
	v_dual_mov_b32 v2, s0 :: v_dual_mov_b32 v3, s1
	s_sub_co_i32 s3, s6, s3
	s_mov_b32 s1, s5
	s_lshl_b32 s0, s3, 12
	v_lshl_add_u64 v[6:7], s[4:5], 4, v[12:13]
	v_add_nc_u64_e32 v[14:15], s[0:1], v[10:11]
	v_dual_mov_b32 v5, s12 :: v_dual_mov_b32 v1, 0
	s_lshl_b32 s4, s3, 8
	s_mov_b32 s7, s5
	s_mov_b32 s1, s14
	global_store_b128 v[6:7], v[2:5], off th:TH_STORE_NT
.LBB1_1227:                             ;   Parent Loop BB1_1 Depth=1
                                        ; =>  This Inner Loop Header: Depth=2
	s_wait_loadcnt 0x0
	global_load_b128 v[6:9], v[14:15], off th:TH_LOAD_NT
	v_add_nc_u32_e32 v1, 1, v1
	s_mov_b32 s0, -1
	s_mov_b32 s3, -1
	s_mov_b32 s12, exec_lo
	s_wait_xcnt 0x0
	v_cmpx_eq_u32_e32 0xf4240, v1
	s_cbranch_execz .LBB1_1229
; %bb.1228:                             ;   in Loop: Header=BB1_1227 Depth=2
	s_wait_loadcnt 0x0
	s_wait_storecnt 0x0
	global_load_b32 v1, v4, s[10:11] scope:SCOPE_SYS
	s_wait_loadcnt 0x0
	global_inv scope:SCOPE_SYS
	v_cmp_eq_u32_e32 vcc_lo, 0, v1
	v_mov_b32_e32 v1, 0
	s_or_not1_b32 s3, vcc_lo, exec_lo
.LBB1_1229:                             ;   in Loop: Header=BB1_1227 Depth=2
	s_wait_xcnt 0x0
	s_or_b32 exec_lo, exec_lo, s12
	s_and_saveexec_b32 s12, s3
	s_cbranch_execz .LBB1_1231
; %bb.1230:                             ;   in Loop: Header=BB1_1227 Depth=2
	s_wait_loadcnt 0x0
	v_cmp_eq_u32_e32 vcc_lo, s6, v7
	v_cmp_eq_u32_e64 s0, s6, v9
	s_and_b32 s0, vcc_lo, s0
	s_delay_alu instid0(SALU_CYCLE_1)
	s_or_not1_b32 s0, s0, exec_lo
.LBB1_1231:                             ;   in Loop: Header=BB1_1227 Depth=2
	s_or_b32 exec_lo, exec_lo, s12
	s_delay_alu instid0(SALU_CYCLE_1) | instskip(NEXT) | instid1(SALU_CYCLE_1)
	s_and_b32 s0, exec_lo, s0
	s_or_b32 s1, s0, s1
	s_delay_alu instid0(SALU_CYCLE_1)
	s_and_not1_b32 exec_lo, exec_lo, s1
	s_cbranch_execnz .LBB1_1227
; %bb.1232:                             ;   in Loop: Header=BB1_1227 Depth=2
	s_or_b32 exec_lo, exec_lo, s1
	s_wait_loadcnt 0x0
	v_dual_mov_b32 v7, v8 :: v_dual_mov_b32 v1, 0
	s_mov_b32 s1, 0
	s_delay_alu instid0(VALU_DEP_1) | instskip(SKIP_1) | instid1(SALU_CYCLE_1)
	v_cmp_eq_u64_e32 vcc_lo, s[6:7], v[6:7]
	s_or_b32 s14, vcc_lo, s14
	s_and_not1_b32 exec_lo, exec_lo, s14
	s_cbranch_execnz .LBB1_1227
; %bb.1233:                             ;   in Loop: Header=BB1_1 Depth=1
	s_or_b32 exec_lo, exec_lo, s14
	s_add_co_i32 s12, s2, 0xb0
	s_mov_b32 s14, 0
	s_mul_hi_u32 s0, s12, 0x10624dd3
	s_mov_b32 s15, s6
	s_lshr_b32 s3, s0, 6
	s_or_b64 s[0:1], s[14:15], s[6:7]
	s_mulk_i32 s3, 0x3e8
	v_dual_mov_b32 v2, s0 :: v_dual_mov_b32 v3, s1
	s_sub_co_i32 s3, s12, s3
	s_mov_b32 s1, s5
	s_lshl_b32 s0, s3, 12
	v_lshl_add_u64 v[6:7], s[4:5], 4, v[12:13]
	v_add_nc_u64_e32 v[14:15], s[0:1], v[10:11]
	v_dual_mov_b32 v5, s6 :: v_dual_mov_b32 v1, 0
	s_lshl_b32 s4, s3, 8
	s_mov_b32 s13, s5
	s_mov_b32 s1, s14
	global_store_b128 v[6:7], v[2:5], off th:TH_STORE_NT
.LBB1_1234:                             ;   Parent Loop BB1_1 Depth=1
                                        ; =>  This Inner Loop Header: Depth=2
	s_wait_loadcnt 0x0
	global_load_b128 v[6:9], v[14:15], off th:TH_LOAD_NT
	v_add_nc_u32_e32 v1, 1, v1
	s_mov_b32 s0, -1
	s_mov_b32 s3, -1
	s_mov_b32 s6, exec_lo
	s_wait_xcnt 0x0
	v_cmpx_eq_u32_e32 0xf4240, v1
	s_cbranch_execz .LBB1_1236
; %bb.1235:                             ;   in Loop: Header=BB1_1234 Depth=2
	s_wait_loadcnt 0x0
	s_wait_storecnt 0x0
	global_load_b32 v1, v4, s[10:11] scope:SCOPE_SYS
	s_wait_loadcnt 0x0
	global_inv scope:SCOPE_SYS
	v_cmp_eq_u32_e32 vcc_lo, 0, v1
	v_mov_b32_e32 v1, 0
	s_or_not1_b32 s3, vcc_lo, exec_lo
.LBB1_1236:                             ;   in Loop: Header=BB1_1234 Depth=2
	s_wait_xcnt 0x0
	s_or_b32 exec_lo, exec_lo, s6
	s_and_saveexec_b32 s6, s3
	s_cbranch_execz .LBB1_1238
; %bb.1237:                             ;   in Loop: Header=BB1_1234 Depth=2
	s_wait_loadcnt 0x0
	v_cmp_eq_u32_e32 vcc_lo, s12, v7
	v_cmp_eq_u32_e64 s0, s12, v9
	s_and_b32 s0, vcc_lo, s0
	s_delay_alu instid0(SALU_CYCLE_1)
	s_or_not1_b32 s0, s0, exec_lo
.LBB1_1238:                             ;   in Loop: Header=BB1_1234 Depth=2
	s_or_b32 exec_lo, exec_lo, s6
	s_delay_alu instid0(SALU_CYCLE_1) | instskip(NEXT) | instid1(SALU_CYCLE_1)
	s_and_b32 s0, exec_lo, s0
	s_or_b32 s1, s0, s1
	s_delay_alu instid0(SALU_CYCLE_1)
	s_and_not1_b32 exec_lo, exec_lo, s1
	s_cbranch_execnz .LBB1_1234
; %bb.1239:                             ;   in Loop: Header=BB1_1234 Depth=2
	s_or_b32 exec_lo, exec_lo, s1
	s_wait_loadcnt 0x0
	v_dual_mov_b32 v7, v8 :: v_dual_mov_b32 v1, 0
	s_mov_b32 s1, 0
	s_delay_alu instid0(VALU_DEP_1) | instskip(SKIP_1) | instid1(SALU_CYCLE_1)
	v_cmp_eq_u64_e32 vcc_lo, s[12:13], v[6:7]
	s_or_b32 s14, vcc_lo, s14
	s_and_not1_b32 exec_lo, exec_lo, s14
	s_cbranch_execnz .LBB1_1234
; %bb.1240:                             ;   in Loop: Header=BB1_1 Depth=1
	s_or_b32 exec_lo, exec_lo, s14
	s_add_co_i32 s6, s2, 0xb1
	s_mov_b32 s14, 0
	s_mul_hi_u32 s0, s6, 0x10624dd3
	s_mov_b32 s15, s12
	s_lshr_b32 s3, s0, 6
	s_or_b64 s[0:1], s[14:15], s[12:13]
	s_mulk_i32 s3, 0x3e8
	v_dual_mov_b32 v2, s0 :: v_dual_mov_b32 v3, s1
	s_sub_co_i32 s3, s6, s3
	s_mov_b32 s1, s5
	s_lshl_b32 s0, s3, 12
	v_lshl_add_u64 v[6:7], s[4:5], 4, v[12:13]
	v_add_nc_u64_e32 v[14:15], s[0:1], v[10:11]
	v_dual_mov_b32 v5, s12 :: v_dual_mov_b32 v1, 0
	s_lshl_b32 s4, s3, 8
	s_mov_b32 s7, s5
	s_mov_b32 s1, s14
	global_store_b128 v[6:7], v[2:5], off th:TH_STORE_NT
.LBB1_1241:                             ;   Parent Loop BB1_1 Depth=1
                                        ; =>  This Inner Loop Header: Depth=2
	s_wait_loadcnt 0x0
	global_load_b128 v[6:9], v[14:15], off th:TH_LOAD_NT
	v_add_nc_u32_e32 v1, 1, v1
	s_mov_b32 s0, -1
	s_mov_b32 s3, -1
	s_mov_b32 s12, exec_lo
	s_wait_xcnt 0x0
	v_cmpx_eq_u32_e32 0xf4240, v1
	s_cbranch_execz .LBB1_1243
; %bb.1242:                             ;   in Loop: Header=BB1_1241 Depth=2
	s_wait_loadcnt 0x0
	s_wait_storecnt 0x0
	global_load_b32 v1, v4, s[10:11] scope:SCOPE_SYS
	s_wait_loadcnt 0x0
	global_inv scope:SCOPE_SYS
	v_cmp_eq_u32_e32 vcc_lo, 0, v1
	v_mov_b32_e32 v1, 0
	s_or_not1_b32 s3, vcc_lo, exec_lo
.LBB1_1243:                             ;   in Loop: Header=BB1_1241 Depth=2
	s_wait_xcnt 0x0
	s_or_b32 exec_lo, exec_lo, s12
	s_and_saveexec_b32 s12, s3
	s_cbranch_execz .LBB1_1245
; %bb.1244:                             ;   in Loop: Header=BB1_1241 Depth=2
	s_wait_loadcnt 0x0
	v_cmp_eq_u32_e32 vcc_lo, s6, v7
	v_cmp_eq_u32_e64 s0, s6, v9
	s_and_b32 s0, vcc_lo, s0
	s_delay_alu instid0(SALU_CYCLE_1)
	s_or_not1_b32 s0, s0, exec_lo
.LBB1_1245:                             ;   in Loop: Header=BB1_1241 Depth=2
	s_or_b32 exec_lo, exec_lo, s12
	s_delay_alu instid0(SALU_CYCLE_1) | instskip(NEXT) | instid1(SALU_CYCLE_1)
	s_and_b32 s0, exec_lo, s0
	s_or_b32 s1, s0, s1
	s_delay_alu instid0(SALU_CYCLE_1)
	s_and_not1_b32 exec_lo, exec_lo, s1
	s_cbranch_execnz .LBB1_1241
; %bb.1246:                             ;   in Loop: Header=BB1_1241 Depth=2
	s_or_b32 exec_lo, exec_lo, s1
	s_wait_loadcnt 0x0
	v_dual_mov_b32 v7, v8 :: v_dual_mov_b32 v1, 0
	s_mov_b32 s1, 0
	s_delay_alu instid0(VALU_DEP_1) | instskip(SKIP_1) | instid1(SALU_CYCLE_1)
	v_cmp_eq_u64_e32 vcc_lo, s[6:7], v[6:7]
	s_or_b32 s14, vcc_lo, s14
	s_and_not1_b32 exec_lo, exec_lo, s14
	s_cbranch_execnz .LBB1_1241
; %bb.1247:                             ;   in Loop: Header=BB1_1 Depth=1
	s_or_b32 exec_lo, exec_lo, s14
	s_add_co_i32 s12, s2, 0xb2
	s_mov_b32 s14, 0
	s_mul_hi_u32 s0, s12, 0x10624dd3
	s_mov_b32 s15, s6
	s_lshr_b32 s3, s0, 6
	s_or_b64 s[0:1], s[14:15], s[6:7]
	s_mulk_i32 s3, 0x3e8
	v_dual_mov_b32 v2, s0 :: v_dual_mov_b32 v3, s1
	s_sub_co_i32 s3, s12, s3
	s_mov_b32 s1, s5
	s_lshl_b32 s0, s3, 12
	v_lshl_add_u64 v[6:7], s[4:5], 4, v[12:13]
	v_add_nc_u64_e32 v[14:15], s[0:1], v[10:11]
	v_dual_mov_b32 v5, s6 :: v_dual_mov_b32 v1, 0
	s_lshl_b32 s4, s3, 8
	s_mov_b32 s13, s5
	s_mov_b32 s1, s14
	global_store_b128 v[6:7], v[2:5], off th:TH_STORE_NT
.LBB1_1248:                             ;   Parent Loop BB1_1 Depth=1
                                        ; =>  This Inner Loop Header: Depth=2
	s_wait_loadcnt 0x0
	global_load_b128 v[6:9], v[14:15], off th:TH_LOAD_NT
	v_add_nc_u32_e32 v1, 1, v1
	s_mov_b32 s0, -1
	s_mov_b32 s3, -1
	s_mov_b32 s6, exec_lo
	s_wait_xcnt 0x0
	v_cmpx_eq_u32_e32 0xf4240, v1
	s_cbranch_execz .LBB1_1250
; %bb.1249:                             ;   in Loop: Header=BB1_1248 Depth=2
	s_wait_loadcnt 0x0
	s_wait_storecnt 0x0
	global_load_b32 v1, v4, s[10:11] scope:SCOPE_SYS
	s_wait_loadcnt 0x0
	global_inv scope:SCOPE_SYS
	v_cmp_eq_u32_e32 vcc_lo, 0, v1
	v_mov_b32_e32 v1, 0
	s_or_not1_b32 s3, vcc_lo, exec_lo
.LBB1_1250:                             ;   in Loop: Header=BB1_1248 Depth=2
	s_wait_xcnt 0x0
	s_or_b32 exec_lo, exec_lo, s6
	s_and_saveexec_b32 s6, s3
	s_cbranch_execz .LBB1_1252
; %bb.1251:                             ;   in Loop: Header=BB1_1248 Depth=2
	s_wait_loadcnt 0x0
	v_cmp_eq_u32_e32 vcc_lo, s12, v7
	v_cmp_eq_u32_e64 s0, s12, v9
	s_and_b32 s0, vcc_lo, s0
	s_delay_alu instid0(SALU_CYCLE_1)
	s_or_not1_b32 s0, s0, exec_lo
.LBB1_1252:                             ;   in Loop: Header=BB1_1248 Depth=2
	s_or_b32 exec_lo, exec_lo, s6
	s_delay_alu instid0(SALU_CYCLE_1) | instskip(NEXT) | instid1(SALU_CYCLE_1)
	s_and_b32 s0, exec_lo, s0
	s_or_b32 s1, s0, s1
	s_delay_alu instid0(SALU_CYCLE_1)
	s_and_not1_b32 exec_lo, exec_lo, s1
	s_cbranch_execnz .LBB1_1248
; %bb.1253:                             ;   in Loop: Header=BB1_1248 Depth=2
	s_or_b32 exec_lo, exec_lo, s1
	s_wait_loadcnt 0x0
	v_dual_mov_b32 v7, v8 :: v_dual_mov_b32 v1, 0
	s_mov_b32 s1, 0
	s_delay_alu instid0(VALU_DEP_1) | instskip(SKIP_1) | instid1(SALU_CYCLE_1)
	v_cmp_eq_u64_e32 vcc_lo, s[12:13], v[6:7]
	s_or_b32 s14, vcc_lo, s14
	s_and_not1_b32 exec_lo, exec_lo, s14
	s_cbranch_execnz .LBB1_1248
; %bb.1254:                             ;   in Loop: Header=BB1_1 Depth=1
	s_or_b32 exec_lo, exec_lo, s14
	s_add_co_i32 s6, s2, 0xb3
	s_mov_b32 s14, 0
	s_mul_hi_u32 s0, s6, 0x10624dd3
	s_mov_b32 s15, s12
	s_lshr_b32 s3, s0, 6
	s_or_b64 s[0:1], s[14:15], s[12:13]
	s_mulk_i32 s3, 0x3e8
	v_dual_mov_b32 v2, s0 :: v_dual_mov_b32 v3, s1
	s_sub_co_i32 s3, s6, s3
	s_mov_b32 s1, s5
	s_lshl_b32 s0, s3, 12
	v_lshl_add_u64 v[6:7], s[4:5], 4, v[12:13]
	v_add_nc_u64_e32 v[14:15], s[0:1], v[10:11]
	v_dual_mov_b32 v5, s12 :: v_dual_mov_b32 v1, 0
	s_lshl_b32 s4, s3, 8
	s_mov_b32 s7, s5
	s_mov_b32 s1, s14
	global_store_b128 v[6:7], v[2:5], off th:TH_STORE_NT
.LBB1_1255:                             ;   Parent Loop BB1_1 Depth=1
                                        ; =>  This Inner Loop Header: Depth=2
	s_wait_loadcnt 0x0
	global_load_b128 v[6:9], v[14:15], off th:TH_LOAD_NT
	v_add_nc_u32_e32 v1, 1, v1
	s_mov_b32 s0, -1
	s_mov_b32 s3, -1
	s_mov_b32 s12, exec_lo
	s_wait_xcnt 0x0
	v_cmpx_eq_u32_e32 0xf4240, v1
	s_cbranch_execz .LBB1_1257
; %bb.1256:                             ;   in Loop: Header=BB1_1255 Depth=2
	s_wait_loadcnt 0x0
	s_wait_storecnt 0x0
	global_load_b32 v1, v4, s[10:11] scope:SCOPE_SYS
	s_wait_loadcnt 0x0
	global_inv scope:SCOPE_SYS
	v_cmp_eq_u32_e32 vcc_lo, 0, v1
	v_mov_b32_e32 v1, 0
	s_or_not1_b32 s3, vcc_lo, exec_lo
.LBB1_1257:                             ;   in Loop: Header=BB1_1255 Depth=2
	s_wait_xcnt 0x0
	s_or_b32 exec_lo, exec_lo, s12
	s_and_saveexec_b32 s12, s3
	s_cbranch_execz .LBB1_1259
; %bb.1258:                             ;   in Loop: Header=BB1_1255 Depth=2
	s_wait_loadcnt 0x0
	v_cmp_eq_u32_e32 vcc_lo, s6, v7
	v_cmp_eq_u32_e64 s0, s6, v9
	s_and_b32 s0, vcc_lo, s0
	s_delay_alu instid0(SALU_CYCLE_1)
	s_or_not1_b32 s0, s0, exec_lo
.LBB1_1259:                             ;   in Loop: Header=BB1_1255 Depth=2
	s_or_b32 exec_lo, exec_lo, s12
	s_delay_alu instid0(SALU_CYCLE_1) | instskip(NEXT) | instid1(SALU_CYCLE_1)
	s_and_b32 s0, exec_lo, s0
	s_or_b32 s1, s0, s1
	s_delay_alu instid0(SALU_CYCLE_1)
	s_and_not1_b32 exec_lo, exec_lo, s1
	s_cbranch_execnz .LBB1_1255
; %bb.1260:                             ;   in Loop: Header=BB1_1255 Depth=2
	s_or_b32 exec_lo, exec_lo, s1
	s_wait_loadcnt 0x0
	v_dual_mov_b32 v7, v8 :: v_dual_mov_b32 v1, 0
	s_mov_b32 s1, 0
	s_delay_alu instid0(VALU_DEP_1) | instskip(SKIP_1) | instid1(SALU_CYCLE_1)
	v_cmp_eq_u64_e32 vcc_lo, s[6:7], v[6:7]
	s_or_b32 s14, vcc_lo, s14
	s_and_not1_b32 exec_lo, exec_lo, s14
	s_cbranch_execnz .LBB1_1255
; %bb.1261:                             ;   in Loop: Header=BB1_1 Depth=1
	s_or_b32 exec_lo, exec_lo, s14
	s_add_co_i32 s12, s2, 0xb4
	s_mov_b32 s14, 0
	s_mul_hi_u32 s0, s12, 0x10624dd3
	s_mov_b32 s15, s6
	s_lshr_b32 s3, s0, 6
	s_or_b64 s[0:1], s[14:15], s[6:7]
	s_mulk_i32 s3, 0x3e8
	v_dual_mov_b32 v2, s0 :: v_dual_mov_b32 v3, s1
	s_sub_co_i32 s3, s12, s3
	s_mov_b32 s1, s5
	s_lshl_b32 s0, s3, 12
	v_lshl_add_u64 v[6:7], s[4:5], 4, v[12:13]
	v_add_nc_u64_e32 v[14:15], s[0:1], v[10:11]
	v_dual_mov_b32 v5, s6 :: v_dual_mov_b32 v1, 0
	s_lshl_b32 s4, s3, 8
	s_mov_b32 s13, s5
	s_mov_b32 s1, s14
	global_store_b128 v[6:7], v[2:5], off th:TH_STORE_NT
.LBB1_1262:                             ;   Parent Loop BB1_1 Depth=1
                                        ; =>  This Inner Loop Header: Depth=2
	s_wait_loadcnt 0x0
	global_load_b128 v[6:9], v[14:15], off th:TH_LOAD_NT
	v_add_nc_u32_e32 v1, 1, v1
	s_mov_b32 s0, -1
	s_mov_b32 s3, -1
	s_mov_b32 s6, exec_lo
	s_wait_xcnt 0x0
	v_cmpx_eq_u32_e32 0xf4240, v1
	s_cbranch_execz .LBB1_1264
; %bb.1263:                             ;   in Loop: Header=BB1_1262 Depth=2
	s_wait_loadcnt 0x0
	s_wait_storecnt 0x0
	global_load_b32 v1, v4, s[10:11] scope:SCOPE_SYS
	s_wait_loadcnt 0x0
	global_inv scope:SCOPE_SYS
	v_cmp_eq_u32_e32 vcc_lo, 0, v1
	v_mov_b32_e32 v1, 0
	s_or_not1_b32 s3, vcc_lo, exec_lo
.LBB1_1264:                             ;   in Loop: Header=BB1_1262 Depth=2
	s_wait_xcnt 0x0
	s_or_b32 exec_lo, exec_lo, s6
	s_and_saveexec_b32 s6, s3
	s_cbranch_execz .LBB1_1266
; %bb.1265:                             ;   in Loop: Header=BB1_1262 Depth=2
	s_wait_loadcnt 0x0
	v_cmp_eq_u32_e32 vcc_lo, s12, v7
	v_cmp_eq_u32_e64 s0, s12, v9
	s_and_b32 s0, vcc_lo, s0
	s_delay_alu instid0(SALU_CYCLE_1)
	s_or_not1_b32 s0, s0, exec_lo
.LBB1_1266:                             ;   in Loop: Header=BB1_1262 Depth=2
	s_or_b32 exec_lo, exec_lo, s6
	s_delay_alu instid0(SALU_CYCLE_1) | instskip(NEXT) | instid1(SALU_CYCLE_1)
	s_and_b32 s0, exec_lo, s0
	s_or_b32 s1, s0, s1
	s_delay_alu instid0(SALU_CYCLE_1)
	s_and_not1_b32 exec_lo, exec_lo, s1
	s_cbranch_execnz .LBB1_1262
; %bb.1267:                             ;   in Loop: Header=BB1_1262 Depth=2
	s_or_b32 exec_lo, exec_lo, s1
	s_wait_loadcnt 0x0
	v_dual_mov_b32 v7, v8 :: v_dual_mov_b32 v1, 0
	s_mov_b32 s1, 0
	s_delay_alu instid0(VALU_DEP_1) | instskip(SKIP_1) | instid1(SALU_CYCLE_1)
	v_cmp_eq_u64_e32 vcc_lo, s[12:13], v[6:7]
	s_or_b32 s14, vcc_lo, s14
	s_and_not1_b32 exec_lo, exec_lo, s14
	s_cbranch_execnz .LBB1_1262
; %bb.1268:                             ;   in Loop: Header=BB1_1 Depth=1
	s_or_b32 exec_lo, exec_lo, s14
	s_add_co_i32 s6, s2, 0xb5
	s_mov_b32 s14, 0
	s_mul_hi_u32 s0, s6, 0x10624dd3
	s_mov_b32 s15, s12
	s_lshr_b32 s3, s0, 6
	s_or_b64 s[0:1], s[14:15], s[12:13]
	s_mulk_i32 s3, 0x3e8
	v_dual_mov_b32 v2, s0 :: v_dual_mov_b32 v3, s1
	s_sub_co_i32 s3, s6, s3
	s_mov_b32 s1, s5
	s_lshl_b32 s0, s3, 12
	v_lshl_add_u64 v[6:7], s[4:5], 4, v[12:13]
	v_add_nc_u64_e32 v[14:15], s[0:1], v[10:11]
	v_dual_mov_b32 v5, s12 :: v_dual_mov_b32 v1, 0
	s_lshl_b32 s4, s3, 8
	s_mov_b32 s7, s5
	s_mov_b32 s1, s14
	global_store_b128 v[6:7], v[2:5], off th:TH_STORE_NT
.LBB1_1269:                             ;   Parent Loop BB1_1 Depth=1
                                        ; =>  This Inner Loop Header: Depth=2
	s_wait_loadcnt 0x0
	global_load_b128 v[6:9], v[14:15], off th:TH_LOAD_NT
	v_add_nc_u32_e32 v1, 1, v1
	s_mov_b32 s0, -1
	s_mov_b32 s3, -1
	s_mov_b32 s12, exec_lo
	s_wait_xcnt 0x0
	v_cmpx_eq_u32_e32 0xf4240, v1
	s_cbranch_execz .LBB1_1271
; %bb.1270:                             ;   in Loop: Header=BB1_1269 Depth=2
	s_wait_loadcnt 0x0
	s_wait_storecnt 0x0
	global_load_b32 v1, v4, s[10:11] scope:SCOPE_SYS
	s_wait_loadcnt 0x0
	global_inv scope:SCOPE_SYS
	v_cmp_eq_u32_e32 vcc_lo, 0, v1
	v_mov_b32_e32 v1, 0
	s_or_not1_b32 s3, vcc_lo, exec_lo
.LBB1_1271:                             ;   in Loop: Header=BB1_1269 Depth=2
	s_wait_xcnt 0x0
	s_or_b32 exec_lo, exec_lo, s12
	s_and_saveexec_b32 s12, s3
	s_cbranch_execz .LBB1_1273
; %bb.1272:                             ;   in Loop: Header=BB1_1269 Depth=2
	s_wait_loadcnt 0x0
	v_cmp_eq_u32_e32 vcc_lo, s6, v7
	v_cmp_eq_u32_e64 s0, s6, v9
	s_and_b32 s0, vcc_lo, s0
	s_delay_alu instid0(SALU_CYCLE_1)
	s_or_not1_b32 s0, s0, exec_lo
.LBB1_1273:                             ;   in Loop: Header=BB1_1269 Depth=2
	s_or_b32 exec_lo, exec_lo, s12
	s_delay_alu instid0(SALU_CYCLE_1) | instskip(NEXT) | instid1(SALU_CYCLE_1)
	s_and_b32 s0, exec_lo, s0
	s_or_b32 s1, s0, s1
	s_delay_alu instid0(SALU_CYCLE_1)
	s_and_not1_b32 exec_lo, exec_lo, s1
	s_cbranch_execnz .LBB1_1269
; %bb.1274:                             ;   in Loop: Header=BB1_1269 Depth=2
	s_or_b32 exec_lo, exec_lo, s1
	s_wait_loadcnt 0x0
	v_dual_mov_b32 v7, v8 :: v_dual_mov_b32 v1, 0
	s_mov_b32 s1, 0
	s_delay_alu instid0(VALU_DEP_1) | instskip(SKIP_1) | instid1(SALU_CYCLE_1)
	v_cmp_eq_u64_e32 vcc_lo, s[6:7], v[6:7]
	s_or_b32 s14, vcc_lo, s14
	s_and_not1_b32 exec_lo, exec_lo, s14
	s_cbranch_execnz .LBB1_1269
; %bb.1275:                             ;   in Loop: Header=BB1_1 Depth=1
	s_or_b32 exec_lo, exec_lo, s14
	s_add_co_i32 s12, s2, 0xb6
	s_mov_b32 s14, 0
	s_mul_hi_u32 s0, s12, 0x10624dd3
	s_mov_b32 s15, s6
	s_lshr_b32 s3, s0, 6
	s_or_b64 s[0:1], s[14:15], s[6:7]
	s_mulk_i32 s3, 0x3e8
	v_dual_mov_b32 v2, s0 :: v_dual_mov_b32 v3, s1
	s_sub_co_i32 s3, s12, s3
	s_mov_b32 s1, s5
	s_lshl_b32 s0, s3, 12
	v_lshl_add_u64 v[6:7], s[4:5], 4, v[12:13]
	v_add_nc_u64_e32 v[14:15], s[0:1], v[10:11]
	v_dual_mov_b32 v5, s6 :: v_dual_mov_b32 v1, 0
	s_lshl_b32 s4, s3, 8
	s_mov_b32 s13, s5
	s_mov_b32 s1, s14
	global_store_b128 v[6:7], v[2:5], off th:TH_STORE_NT
.LBB1_1276:                             ;   Parent Loop BB1_1 Depth=1
                                        ; =>  This Inner Loop Header: Depth=2
	s_wait_loadcnt 0x0
	global_load_b128 v[6:9], v[14:15], off th:TH_LOAD_NT
	v_add_nc_u32_e32 v1, 1, v1
	s_mov_b32 s0, -1
	s_mov_b32 s3, -1
	s_mov_b32 s6, exec_lo
	s_wait_xcnt 0x0
	v_cmpx_eq_u32_e32 0xf4240, v1
	s_cbranch_execz .LBB1_1278
; %bb.1277:                             ;   in Loop: Header=BB1_1276 Depth=2
	s_wait_loadcnt 0x0
	s_wait_storecnt 0x0
	global_load_b32 v1, v4, s[10:11] scope:SCOPE_SYS
	s_wait_loadcnt 0x0
	global_inv scope:SCOPE_SYS
	v_cmp_eq_u32_e32 vcc_lo, 0, v1
	v_mov_b32_e32 v1, 0
	s_or_not1_b32 s3, vcc_lo, exec_lo
.LBB1_1278:                             ;   in Loop: Header=BB1_1276 Depth=2
	s_wait_xcnt 0x0
	s_or_b32 exec_lo, exec_lo, s6
	s_and_saveexec_b32 s6, s3
	s_cbranch_execz .LBB1_1280
; %bb.1279:                             ;   in Loop: Header=BB1_1276 Depth=2
	s_wait_loadcnt 0x0
	v_cmp_eq_u32_e32 vcc_lo, s12, v7
	v_cmp_eq_u32_e64 s0, s12, v9
	s_and_b32 s0, vcc_lo, s0
	s_delay_alu instid0(SALU_CYCLE_1)
	s_or_not1_b32 s0, s0, exec_lo
.LBB1_1280:                             ;   in Loop: Header=BB1_1276 Depth=2
	s_or_b32 exec_lo, exec_lo, s6
	s_delay_alu instid0(SALU_CYCLE_1) | instskip(NEXT) | instid1(SALU_CYCLE_1)
	s_and_b32 s0, exec_lo, s0
	s_or_b32 s1, s0, s1
	s_delay_alu instid0(SALU_CYCLE_1)
	s_and_not1_b32 exec_lo, exec_lo, s1
	s_cbranch_execnz .LBB1_1276
; %bb.1281:                             ;   in Loop: Header=BB1_1276 Depth=2
	s_or_b32 exec_lo, exec_lo, s1
	s_wait_loadcnt 0x0
	v_dual_mov_b32 v7, v8 :: v_dual_mov_b32 v1, 0
	s_mov_b32 s1, 0
	s_delay_alu instid0(VALU_DEP_1) | instskip(SKIP_1) | instid1(SALU_CYCLE_1)
	v_cmp_eq_u64_e32 vcc_lo, s[12:13], v[6:7]
	s_or_b32 s14, vcc_lo, s14
	s_and_not1_b32 exec_lo, exec_lo, s14
	s_cbranch_execnz .LBB1_1276
; %bb.1282:                             ;   in Loop: Header=BB1_1 Depth=1
	s_or_b32 exec_lo, exec_lo, s14
	s_add_co_i32 s6, s2, 0xb7
	s_mov_b32 s14, 0
	s_mul_hi_u32 s0, s6, 0x10624dd3
	s_mov_b32 s15, s12
	s_lshr_b32 s3, s0, 6
	s_or_b64 s[0:1], s[14:15], s[12:13]
	s_mulk_i32 s3, 0x3e8
	v_dual_mov_b32 v2, s0 :: v_dual_mov_b32 v3, s1
	s_sub_co_i32 s3, s6, s3
	s_mov_b32 s1, s5
	s_lshl_b32 s0, s3, 12
	v_lshl_add_u64 v[6:7], s[4:5], 4, v[12:13]
	v_add_nc_u64_e32 v[14:15], s[0:1], v[10:11]
	v_dual_mov_b32 v5, s12 :: v_dual_mov_b32 v1, 0
	s_lshl_b32 s4, s3, 8
	s_mov_b32 s7, s5
	s_mov_b32 s1, s14
	global_store_b128 v[6:7], v[2:5], off th:TH_STORE_NT
.LBB1_1283:                             ;   Parent Loop BB1_1 Depth=1
                                        ; =>  This Inner Loop Header: Depth=2
	s_wait_loadcnt 0x0
	global_load_b128 v[6:9], v[14:15], off th:TH_LOAD_NT
	v_add_nc_u32_e32 v1, 1, v1
	s_mov_b32 s0, -1
	s_mov_b32 s3, -1
	s_mov_b32 s12, exec_lo
	s_wait_xcnt 0x0
	v_cmpx_eq_u32_e32 0xf4240, v1
	s_cbranch_execz .LBB1_1285
; %bb.1284:                             ;   in Loop: Header=BB1_1283 Depth=2
	s_wait_loadcnt 0x0
	s_wait_storecnt 0x0
	global_load_b32 v1, v4, s[10:11] scope:SCOPE_SYS
	s_wait_loadcnt 0x0
	global_inv scope:SCOPE_SYS
	v_cmp_eq_u32_e32 vcc_lo, 0, v1
	v_mov_b32_e32 v1, 0
	s_or_not1_b32 s3, vcc_lo, exec_lo
.LBB1_1285:                             ;   in Loop: Header=BB1_1283 Depth=2
	s_wait_xcnt 0x0
	s_or_b32 exec_lo, exec_lo, s12
	s_and_saveexec_b32 s12, s3
	s_cbranch_execz .LBB1_1287
; %bb.1286:                             ;   in Loop: Header=BB1_1283 Depth=2
	s_wait_loadcnt 0x0
	v_cmp_eq_u32_e32 vcc_lo, s6, v7
	v_cmp_eq_u32_e64 s0, s6, v9
	s_and_b32 s0, vcc_lo, s0
	s_delay_alu instid0(SALU_CYCLE_1)
	s_or_not1_b32 s0, s0, exec_lo
.LBB1_1287:                             ;   in Loop: Header=BB1_1283 Depth=2
	s_or_b32 exec_lo, exec_lo, s12
	s_delay_alu instid0(SALU_CYCLE_1) | instskip(NEXT) | instid1(SALU_CYCLE_1)
	s_and_b32 s0, exec_lo, s0
	s_or_b32 s1, s0, s1
	s_delay_alu instid0(SALU_CYCLE_1)
	s_and_not1_b32 exec_lo, exec_lo, s1
	s_cbranch_execnz .LBB1_1283
; %bb.1288:                             ;   in Loop: Header=BB1_1283 Depth=2
	s_or_b32 exec_lo, exec_lo, s1
	s_wait_loadcnt 0x0
	v_dual_mov_b32 v7, v8 :: v_dual_mov_b32 v1, 0
	s_mov_b32 s1, 0
	s_delay_alu instid0(VALU_DEP_1) | instskip(SKIP_1) | instid1(SALU_CYCLE_1)
	v_cmp_eq_u64_e32 vcc_lo, s[6:7], v[6:7]
	s_or_b32 s14, vcc_lo, s14
	s_and_not1_b32 exec_lo, exec_lo, s14
	s_cbranch_execnz .LBB1_1283
; %bb.1289:                             ;   in Loop: Header=BB1_1 Depth=1
	s_or_b32 exec_lo, exec_lo, s14
	s_add_co_i32 s12, s2, 0xb8
	s_mov_b32 s14, 0
	s_mul_hi_u32 s0, s12, 0x10624dd3
	s_mov_b32 s15, s6
	s_lshr_b32 s3, s0, 6
	s_or_b64 s[0:1], s[14:15], s[6:7]
	s_mulk_i32 s3, 0x3e8
	v_dual_mov_b32 v2, s0 :: v_dual_mov_b32 v3, s1
	s_sub_co_i32 s3, s12, s3
	s_mov_b32 s1, s5
	s_lshl_b32 s0, s3, 12
	v_lshl_add_u64 v[6:7], s[4:5], 4, v[12:13]
	v_add_nc_u64_e32 v[14:15], s[0:1], v[10:11]
	v_dual_mov_b32 v5, s6 :: v_dual_mov_b32 v1, 0
	s_lshl_b32 s4, s3, 8
	s_mov_b32 s13, s5
	s_mov_b32 s1, s14
	global_store_b128 v[6:7], v[2:5], off th:TH_STORE_NT
.LBB1_1290:                             ;   Parent Loop BB1_1 Depth=1
                                        ; =>  This Inner Loop Header: Depth=2
	s_wait_loadcnt 0x0
	global_load_b128 v[6:9], v[14:15], off th:TH_LOAD_NT
	v_add_nc_u32_e32 v1, 1, v1
	s_mov_b32 s0, -1
	s_mov_b32 s3, -1
	s_mov_b32 s6, exec_lo
	s_wait_xcnt 0x0
	v_cmpx_eq_u32_e32 0xf4240, v1
	s_cbranch_execz .LBB1_1292
; %bb.1291:                             ;   in Loop: Header=BB1_1290 Depth=2
	s_wait_loadcnt 0x0
	s_wait_storecnt 0x0
	global_load_b32 v1, v4, s[10:11] scope:SCOPE_SYS
	s_wait_loadcnt 0x0
	global_inv scope:SCOPE_SYS
	v_cmp_eq_u32_e32 vcc_lo, 0, v1
	v_mov_b32_e32 v1, 0
	s_or_not1_b32 s3, vcc_lo, exec_lo
.LBB1_1292:                             ;   in Loop: Header=BB1_1290 Depth=2
	s_wait_xcnt 0x0
	s_or_b32 exec_lo, exec_lo, s6
	s_and_saveexec_b32 s6, s3
	s_cbranch_execz .LBB1_1294
; %bb.1293:                             ;   in Loop: Header=BB1_1290 Depth=2
	s_wait_loadcnt 0x0
	v_cmp_eq_u32_e32 vcc_lo, s12, v7
	v_cmp_eq_u32_e64 s0, s12, v9
	s_and_b32 s0, vcc_lo, s0
	s_delay_alu instid0(SALU_CYCLE_1)
	s_or_not1_b32 s0, s0, exec_lo
.LBB1_1294:                             ;   in Loop: Header=BB1_1290 Depth=2
	s_or_b32 exec_lo, exec_lo, s6
	s_delay_alu instid0(SALU_CYCLE_1) | instskip(NEXT) | instid1(SALU_CYCLE_1)
	s_and_b32 s0, exec_lo, s0
	s_or_b32 s1, s0, s1
	s_delay_alu instid0(SALU_CYCLE_1)
	s_and_not1_b32 exec_lo, exec_lo, s1
	s_cbranch_execnz .LBB1_1290
; %bb.1295:                             ;   in Loop: Header=BB1_1290 Depth=2
	s_or_b32 exec_lo, exec_lo, s1
	s_wait_loadcnt 0x0
	v_dual_mov_b32 v7, v8 :: v_dual_mov_b32 v1, 0
	s_mov_b32 s1, 0
	s_delay_alu instid0(VALU_DEP_1) | instskip(SKIP_1) | instid1(SALU_CYCLE_1)
	v_cmp_eq_u64_e32 vcc_lo, s[12:13], v[6:7]
	s_or_b32 s14, vcc_lo, s14
	s_and_not1_b32 exec_lo, exec_lo, s14
	s_cbranch_execnz .LBB1_1290
; %bb.1296:                             ;   in Loop: Header=BB1_1 Depth=1
	s_or_b32 exec_lo, exec_lo, s14
	s_add_co_i32 s6, s2, 0xb9
	s_mov_b32 s14, 0
	s_mul_hi_u32 s0, s6, 0x10624dd3
	s_mov_b32 s15, s12
	s_lshr_b32 s3, s0, 6
	s_or_b64 s[0:1], s[14:15], s[12:13]
	s_mulk_i32 s3, 0x3e8
	v_dual_mov_b32 v2, s0 :: v_dual_mov_b32 v3, s1
	s_sub_co_i32 s3, s6, s3
	s_mov_b32 s1, s5
	s_lshl_b32 s0, s3, 12
	v_lshl_add_u64 v[6:7], s[4:5], 4, v[12:13]
	v_add_nc_u64_e32 v[14:15], s[0:1], v[10:11]
	v_dual_mov_b32 v5, s12 :: v_dual_mov_b32 v1, 0
	s_lshl_b32 s4, s3, 8
	s_mov_b32 s7, s5
	s_mov_b32 s1, s14
	global_store_b128 v[6:7], v[2:5], off th:TH_STORE_NT
.LBB1_1297:                             ;   Parent Loop BB1_1 Depth=1
                                        ; =>  This Inner Loop Header: Depth=2
	s_wait_loadcnt 0x0
	global_load_b128 v[6:9], v[14:15], off th:TH_LOAD_NT
	v_add_nc_u32_e32 v1, 1, v1
	s_mov_b32 s0, -1
	s_mov_b32 s3, -1
	s_mov_b32 s12, exec_lo
	s_wait_xcnt 0x0
	v_cmpx_eq_u32_e32 0xf4240, v1
	s_cbranch_execz .LBB1_1299
; %bb.1298:                             ;   in Loop: Header=BB1_1297 Depth=2
	s_wait_loadcnt 0x0
	s_wait_storecnt 0x0
	global_load_b32 v1, v4, s[10:11] scope:SCOPE_SYS
	s_wait_loadcnt 0x0
	global_inv scope:SCOPE_SYS
	v_cmp_eq_u32_e32 vcc_lo, 0, v1
	v_mov_b32_e32 v1, 0
	s_or_not1_b32 s3, vcc_lo, exec_lo
.LBB1_1299:                             ;   in Loop: Header=BB1_1297 Depth=2
	s_wait_xcnt 0x0
	s_or_b32 exec_lo, exec_lo, s12
	s_and_saveexec_b32 s12, s3
	s_cbranch_execz .LBB1_1301
; %bb.1300:                             ;   in Loop: Header=BB1_1297 Depth=2
	s_wait_loadcnt 0x0
	v_cmp_eq_u32_e32 vcc_lo, s6, v7
	v_cmp_eq_u32_e64 s0, s6, v9
	s_and_b32 s0, vcc_lo, s0
	s_delay_alu instid0(SALU_CYCLE_1)
	s_or_not1_b32 s0, s0, exec_lo
.LBB1_1301:                             ;   in Loop: Header=BB1_1297 Depth=2
	s_or_b32 exec_lo, exec_lo, s12
	s_delay_alu instid0(SALU_CYCLE_1) | instskip(NEXT) | instid1(SALU_CYCLE_1)
	s_and_b32 s0, exec_lo, s0
	s_or_b32 s1, s0, s1
	s_delay_alu instid0(SALU_CYCLE_1)
	s_and_not1_b32 exec_lo, exec_lo, s1
	s_cbranch_execnz .LBB1_1297
; %bb.1302:                             ;   in Loop: Header=BB1_1297 Depth=2
	s_or_b32 exec_lo, exec_lo, s1
	s_wait_loadcnt 0x0
	v_dual_mov_b32 v7, v8 :: v_dual_mov_b32 v1, 0
	s_mov_b32 s1, 0
	s_delay_alu instid0(VALU_DEP_1) | instskip(SKIP_1) | instid1(SALU_CYCLE_1)
	v_cmp_eq_u64_e32 vcc_lo, s[6:7], v[6:7]
	s_or_b32 s14, vcc_lo, s14
	s_and_not1_b32 exec_lo, exec_lo, s14
	s_cbranch_execnz .LBB1_1297
; %bb.1303:                             ;   in Loop: Header=BB1_1 Depth=1
	s_or_b32 exec_lo, exec_lo, s14
	s_add_co_i32 s12, s2, 0xba
	s_mov_b32 s14, 0
	s_mul_hi_u32 s0, s12, 0x10624dd3
	s_mov_b32 s15, s6
	s_lshr_b32 s3, s0, 6
	s_or_b64 s[0:1], s[14:15], s[6:7]
	s_mulk_i32 s3, 0x3e8
	v_dual_mov_b32 v2, s0 :: v_dual_mov_b32 v3, s1
	s_sub_co_i32 s3, s12, s3
	s_mov_b32 s1, s5
	s_lshl_b32 s0, s3, 12
	v_lshl_add_u64 v[6:7], s[4:5], 4, v[12:13]
	v_add_nc_u64_e32 v[14:15], s[0:1], v[10:11]
	v_dual_mov_b32 v5, s6 :: v_dual_mov_b32 v1, 0
	s_lshl_b32 s4, s3, 8
	s_mov_b32 s13, s5
	s_mov_b32 s1, s14
	global_store_b128 v[6:7], v[2:5], off th:TH_STORE_NT
.LBB1_1304:                             ;   Parent Loop BB1_1 Depth=1
                                        ; =>  This Inner Loop Header: Depth=2
	s_wait_loadcnt 0x0
	global_load_b128 v[6:9], v[14:15], off th:TH_LOAD_NT
	v_add_nc_u32_e32 v1, 1, v1
	s_mov_b32 s0, -1
	s_mov_b32 s3, -1
	s_mov_b32 s6, exec_lo
	s_wait_xcnt 0x0
	v_cmpx_eq_u32_e32 0xf4240, v1
	s_cbranch_execz .LBB1_1306
; %bb.1305:                             ;   in Loop: Header=BB1_1304 Depth=2
	s_wait_loadcnt 0x0
	s_wait_storecnt 0x0
	global_load_b32 v1, v4, s[10:11] scope:SCOPE_SYS
	s_wait_loadcnt 0x0
	global_inv scope:SCOPE_SYS
	v_cmp_eq_u32_e32 vcc_lo, 0, v1
	v_mov_b32_e32 v1, 0
	s_or_not1_b32 s3, vcc_lo, exec_lo
.LBB1_1306:                             ;   in Loop: Header=BB1_1304 Depth=2
	s_wait_xcnt 0x0
	s_or_b32 exec_lo, exec_lo, s6
	s_and_saveexec_b32 s6, s3
	s_cbranch_execz .LBB1_1308
; %bb.1307:                             ;   in Loop: Header=BB1_1304 Depth=2
	s_wait_loadcnt 0x0
	v_cmp_eq_u32_e32 vcc_lo, s12, v7
	v_cmp_eq_u32_e64 s0, s12, v9
	s_and_b32 s0, vcc_lo, s0
	s_delay_alu instid0(SALU_CYCLE_1)
	s_or_not1_b32 s0, s0, exec_lo
.LBB1_1308:                             ;   in Loop: Header=BB1_1304 Depth=2
	s_or_b32 exec_lo, exec_lo, s6
	s_delay_alu instid0(SALU_CYCLE_1) | instskip(NEXT) | instid1(SALU_CYCLE_1)
	s_and_b32 s0, exec_lo, s0
	s_or_b32 s1, s0, s1
	s_delay_alu instid0(SALU_CYCLE_1)
	s_and_not1_b32 exec_lo, exec_lo, s1
	s_cbranch_execnz .LBB1_1304
; %bb.1309:                             ;   in Loop: Header=BB1_1304 Depth=2
	s_or_b32 exec_lo, exec_lo, s1
	s_wait_loadcnt 0x0
	v_dual_mov_b32 v7, v8 :: v_dual_mov_b32 v1, 0
	s_mov_b32 s1, 0
	s_delay_alu instid0(VALU_DEP_1) | instskip(SKIP_1) | instid1(SALU_CYCLE_1)
	v_cmp_eq_u64_e32 vcc_lo, s[12:13], v[6:7]
	s_or_b32 s14, vcc_lo, s14
	s_and_not1_b32 exec_lo, exec_lo, s14
	s_cbranch_execnz .LBB1_1304
; %bb.1310:                             ;   in Loop: Header=BB1_1 Depth=1
	s_or_b32 exec_lo, exec_lo, s14
	s_add_co_i32 s6, s2, 0xbb
	s_mov_b32 s14, 0
	s_mul_hi_u32 s0, s6, 0x10624dd3
	s_mov_b32 s15, s12
	s_lshr_b32 s3, s0, 6
	s_or_b64 s[0:1], s[14:15], s[12:13]
	s_mulk_i32 s3, 0x3e8
	v_dual_mov_b32 v2, s0 :: v_dual_mov_b32 v3, s1
	s_sub_co_i32 s3, s6, s3
	s_mov_b32 s1, s5
	s_lshl_b32 s0, s3, 12
	v_lshl_add_u64 v[6:7], s[4:5], 4, v[12:13]
	v_add_nc_u64_e32 v[14:15], s[0:1], v[10:11]
	v_dual_mov_b32 v5, s12 :: v_dual_mov_b32 v1, 0
	s_lshl_b32 s4, s3, 8
	s_mov_b32 s7, s5
	s_mov_b32 s1, s14
	global_store_b128 v[6:7], v[2:5], off th:TH_STORE_NT
.LBB1_1311:                             ;   Parent Loop BB1_1 Depth=1
                                        ; =>  This Inner Loop Header: Depth=2
	s_wait_loadcnt 0x0
	global_load_b128 v[6:9], v[14:15], off th:TH_LOAD_NT
	v_add_nc_u32_e32 v1, 1, v1
	s_mov_b32 s0, -1
	s_mov_b32 s3, -1
	s_mov_b32 s12, exec_lo
	s_wait_xcnt 0x0
	v_cmpx_eq_u32_e32 0xf4240, v1
	s_cbranch_execz .LBB1_1313
; %bb.1312:                             ;   in Loop: Header=BB1_1311 Depth=2
	s_wait_loadcnt 0x0
	s_wait_storecnt 0x0
	global_load_b32 v1, v4, s[10:11] scope:SCOPE_SYS
	s_wait_loadcnt 0x0
	global_inv scope:SCOPE_SYS
	v_cmp_eq_u32_e32 vcc_lo, 0, v1
	v_mov_b32_e32 v1, 0
	s_or_not1_b32 s3, vcc_lo, exec_lo
.LBB1_1313:                             ;   in Loop: Header=BB1_1311 Depth=2
	s_wait_xcnt 0x0
	s_or_b32 exec_lo, exec_lo, s12
	s_and_saveexec_b32 s12, s3
	s_cbranch_execz .LBB1_1315
; %bb.1314:                             ;   in Loop: Header=BB1_1311 Depth=2
	s_wait_loadcnt 0x0
	v_cmp_eq_u32_e32 vcc_lo, s6, v7
	v_cmp_eq_u32_e64 s0, s6, v9
	s_and_b32 s0, vcc_lo, s0
	s_delay_alu instid0(SALU_CYCLE_1)
	s_or_not1_b32 s0, s0, exec_lo
.LBB1_1315:                             ;   in Loop: Header=BB1_1311 Depth=2
	s_or_b32 exec_lo, exec_lo, s12
	s_delay_alu instid0(SALU_CYCLE_1) | instskip(NEXT) | instid1(SALU_CYCLE_1)
	s_and_b32 s0, exec_lo, s0
	s_or_b32 s1, s0, s1
	s_delay_alu instid0(SALU_CYCLE_1)
	s_and_not1_b32 exec_lo, exec_lo, s1
	s_cbranch_execnz .LBB1_1311
; %bb.1316:                             ;   in Loop: Header=BB1_1311 Depth=2
	s_or_b32 exec_lo, exec_lo, s1
	s_wait_loadcnt 0x0
	v_dual_mov_b32 v7, v8 :: v_dual_mov_b32 v1, 0
	s_mov_b32 s1, 0
	s_delay_alu instid0(VALU_DEP_1) | instskip(SKIP_1) | instid1(SALU_CYCLE_1)
	v_cmp_eq_u64_e32 vcc_lo, s[6:7], v[6:7]
	s_or_b32 s14, vcc_lo, s14
	s_and_not1_b32 exec_lo, exec_lo, s14
	s_cbranch_execnz .LBB1_1311
; %bb.1317:                             ;   in Loop: Header=BB1_1 Depth=1
	s_or_b32 exec_lo, exec_lo, s14
	s_add_co_i32 s12, s2, 0xbc
	s_mov_b32 s14, 0
	s_mul_hi_u32 s0, s12, 0x10624dd3
	s_mov_b32 s15, s6
	s_lshr_b32 s3, s0, 6
	s_or_b64 s[0:1], s[14:15], s[6:7]
	s_mulk_i32 s3, 0x3e8
	v_dual_mov_b32 v2, s0 :: v_dual_mov_b32 v3, s1
	s_sub_co_i32 s3, s12, s3
	s_mov_b32 s1, s5
	s_lshl_b32 s0, s3, 12
	v_lshl_add_u64 v[6:7], s[4:5], 4, v[12:13]
	v_add_nc_u64_e32 v[14:15], s[0:1], v[10:11]
	v_dual_mov_b32 v5, s6 :: v_dual_mov_b32 v1, 0
	s_lshl_b32 s4, s3, 8
	s_mov_b32 s13, s5
	s_mov_b32 s1, s14
	global_store_b128 v[6:7], v[2:5], off th:TH_STORE_NT
.LBB1_1318:                             ;   Parent Loop BB1_1 Depth=1
                                        ; =>  This Inner Loop Header: Depth=2
	s_wait_loadcnt 0x0
	global_load_b128 v[6:9], v[14:15], off th:TH_LOAD_NT
	v_add_nc_u32_e32 v1, 1, v1
	s_mov_b32 s0, -1
	s_mov_b32 s3, -1
	s_mov_b32 s6, exec_lo
	s_wait_xcnt 0x0
	v_cmpx_eq_u32_e32 0xf4240, v1
	s_cbranch_execz .LBB1_1320
; %bb.1319:                             ;   in Loop: Header=BB1_1318 Depth=2
	s_wait_loadcnt 0x0
	s_wait_storecnt 0x0
	global_load_b32 v1, v4, s[10:11] scope:SCOPE_SYS
	s_wait_loadcnt 0x0
	global_inv scope:SCOPE_SYS
	v_cmp_eq_u32_e32 vcc_lo, 0, v1
	v_mov_b32_e32 v1, 0
	s_or_not1_b32 s3, vcc_lo, exec_lo
.LBB1_1320:                             ;   in Loop: Header=BB1_1318 Depth=2
	s_wait_xcnt 0x0
	s_or_b32 exec_lo, exec_lo, s6
	s_and_saveexec_b32 s6, s3
	s_cbranch_execz .LBB1_1322
; %bb.1321:                             ;   in Loop: Header=BB1_1318 Depth=2
	s_wait_loadcnt 0x0
	v_cmp_eq_u32_e32 vcc_lo, s12, v7
	v_cmp_eq_u32_e64 s0, s12, v9
	s_and_b32 s0, vcc_lo, s0
	s_delay_alu instid0(SALU_CYCLE_1)
	s_or_not1_b32 s0, s0, exec_lo
.LBB1_1322:                             ;   in Loop: Header=BB1_1318 Depth=2
	s_or_b32 exec_lo, exec_lo, s6
	s_delay_alu instid0(SALU_CYCLE_1) | instskip(NEXT) | instid1(SALU_CYCLE_1)
	s_and_b32 s0, exec_lo, s0
	s_or_b32 s1, s0, s1
	s_delay_alu instid0(SALU_CYCLE_1)
	s_and_not1_b32 exec_lo, exec_lo, s1
	s_cbranch_execnz .LBB1_1318
; %bb.1323:                             ;   in Loop: Header=BB1_1318 Depth=2
	s_or_b32 exec_lo, exec_lo, s1
	s_wait_loadcnt 0x0
	v_dual_mov_b32 v7, v8 :: v_dual_mov_b32 v1, 0
	s_mov_b32 s1, 0
	s_delay_alu instid0(VALU_DEP_1) | instskip(SKIP_1) | instid1(SALU_CYCLE_1)
	v_cmp_eq_u64_e32 vcc_lo, s[12:13], v[6:7]
	s_or_b32 s14, vcc_lo, s14
	s_and_not1_b32 exec_lo, exec_lo, s14
	s_cbranch_execnz .LBB1_1318
; %bb.1324:                             ;   in Loop: Header=BB1_1 Depth=1
	s_or_b32 exec_lo, exec_lo, s14
	s_add_co_i32 s6, s2, 0xbd
	s_mov_b32 s14, 0
	s_mul_hi_u32 s0, s6, 0x10624dd3
	s_mov_b32 s15, s12
	s_lshr_b32 s3, s0, 6
	s_or_b64 s[0:1], s[14:15], s[12:13]
	s_mulk_i32 s3, 0x3e8
	v_dual_mov_b32 v2, s0 :: v_dual_mov_b32 v3, s1
	s_sub_co_i32 s3, s6, s3
	s_mov_b32 s1, s5
	s_lshl_b32 s0, s3, 12
	v_lshl_add_u64 v[6:7], s[4:5], 4, v[12:13]
	v_add_nc_u64_e32 v[14:15], s[0:1], v[10:11]
	v_dual_mov_b32 v5, s12 :: v_dual_mov_b32 v1, 0
	s_lshl_b32 s4, s3, 8
	s_mov_b32 s7, s5
	s_mov_b32 s1, s14
	global_store_b128 v[6:7], v[2:5], off th:TH_STORE_NT
.LBB1_1325:                             ;   Parent Loop BB1_1 Depth=1
                                        ; =>  This Inner Loop Header: Depth=2
	s_wait_loadcnt 0x0
	global_load_b128 v[6:9], v[14:15], off th:TH_LOAD_NT
	v_add_nc_u32_e32 v1, 1, v1
	s_mov_b32 s0, -1
	s_mov_b32 s3, -1
	s_mov_b32 s12, exec_lo
	s_wait_xcnt 0x0
	v_cmpx_eq_u32_e32 0xf4240, v1
	s_cbranch_execz .LBB1_1327
; %bb.1326:                             ;   in Loop: Header=BB1_1325 Depth=2
	s_wait_loadcnt 0x0
	s_wait_storecnt 0x0
	global_load_b32 v1, v4, s[10:11] scope:SCOPE_SYS
	s_wait_loadcnt 0x0
	global_inv scope:SCOPE_SYS
	v_cmp_eq_u32_e32 vcc_lo, 0, v1
	v_mov_b32_e32 v1, 0
	s_or_not1_b32 s3, vcc_lo, exec_lo
.LBB1_1327:                             ;   in Loop: Header=BB1_1325 Depth=2
	s_wait_xcnt 0x0
	s_or_b32 exec_lo, exec_lo, s12
	s_and_saveexec_b32 s12, s3
	s_cbranch_execz .LBB1_1329
; %bb.1328:                             ;   in Loop: Header=BB1_1325 Depth=2
	s_wait_loadcnt 0x0
	v_cmp_eq_u32_e32 vcc_lo, s6, v7
	v_cmp_eq_u32_e64 s0, s6, v9
	s_and_b32 s0, vcc_lo, s0
	s_delay_alu instid0(SALU_CYCLE_1)
	s_or_not1_b32 s0, s0, exec_lo
.LBB1_1329:                             ;   in Loop: Header=BB1_1325 Depth=2
	s_or_b32 exec_lo, exec_lo, s12
	s_delay_alu instid0(SALU_CYCLE_1) | instskip(NEXT) | instid1(SALU_CYCLE_1)
	s_and_b32 s0, exec_lo, s0
	s_or_b32 s1, s0, s1
	s_delay_alu instid0(SALU_CYCLE_1)
	s_and_not1_b32 exec_lo, exec_lo, s1
	s_cbranch_execnz .LBB1_1325
; %bb.1330:                             ;   in Loop: Header=BB1_1325 Depth=2
	s_or_b32 exec_lo, exec_lo, s1
	s_wait_loadcnt 0x0
	v_dual_mov_b32 v7, v8 :: v_dual_mov_b32 v1, 0
	s_mov_b32 s1, 0
	s_delay_alu instid0(VALU_DEP_1) | instskip(SKIP_1) | instid1(SALU_CYCLE_1)
	v_cmp_eq_u64_e32 vcc_lo, s[6:7], v[6:7]
	s_or_b32 s14, vcc_lo, s14
	s_and_not1_b32 exec_lo, exec_lo, s14
	s_cbranch_execnz .LBB1_1325
; %bb.1331:                             ;   in Loop: Header=BB1_1 Depth=1
	s_or_b32 exec_lo, exec_lo, s14
	s_add_co_i32 s12, s2, 0xbe
	s_mov_b32 s14, 0
	s_mul_hi_u32 s0, s12, 0x10624dd3
	s_mov_b32 s15, s6
	s_lshr_b32 s3, s0, 6
	s_or_b64 s[0:1], s[14:15], s[6:7]
	s_mulk_i32 s3, 0x3e8
	v_dual_mov_b32 v2, s0 :: v_dual_mov_b32 v3, s1
	s_sub_co_i32 s3, s12, s3
	s_mov_b32 s1, s5
	s_lshl_b32 s0, s3, 12
	v_lshl_add_u64 v[6:7], s[4:5], 4, v[12:13]
	v_add_nc_u64_e32 v[14:15], s[0:1], v[10:11]
	v_dual_mov_b32 v5, s6 :: v_dual_mov_b32 v1, 0
	s_lshl_b32 s4, s3, 8
	s_mov_b32 s13, s5
	s_mov_b32 s1, s14
	global_store_b128 v[6:7], v[2:5], off th:TH_STORE_NT
.LBB1_1332:                             ;   Parent Loop BB1_1 Depth=1
                                        ; =>  This Inner Loop Header: Depth=2
	s_wait_loadcnt 0x0
	global_load_b128 v[6:9], v[14:15], off th:TH_LOAD_NT
	v_add_nc_u32_e32 v1, 1, v1
	s_mov_b32 s0, -1
	s_mov_b32 s3, -1
	s_mov_b32 s6, exec_lo
	s_wait_xcnt 0x0
	v_cmpx_eq_u32_e32 0xf4240, v1
	s_cbranch_execz .LBB1_1334
; %bb.1333:                             ;   in Loop: Header=BB1_1332 Depth=2
	s_wait_loadcnt 0x0
	s_wait_storecnt 0x0
	global_load_b32 v1, v4, s[10:11] scope:SCOPE_SYS
	s_wait_loadcnt 0x0
	global_inv scope:SCOPE_SYS
	v_cmp_eq_u32_e32 vcc_lo, 0, v1
	v_mov_b32_e32 v1, 0
	s_or_not1_b32 s3, vcc_lo, exec_lo
.LBB1_1334:                             ;   in Loop: Header=BB1_1332 Depth=2
	s_wait_xcnt 0x0
	s_or_b32 exec_lo, exec_lo, s6
	s_and_saveexec_b32 s6, s3
	s_cbranch_execz .LBB1_1336
; %bb.1335:                             ;   in Loop: Header=BB1_1332 Depth=2
	s_wait_loadcnt 0x0
	v_cmp_eq_u32_e32 vcc_lo, s12, v7
	v_cmp_eq_u32_e64 s0, s12, v9
	s_and_b32 s0, vcc_lo, s0
	s_delay_alu instid0(SALU_CYCLE_1)
	s_or_not1_b32 s0, s0, exec_lo
.LBB1_1336:                             ;   in Loop: Header=BB1_1332 Depth=2
	s_or_b32 exec_lo, exec_lo, s6
	s_delay_alu instid0(SALU_CYCLE_1) | instskip(NEXT) | instid1(SALU_CYCLE_1)
	s_and_b32 s0, exec_lo, s0
	s_or_b32 s1, s0, s1
	s_delay_alu instid0(SALU_CYCLE_1)
	s_and_not1_b32 exec_lo, exec_lo, s1
	s_cbranch_execnz .LBB1_1332
; %bb.1337:                             ;   in Loop: Header=BB1_1332 Depth=2
	s_or_b32 exec_lo, exec_lo, s1
	s_wait_loadcnt 0x0
	v_dual_mov_b32 v7, v8 :: v_dual_mov_b32 v1, 0
	s_mov_b32 s1, 0
	s_delay_alu instid0(VALU_DEP_1) | instskip(SKIP_1) | instid1(SALU_CYCLE_1)
	v_cmp_eq_u64_e32 vcc_lo, s[12:13], v[6:7]
	s_or_b32 s14, vcc_lo, s14
	s_and_not1_b32 exec_lo, exec_lo, s14
	s_cbranch_execnz .LBB1_1332
; %bb.1338:                             ;   in Loop: Header=BB1_1 Depth=1
	s_or_b32 exec_lo, exec_lo, s14
	s_add_co_i32 s6, s2, 0xbf
	s_mov_b32 s14, 0
	s_mul_hi_u32 s0, s6, 0x10624dd3
	s_mov_b32 s15, s12
	s_lshr_b32 s3, s0, 6
	s_or_b64 s[0:1], s[14:15], s[12:13]
	s_mulk_i32 s3, 0x3e8
	v_dual_mov_b32 v2, s0 :: v_dual_mov_b32 v3, s1
	s_sub_co_i32 s3, s6, s3
	s_mov_b32 s1, s5
	s_lshl_b32 s0, s3, 12
	v_lshl_add_u64 v[6:7], s[4:5], 4, v[12:13]
	v_add_nc_u64_e32 v[14:15], s[0:1], v[10:11]
	v_dual_mov_b32 v5, s12 :: v_dual_mov_b32 v1, 0
	s_lshl_b32 s4, s3, 8
	s_mov_b32 s7, s5
	s_mov_b32 s1, s14
	global_store_b128 v[6:7], v[2:5], off th:TH_STORE_NT
.LBB1_1339:                             ;   Parent Loop BB1_1 Depth=1
                                        ; =>  This Inner Loop Header: Depth=2
	s_wait_loadcnt 0x0
	global_load_b128 v[6:9], v[14:15], off th:TH_LOAD_NT
	v_add_nc_u32_e32 v1, 1, v1
	s_mov_b32 s0, -1
	s_mov_b32 s3, -1
	s_mov_b32 s12, exec_lo
	s_wait_xcnt 0x0
	v_cmpx_eq_u32_e32 0xf4240, v1
	s_cbranch_execz .LBB1_1341
; %bb.1340:                             ;   in Loop: Header=BB1_1339 Depth=2
	s_wait_loadcnt 0x0
	s_wait_storecnt 0x0
	global_load_b32 v1, v4, s[10:11] scope:SCOPE_SYS
	s_wait_loadcnt 0x0
	global_inv scope:SCOPE_SYS
	v_cmp_eq_u32_e32 vcc_lo, 0, v1
	v_mov_b32_e32 v1, 0
	s_or_not1_b32 s3, vcc_lo, exec_lo
.LBB1_1341:                             ;   in Loop: Header=BB1_1339 Depth=2
	s_wait_xcnt 0x0
	s_or_b32 exec_lo, exec_lo, s12
	s_and_saveexec_b32 s12, s3
	s_cbranch_execz .LBB1_1343
; %bb.1342:                             ;   in Loop: Header=BB1_1339 Depth=2
	s_wait_loadcnt 0x0
	v_cmp_eq_u32_e32 vcc_lo, s6, v7
	v_cmp_eq_u32_e64 s0, s6, v9
	s_and_b32 s0, vcc_lo, s0
	s_delay_alu instid0(SALU_CYCLE_1)
	s_or_not1_b32 s0, s0, exec_lo
.LBB1_1343:                             ;   in Loop: Header=BB1_1339 Depth=2
	s_or_b32 exec_lo, exec_lo, s12
	s_delay_alu instid0(SALU_CYCLE_1) | instskip(NEXT) | instid1(SALU_CYCLE_1)
	s_and_b32 s0, exec_lo, s0
	s_or_b32 s1, s0, s1
	s_delay_alu instid0(SALU_CYCLE_1)
	s_and_not1_b32 exec_lo, exec_lo, s1
	s_cbranch_execnz .LBB1_1339
; %bb.1344:                             ;   in Loop: Header=BB1_1339 Depth=2
	s_or_b32 exec_lo, exec_lo, s1
	s_wait_loadcnt 0x0
	v_dual_mov_b32 v7, v8 :: v_dual_mov_b32 v1, 0
	s_mov_b32 s1, 0
	s_delay_alu instid0(VALU_DEP_1) | instskip(SKIP_1) | instid1(SALU_CYCLE_1)
	v_cmp_eq_u64_e32 vcc_lo, s[6:7], v[6:7]
	s_or_b32 s14, vcc_lo, s14
	s_and_not1_b32 exec_lo, exec_lo, s14
	s_cbranch_execnz .LBB1_1339
; %bb.1345:                             ;   in Loop: Header=BB1_1 Depth=1
	s_or_b32 exec_lo, exec_lo, s14
	s_add_co_i32 s12, s2, 0xc0
	s_mov_b32 s14, 0
	s_mul_hi_u32 s0, s12, 0x10624dd3
	s_mov_b32 s15, s6
	s_lshr_b32 s3, s0, 6
	s_or_b64 s[0:1], s[14:15], s[6:7]
	s_mulk_i32 s3, 0x3e8
	v_dual_mov_b32 v2, s0 :: v_dual_mov_b32 v3, s1
	s_sub_co_i32 s3, s12, s3
	s_mov_b32 s1, s5
	s_lshl_b32 s0, s3, 12
	v_lshl_add_u64 v[6:7], s[4:5], 4, v[12:13]
	v_add_nc_u64_e32 v[14:15], s[0:1], v[10:11]
	v_dual_mov_b32 v5, s6 :: v_dual_mov_b32 v1, 0
	s_lshl_b32 s4, s3, 8
	s_mov_b32 s13, s5
	s_mov_b32 s1, s14
	global_store_b128 v[6:7], v[2:5], off th:TH_STORE_NT
.LBB1_1346:                             ;   Parent Loop BB1_1 Depth=1
                                        ; =>  This Inner Loop Header: Depth=2
	s_wait_loadcnt 0x0
	global_load_b128 v[6:9], v[14:15], off th:TH_LOAD_NT
	v_add_nc_u32_e32 v1, 1, v1
	s_mov_b32 s0, -1
	s_mov_b32 s3, -1
	s_mov_b32 s6, exec_lo
	s_wait_xcnt 0x0
	v_cmpx_eq_u32_e32 0xf4240, v1
	s_cbranch_execz .LBB1_1348
; %bb.1347:                             ;   in Loop: Header=BB1_1346 Depth=2
	s_wait_loadcnt 0x0
	s_wait_storecnt 0x0
	global_load_b32 v1, v4, s[10:11] scope:SCOPE_SYS
	s_wait_loadcnt 0x0
	global_inv scope:SCOPE_SYS
	v_cmp_eq_u32_e32 vcc_lo, 0, v1
	v_mov_b32_e32 v1, 0
	s_or_not1_b32 s3, vcc_lo, exec_lo
.LBB1_1348:                             ;   in Loop: Header=BB1_1346 Depth=2
	s_wait_xcnt 0x0
	s_or_b32 exec_lo, exec_lo, s6
	s_and_saveexec_b32 s6, s3
	s_cbranch_execz .LBB1_1350
; %bb.1349:                             ;   in Loop: Header=BB1_1346 Depth=2
	s_wait_loadcnt 0x0
	v_cmp_eq_u32_e32 vcc_lo, s12, v7
	v_cmp_eq_u32_e64 s0, s12, v9
	s_and_b32 s0, vcc_lo, s0
	s_delay_alu instid0(SALU_CYCLE_1)
	s_or_not1_b32 s0, s0, exec_lo
.LBB1_1350:                             ;   in Loop: Header=BB1_1346 Depth=2
	s_or_b32 exec_lo, exec_lo, s6
	s_delay_alu instid0(SALU_CYCLE_1) | instskip(NEXT) | instid1(SALU_CYCLE_1)
	s_and_b32 s0, exec_lo, s0
	s_or_b32 s1, s0, s1
	s_delay_alu instid0(SALU_CYCLE_1)
	s_and_not1_b32 exec_lo, exec_lo, s1
	s_cbranch_execnz .LBB1_1346
; %bb.1351:                             ;   in Loop: Header=BB1_1346 Depth=2
	s_or_b32 exec_lo, exec_lo, s1
	s_wait_loadcnt 0x0
	v_dual_mov_b32 v7, v8 :: v_dual_mov_b32 v1, 0
	s_mov_b32 s1, 0
	s_delay_alu instid0(VALU_DEP_1) | instskip(SKIP_1) | instid1(SALU_CYCLE_1)
	v_cmp_eq_u64_e32 vcc_lo, s[12:13], v[6:7]
	s_or_b32 s14, vcc_lo, s14
	s_and_not1_b32 exec_lo, exec_lo, s14
	s_cbranch_execnz .LBB1_1346
; %bb.1352:                             ;   in Loop: Header=BB1_1 Depth=1
	s_or_b32 exec_lo, exec_lo, s14
	s_add_co_i32 s6, s2, 0xc1
	s_mov_b32 s14, 0
	s_mul_hi_u32 s0, s6, 0x10624dd3
	s_mov_b32 s15, s12
	s_lshr_b32 s3, s0, 6
	s_or_b64 s[0:1], s[14:15], s[12:13]
	s_mulk_i32 s3, 0x3e8
	v_dual_mov_b32 v2, s0 :: v_dual_mov_b32 v3, s1
	s_sub_co_i32 s3, s6, s3
	s_mov_b32 s1, s5
	s_lshl_b32 s0, s3, 12
	v_lshl_add_u64 v[6:7], s[4:5], 4, v[12:13]
	v_add_nc_u64_e32 v[14:15], s[0:1], v[10:11]
	v_dual_mov_b32 v5, s12 :: v_dual_mov_b32 v1, 0
	s_lshl_b32 s4, s3, 8
	s_mov_b32 s7, s5
	s_mov_b32 s1, s14
	global_store_b128 v[6:7], v[2:5], off th:TH_STORE_NT
.LBB1_1353:                             ;   Parent Loop BB1_1 Depth=1
                                        ; =>  This Inner Loop Header: Depth=2
	s_wait_loadcnt 0x0
	global_load_b128 v[6:9], v[14:15], off th:TH_LOAD_NT
	v_add_nc_u32_e32 v1, 1, v1
	s_mov_b32 s0, -1
	s_mov_b32 s3, -1
	s_mov_b32 s12, exec_lo
	s_wait_xcnt 0x0
	v_cmpx_eq_u32_e32 0xf4240, v1
	s_cbranch_execz .LBB1_1355
; %bb.1354:                             ;   in Loop: Header=BB1_1353 Depth=2
	s_wait_loadcnt 0x0
	s_wait_storecnt 0x0
	global_load_b32 v1, v4, s[10:11] scope:SCOPE_SYS
	s_wait_loadcnt 0x0
	global_inv scope:SCOPE_SYS
	v_cmp_eq_u32_e32 vcc_lo, 0, v1
	v_mov_b32_e32 v1, 0
	s_or_not1_b32 s3, vcc_lo, exec_lo
.LBB1_1355:                             ;   in Loop: Header=BB1_1353 Depth=2
	s_wait_xcnt 0x0
	s_or_b32 exec_lo, exec_lo, s12
	s_and_saveexec_b32 s12, s3
	s_cbranch_execz .LBB1_1357
; %bb.1356:                             ;   in Loop: Header=BB1_1353 Depth=2
	s_wait_loadcnt 0x0
	v_cmp_eq_u32_e32 vcc_lo, s6, v7
	v_cmp_eq_u32_e64 s0, s6, v9
	s_and_b32 s0, vcc_lo, s0
	s_delay_alu instid0(SALU_CYCLE_1)
	s_or_not1_b32 s0, s0, exec_lo
.LBB1_1357:                             ;   in Loop: Header=BB1_1353 Depth=2
	s_or_b32 exec_lo, exec_lo, s12
	s_delay_alu instid0(SALU_CYCLE_1) | instskip(NEXT) | instid1(SALU_CYCLE_1)
	s_and_b32 s0, exec_lo, s0
	s_or_b32 s1, s0, s1
	s_delay_alu instid0(SALU_CYCLE_1)
	s_and_not1_b32 exec_lo, exec_lo, s1
	s_cbranch_execnz .LBB1_1353
; %bb.1358:                             ;   in Loop: Header=BB1_1353 Depth=2
	s_or_b32 exec_lo, exec_lo, s1
	s_wait_loadcnt 0x0
	v_dual_mov_b32 v7, v8 :: v_dual_mov_b32 v1, 0
	s_mov_b32 s1, 0
	s_delay_alu instid0(VALU_DEP_1) | instskip(SKIP_1) | instid1(SALU_CYCLE_1)
	v_cmp_eq_u64_e32 vcc_lo, s[6:7], v[6:7]
	s_or_b32 s14, vcc_lo, s14
	s_and_not1_b32 exec_lo, exec_lo, s14
	s_cbranch_execnz .LBB1_1353
; %bb.1359:                             ;   in Loop: Header=BB1_1 Depth=1
	s_or_b32 exec_lo, exec_lo, s14
	s_add_co_i32 s12, s2, 0xc2
	s_mov_b32 s14, 0
	s_mul_hi_u32 s0, s12, 0x10624dd3
	s_mov_b32 s15, s6
	s_lshr_b32 s3, s0, 6
	s_or_b64 s[0:1], s[14:15], s[6:7]
	s_mulk_i32 s3, 0x3e8
	v_dual_mov_b32 v2, s0 :: v_dual_mov_b32 v3, s1
	s_sub_co_i32 s3, s12, s3
	s_mov_b32 s1, s5
	s_lshl_b32 s0, s3, 12
	v_lshl_add_u64 v[6:7], s[4:5], 4, v[12:13]
	v_add_nc_u64_e32 v[14:15], s[0:1], v[10:11]
	v_dual_mov_b32 v5, s6 :: v_dual_mov_b32 v1, 0
	s_lshl_b32 s4, s3, 8
	s_mov_b32 s13, s5
	s_mov_b32 s1, s14
	global_store_b128 v[6:7], v[2:5], off th:TH_STORE_NT
.LBB1_1360:                             ;   Parent Loop BB1_1 Depth=1
                                        ; =>  This Inner Loop Header: Depth=2
	s_wait_loadcnt 0x0
	global_load_b128 v[6:9], v[14:15], off th:TH_LOAD_NT
	v_add_nc_u32_e32 v1, 1, v1
	s_mov_b32 s0, -1
	s_mov_b32 s3, -1
	s_mov_b32 s6, exec_lo
	s_wait_xcnt 0x0
	v_cmpx_eq_u32_e32 0xf4240, v1
	s_cbranch_execz .LBB1_1362
; %bb.1361:                             ;   in Loop: Header=BB1_1360 Depth=2
	s_wait_loadcnt 0x0
	s_wait_storecnt 0x0
	global_load_b32 v1, v4, s[10:11] scope:SCOPE_SYS
	s_wait_loadcnt 0x0
	global_inv scope:SCOPE_SYS
	v_cmp_eq_u32_e32 vcc_lo, 0, v1
	v_mov_b32_e32 v1, 0
	s_or_not1_b32 s3, vcc_lo, exec_lo
.LBB1_1362:                             ;   in Loop: Header=BB1_1360 Depth=2
	s_wait_xcnt 0x0
	s_or_b32 exec_lo, exec_lo, s6
	s_and_saveexec_b32 s6, s3
	s_cbranch_execz .LBB1_1364
; %bb.1363:                             ;   in Loop: Header=BB1_1360 Depth=2
	s_wait_loadcnt 0x0
	v_cmp_eq_u32_e32 vcc_lo, s12, v7
	v_cmp_eq_u32_e64 s0, s12, v9
	s_and_b32 s0, vcc_lo, s0
	s_delay_alu instid0(SALU_CYCLE_1)
	s_or_not1_b32 s0, s0, exec_lo
.LBB1_1364:                             ;   in Loop: Header=BB1_1360 Depth=2
	s_or_b32 exec_lo, exec_lo, s6
	s_delay_alu instid0(SALU_CYCLE_1) | instskip(NEXT) | instid1(SALU_CYCLE_1)
	s_and_b32 s0, exec_lo, s0
	s_or_b32 s1, s0, s1
	s_delay_alu instid0(SALU_CYCLE_1)
	s_and_not1_b32 exec_lo, exec_lo, s1
	s_cbranch_execnz .LBB1_1360
; %bb.1365:                             ;   in Loop: Header=BB1_1360 Depth=2
	s_or_b32 exec_lo, exec_lo, s1
	s_wait_loadcnt 0x0
	v_dual_mov_b32 v7, v8 :: v_dual_mov_b32 v1, 0
	s_mov_b32 s1, 0
	s_delay_alu instid0(VALU_DEP_1) | instskip(SKIP_1) | instid1(SALU_CYCLE_1)
	v_cmp_eq_u64_e32 vcc_lo, s[12:13], v[6:7]
	s_or_b32 s14, vcc_lo, s14
	s_and_not1_b32 exec_lo, exec_lo, s14
	s_cbranch_execnz .LBB1_1360
; %bb.1366:                             ;   in Loop: Header=BB1_1 Depth=1
	s_or_b32 exec_lo, exec_lo, s14
	s_add_co_i32 s6, s2, 0xc3
	s_mov_b32 s14, 0
	s_mul_hi_u32 s0, s6, 0x10624dd3
	s_mov_b32 s15, s12
	s_lshr_b32 s3, s0, 6
	s_or_b64 s[0:1], s[14:15], s[12:13]
	s_mulk_i32 s3, 0x3e8
	v_dual_mov_b32 v2, s0 :: v_dual_mov_b32 v3, s1
	s_sub_co_i32 s3, s6, s3
	s_mov_b32 s1, s5
	s_lshl_b32 s0, s3, 12
	v_lshl_add_u64 v[6:7], s[4:5], 4, v[12:13]
	v_add_nc_u64_e32 v[14:15], s[0:1], v[10:11]
	v_dual_mov_b32 v5, s12 :: v_dual_mov_b32 v1, 0
	s_lshl_b32 s4, s3, 8
	s_mov_b32 s7, s5
	s_mov_b32 s1, s14
	global_store_b128 v[6:7], v[2:5], off th:TH_STORE_NT
.LBB1_1367:                             ;   Parent Loop BB1_1 Depth=1
                                        ; =>  This Inner Loop Header: Depth=2
	s_wait_loadcnt 0x0
	global_load_b128 v[6:9], v[14:15], off th:TH_LOAD_NT
	v_add_nc_u32_e32 v1, 1, v1
	s_mov_b32 s0, -1
	s_mov_b32 s3, -1
	s_mov_b32 s12, exec_lo
	s_wait_xcnt 0x0
	v_cmpx_eq_u32_e32 0xf4240, v1
	s_cbranch_execz .LBB1_1369
; %bb.1368:                             ;   in Loop: Header=BB1_1367 Depth=2
	s_wait_loadcnt 0x0
	s_wait_storecnt 0x0
	global_load_b32 v1, v4, s[10:11] scope:SCOPE_SYS
	s_wait_loadcnt 0x0
	global_inv scope:SCOPE_SYS
	v_cmp_eq_u32_e32 vcc_lo, 0, v1
	v_mov_b32_e32 v1, 0
	s_or_not1_b32 s3, vcc_lo, exec_lo
.LBB1_1369:                             ;   in Loop: Header=BB1_1367 Depth=2
	s_wait_xcnt 0x0
	s_or_b32 exec_lo, exec_lo, s12
	s_and_saveexec_b32 s12, s3
	s_cbranch_execz .LBB1_1371
; %bb.1370:                             ;   in Loop: Header=BB1_1367 Depth=2
	s_wait_loadcnt 0x0
	v_cmp_eq_u32_e32 vcc_lo, s6, v7
	v_cmp_eq_u32_e64 s0, s6, v9
	s_and_b32 s0, vcc_lo, s0
	s_delay_alu instid0(SALU_CYCLE_1)
	s_or_not1_b32 s0, s0, exec_lo
.LBB1_1371:                             ;   in Loop: Header=BB1_1367 Depth=2
	s_or_b32 exec_lo, exec_lo, s12
	s_delay_alu instid0(SALU_CYCLE_1) | instskip(NEXT) | instid1(SALU_CYCLE_1)
	s_and_b32 s0, exec_lo, s0
	s_or_b32 s1, s0, s1
	s_delay_alu instid0(SALU_CYCLE_1)
	s_and_not1_b32 exec_lo, exec_lo, s1
	s_cbranch_execnz .LBB1_1367
; %bb.1372:                             ;   in Loop: Header=BB1_1367 Depth=2
	s_or_b32 exec_lo, exec_lo, s1
	s_wait_loadcnt 0x0
	v_dual_mov_b32 v7, v8 :: v_dual_mov_b32 v1, 0
	s_mov_b32 s1, 0
	s_delay_alu instid0(VALU_DEP_1) | instskip(SKIP_1) | instid1(SALU_CYCLE_1)
	v_cmp_eq_u64_e32 vcc_lo, s[6:7], v[6:7]
	s_or_b32 s14, vcc_lo, s14
	s_and_not1_b32 exec_lo, exec_lo, s14
	s_cbranch_execnz .LBB1_1367
; %bb.1373:                             ;   in Loop: Header=BB1_1 Depth=1
	s_or_b32 exec_lo, exec_lo, s14
	s_add_co_i32 s12, s2, 0xc4
	s_mov_b32 s14, 0
	s_mul_hi_u32 s0, s12, 0x10624dd3
	s_mov_b32 s15, s6
	s_lshr_b32 s3, s0, 6
	s_or_b64 s[0:1], s[14:15], s[6:7]
	s_mulk_i32 s3, 0x3e8
	v_dual_mov_b32 v2, s0 :: v_dual_mov_b32 v3, s1
	s_sub_co_i32 s3, s12, s3
	s_mov_b32 s1, s5
	s_lshl_b32 s0, s3, 12
	v_lshl_add_u64 v[6:7], s[4:5], 4, v[12:13]
	v_add_nc_u64_e32 v[14:15], s[0:1], v[10:11]
	v_dual_mov_b32 v5, s6 :: v_dual_mov_b32 v1, 0
	s_lshl_b32 s4, s3, 8
	s_mov_b32 s13, s5
	s_mov_b32 s1, s14
	global_store_b128 v[6:7], v[2:5], off th:TH_STORE_NT
.LBB1_1374:                             ;   Parent Loop BB1_1 Depth=1
                                        ; =>  This Inner Loop Header: Depth=2
	s_wait_loadcnt 0x0
	global_load_b128 v[6:9], v[14:15], off th:TH_LOAD_NT
	v_add_nc_u32_e32 v1, 1, v1
	s_mov_b32 s0, -1
	s_mov_b32 s3, -1
	s_mov_b32 s6, exec_lo
	s_wait_xcnt 0x0
	v_cmpx_eq_u32_e32 0xf4240, v1
	s_cbranch_execz .LBB1_1376
; %bb.1375:                             ;   in Loop: Header=BB1_1374 Depth=2
	s_wait_loadcnt 0x0
	s_wait_storecnt 0x0
	global_load_b32 v1, v4, s[10:11] scope:SCOPE_SYS
	s_wait_loadcnt 0x0
	global_inv scope:SCOPE_SYS
	v_cmp_eq_u32_e32 vcc_lo, 0, v1
	v_mov_b32_e32 v1, 0
	s_or_not1_b32 s3, vcc_lo, exec_lo
.LBB1_1376:                             ;   in Loop: Header=BB1_1374 Depth=2
	s_wait_xcnt 0x0
	s_or_b32 exec_lo, exec_lo, s6
	s_and_saveexec_b32 s6, s3
	s_cbranch_execz .LBB1_1378
; %bb.1377:                             ;   in Loop: Header=BB1_1374 Depth=2
	s_wait_loadcnt 0x0
	v_cmp_eq_u32_e32 vcc_lo, s12, v7
	v_cmp_eq_u32_e64 s0, s12, v9
	s_and_b32 s0, vcc_lo, s0
	s_delay_alu instid0(SALU_CYCLE_1)
	s_or_not1_b32 s0, s0, exec_lo
.LBB1_1378:                             ;   in Loop: Header=BB1_1374 Depth=2
	s_or_b32 exec_lo, exec_lo, s6
	s_delay_alu instid0(SALU_CYCLE_1) | instskip(NEXT) | instid1(SALU_CYCLE_1)
	s_and_b32 s0, exec_lo, s0
	s_or_b32 s1, s0, s1
	s_delay_alu instid0(SALU_CYCLE_1)
	s_and_not1_b32 exec_lo, exec_lo, s1
	s_cbranch_execnz .LBB1_1374
; %bb.1379:                             ;   in Loop: Header=BB1_1374 Depth=2
	s_or_b32 exec_lo, exec_lo, s1
	s_wait_loadcnt 0x0
	v_dual_mov_b32 v7, v8 :: v_dual_mov_b32 v1, 0
	s_mov_b32 s1, 0
	s_delay_alu instid0(VALU_DEP_1) | instskip(SKIP_1) | instid1(SALU_CYCLE_1)
	v_cmp_eq_u64_e32 vcc_lo, s[12:13], v[6:7]
	s_or_b32 s14, vcc_lo, s14
	s_and_not1_b32 exec_lo, exec_lo, s14
	s_cbranch_execnz .LBB1_1374
; %bb.1380:                             ;   in Loop: Header=BB1_1 Depth=1
	s_or_b32 exec_lo, exec_lo, s14
	s_add_co_i32 s6, s2, 0xc5
	s_mov_b32 s14, 0
	s_mul_hi_u32 s0, s6, 0x10624dd3
	s_mov_b32 s15, s12
	s_lshr_b32 s3, s0, 6
	s_or_b64 s[0:1], s[14:15], s[12:13]
	s_mulk_i32 s3, 0x3e8
	v_dual_mov_b32 v2, s0 :: v_dual_mov_b32 v3, s1
	s_sub_co_i32 s3, s6, s3
	s_mov_b32 s1, s5
	s_lshl_b32 s0, s3, 12
	v_lshl_add_u64 v[6:7], s[4:5], 4, v[12:13]
	v_add_nc_u64_e32 v[14:15], s[0:1], v[10:11]
	v_dual_mov_b32 v5, s12 :: v_dual_mov_b32 v1, 0
	s_lshl_b32 s4, s3, 8
	s_mov_b32 s7, s5
	s_mov_b32 s1, s14
	global_store_b128 v[6:7], v[2:5], off th:TH_STORE_NT
.LBB1_1381:                             ;   Parent Loop BB1_1 Depth=1
                                        ; =>  This Inner Loop Header: Depth=2
	s_wait_loadcnt 0x0
	global_load_b128 v[6:9], v[14:15], off th:TH_LOAD_NT
	v_add_nc_u32_e32 v1, 1, v1
	s_mov_b32 s0, -1
	s_mov_b32 s3, -1
	s_mov_b32 s12, exec_lo
	s_wait_xcnt 0x0
	v_cmpx_eq_u32_e32 0xf4240, v1
	s_cbranch_execz .LBB1_1383
; %bb.1382:                             ;   in Loop: Header=BB1_1381 Depth=2
	s_wait_loadcnt 0x0
	s_wait_storecnt 0x0
	global_load_b32 v1, v4, s[10:11] scope:SCOPE_SYS
	s_wait_loadcnt 0x0
	global_inv scope:SCOPE_SYS
	v_cmp_eq_u32_e32 vcc_lo, 0, v1
	v_mov_b32_e32 v1, 0
	s_or_not1_b32 s3, vcc_lo, exec_lo
.LBB1_1383:                             ;   in Loop: Header=BB1_1381 Depth=2
	s_wait_xcnt 0x0
	s_or_b32 exec_lo, exec_lo, s12
	s_and_saveexec_b32 s12, s3
	s_cbranch_execz .LBB1_1385
; %bb.1384:                             ;   in Loop: Header=BB1_1381 Depth=2
	s_wait_loadcnt 0x0
	v_cmp_eq_u32_e32 vcc_lo, s6, v7
	v_cmp_eq_u32_e64 s0, s6, v9
	s_and_b32 s0, vcc_lo, s0
	s_delay_alu instid0(SALU_CYCLE_1)
	s_or_not1_b32 s0, s0, exec_lo
.LBB1_1385:                             ;   in Loop: Header=BB1_1381 Depth=2
	s_or_b32 exec_lo, exec_lo, s12
	s_delay_alu instid0(SALU_CYCLE_1) | instskip(NEXT) | instid1(SALU_CYCLE_1)
	s_and_b32 s0, exec_lo, s0
	s_or_b32 s1, s0, s1
	s_delay_alu instid0(SALU_CYCLE_1)
	s_and_not1_b32 exec_lo, exec_lo, s1
	s_cbranch_execnz .LBB1_1381
; %bb.1386:                             ;   in Loop: Header=BB1_1381 Depth=2
	s_or_b32 exec_lo, exec_lo, s1
	s_wait_loadcnt 0x0
	v_dual_mov_b32 v7, v8 :: v_dual_mov_b32 v1, 0
	s_mov_b32 s1, 0
	s_delay_alu instid0(VALU_DEP_1) | instskip(SKIP_1) | instid1(SALU_CYCLE_1)
	v_cmp_eq_u64_e32 vcc_lo, s[6:7], v[6:7]
	s_or_b32 s14, vcc_lo, s14
	s_and_not1_b32 exec_lo, exec_lo, s14
	s_cbranch_execnz .LBB1_1381
; %bb.1387:                             ;   in Loop: Header=BB1_1 Depth=1
	s_or_b32 exec_lo, exec_lo, s14
	s_add_co_i32 s12, s2, 0xc6
	s_mov_b32 s14, 0
	s_mul_hi_u32 s0, s12, 0x10624dd3
	s_mov_b32 s15, s6
	s_lshr_b32 s3, s0, 6
	s_or_b64 s[0:1], s[14:15], s[6:7]
	s_mulk_i32 s3, 0x3e8
	v_dual_mov_b32 v2, s0 :: v_dual_mov_b32 v3, s1
	s_sub_co_i32 s3, s12, s3
	s_mov_b32 s1, s5
	s_lshl_b32 s0, s3, 12
	v_lshl_add_u64 v[6:7], s[4:5], 4, v[12:13]
	v_add_nc_u64_e32 v[14:15], s[0:1], v[10:11]
	v_dual_mov_b32 v5, s6 :: v_dual_mov_b32 v1, 0
	s_lshl_b32 s4, s3, 8
	s_mov_b32 s13, s5
	s_mov_b32 s1, s14
	global_store_b128 v[6:7], v[2:5], off th:TH_STORE_NT
.LBB1_1388:                             ;   Parent Loop BB1_1 Depth=1
                                        ; =>  This Inner Loop Header: Depth=2
	s_wait_loadcnt 0x0
	global_load_b128 v[6:9], v[14:15], off th:TH_LOAD_NT
	v_add_nc_u32_e32 v1, 1, v1
	s_mov_b32 s0, -1
	s_mov_b32 s3, -1
	s_mov_b32 s6, exec_lo
	s_wait_xcnt 0x0
	v_cmpx_eq_u32_e32 0xf4240, v1
	s_cbranch_execz .LBB1_1390
; %bb.1389:                             ;   in Loop: Header=BB1_1388 Depth=2
	s_wait_loadcnt 0x0
	s_wait_storecnt 0x0
	global_load_b32 v1, v4, s[10:11] scope:SCOPE_SYS
	s_wait_loadcnt 0x0
	global_inv scope:SCOPE_SYS
	v_cmp_eq_u32_e32 vcc_lo, 0, v1
	v_mov_b32_e32 v1, 0
	s_or_not1_b32 s3, vcc_lo, exec_lo
.LBB1_1390:                             ;   in Loop: Header=BB1_1388 Depth=2
	s_wait_xcnt 0x0
	s_or_b32 exec_lo, exec_lo, s6
	s_and_saveexec_b32 s6, s3
	s_cbranch_execz .LBB1_1392
; %bb.1391:                             ;   in Loop: Header=BB1_1388 Depth=2
	s_wait_loadcnt 0x0
	v_cmp_eq_u32_e32 vcc_lo, s12, v7
	v_cmp_eq_u32_e64 s0, s12, v9
	s_and_b32 s0, vcc_lo, s0
	s_delay_alu instid0(SALU_CYCLE_1)
	s_or_not1_b32 s0, s0, exec_lo
.LBB1_1392:                             ;   in Loop: Header=BB1_1388 Depth=2
	s_or_b32 exec_lo, exec_lo, s6
	s_delay_alu instid0(SALU_CYCLE_1) | instskip(NEXT) | instid1(SALU_CYCLE_1)
	s_and_b32 s0, exec_lo, s0
	s_or_b32 s1, s0, s1
	s_delay_alu instid0(SALU_CYCLE_1)
	s_and_not1_b32 exec_lo, exec_lo, s1
	s_cbranch_execnz .LBB1_1388
; %bb.1393:                             ;   in Loop: Header=BB1_1388 Depth=2
	s_or_b32 exec_lo, exec_lo, s1
	s_wait_loadcnt 0x0
	v_dual_mov_b32 v7, v8 :: v_dual_mov_b32 v1, 0
	s_mov_b32 s1, 0
	s_delay_alu instid0(VALU_DEP_1) | instskip(SKIP_1) | instid1(SALU_CYCLE_1)
	v_cmp_eq_u64_e32 vcc_lo, s[12:13], v[6:7]
	s_or_b32 s14, vcc_lo, s14
	s_and_not1_b32 exec_lo, exec_lo, s14
	s_cbranch_execnz .LBB1_1388
; %bb.1394:                             ;   in Loop: Header=BB1_1 Depth=1
	s_or_b32 exec_lo, exec_lo, s14
	s_add_co_i32 s6, s2, 0xc7
	s_mov_b32 s14, 0
	s_mul_hi_u32 s0, s6, 0x10624dd3
	s_mov_b32 s15, s12
	s_lshr_b32 s3, s0, 6
	s_or_b64 s[0:1], s[14:15], s[12:13]
	s_mulk_i32 s3, 0x3e8
	v_dual_mov_b32 v2, s0 :: v_dual_mov_b32 v3, s1
	s_sub_co_i32 s3, s6, s3
	s_mov_b32 s1, s5
	s_lshl_b32 s0, s3, 12
	v_lshl_add_u64 v[6:7], s[4:5], 4, v[12:13]
	v_add_nc_u64_e32 v[14:15], s[0:1], v[10:11]
	v_dual_mov_b32 v5, s12 :: v_dual_mov_b32 v1, 0
	s_lshl_b32 s4, s3, 8
	s_mov_b32 s7, s5
	s_mov_b32 s1, s14
	global_store_b128 v[6:7], v[2:5], off th:TH_STORE_NT
.LBB1_1395:                             ;   Parent Loop BB1_1 Depth=1
                                        ; =>  This Inner Loop Header: Depth=2
	s_wait_loadcnt 0x0
	global_load_b128 v[6:9], v[14:15], off th:TH_LOAD_NT
	v_add_nc_u32_e32 v1, 1, v1
	s_mov_b32 s0, -1
	s_mov_b32 s3, -1
	s_mov_b32 s12, exec_lo
	s_wait_xcnt 0x0
	v_cmpx_eq_u32_e32 0xf4240, v1
	s_cbranch_execz .LBB1_1397
; %bb.1396:                             ;   in Loop: Header=BB1_1395 Depth=2
	s_wait_loadcnt 0x0
	s_wait_storecnt 0x0
	global_load_b32 v1, v4, s[10:11] scope:SCOPE_SYS
	s_wait_loadcnt 0x0
	global_inv scope:SCOPE_SYS
	v_cmp_eq_u32_e32 vcc_lo, 0, v1
	v_mov_b32_e32 v1, 0
	s_or_not1_b32 s3, vcc_lo, exec_lo
.LBB1_1397:                             ;   in Loop: Header=BB1_1395 Depth=2
	s_wait_xcnt 0x0
	s_or_b32 exec_lo, exec_lo, s12
	s_and_saveexec_b32 s12, s3
	s_cbranch_execz .LBB1_1399
; %bb.1398:                             ;   in Loop: Header=BB1_1395 Depth=2
	s_wait_loadcnt 0x0
	v_cmp_eq_u32_e32 vcc_lo, s6, v7
	v_cmp_eq_u32_e64 s0, s6, v9
	s_and_b32 s0, vcc_lo, s0
	s_delay_alu instid0(SALU_CYCLE_1)
	s_or_not1_b32 s0, s0, exec_lo
.LBB1_1399:                             ;   in Loop: Header=BB1_1395 Depth=2
	s_or_b32 exec_lo, exec_lo, s12
	s_delay_alu instid0(SALU_CYCLE_1) | instskip(NEXT) | instid1(SALU_CYCLE_1)
	s_and_b32 s0, exec_lo, s0
	s_or_b32 s1, s0, s1
	s_delay_alu instid0(SALU_CYCLE_1)
	s_and_not1_b32 exec_lo, exec_lo, s1
	s_cbranch_execnz .LBB1_1395
; %bb.1400:                             ;   in Loop: Header=BB1_1395 Depth=2
	s_or_b32 exec_lo, exec_lo, s1
	s_wait_loadcnt 0x0
	v_dual_mov_b32 v7, v8 :: v_dual_mov_b32 v1, 0
	s_mov_b32 s1, 0
	s_delay_alu instid0(VALU_DEP_1) | instskip(SKIP_1) | instid1(SALU_CYCLE_1)
	v_cmp_eq_u64_e32 vcc_lo, s[6:7], v[6:7]
	s_or_b32 s14, vcc_lo, s14
	s_and_not1_b32 exec_lo, exec_lo, s14
	s_cbranch_execnz .LBB1_1395
; %bb.1401:                             ;   in Loop: Header=BB1_1 Depth=1
	s_or_b32 exec_lo, exec_lo, s14
	s_add_co_i32 s12, s2, 0xc8
	s_mov_b32 s14, 0
	s_mul_hi_u32 s0, s12, 0x10624dd3
	s_mov_b32 s15, s6
	s_lshr_b32 s3, s0, 6
	s_or_b64 s[0:1], s[14:15], s[6:7]
	s_mulk_i32 s3, 0x3e8
	v_dual_mov_b32 v2, s0 :: v_dual_mov_b32 v3, s1
	s_sub_co_i32 s3, s12, s3
	s_mov_b32 s1, s5
	s_lshl_b32 s0, s3, 12
	v_lshl_add_u64 v[6:7], s[4:5], 4, v[12:13]
	v_add_nc_u64_e32 v[14:15], s[0:1], v[10:11]
	v_dual_mov_b32 v5, s6 :: v_dual_mov_b32 v1, 0
	s_lshl_b32 s4, s3, 8
	s_mov_b32 s13, s5
	s_mov_b32 s1, s14
	global_store_b128 v[6:7], v[2:5], off th:TH_STORE_NT
.LBB1_1402:                             ;   Parent Loop BB1_1 Depth=1
                                        ; =>  This Inner Loop Header: Depth=2
	s_wait_loadcnt 0x0
	global_load_b128 v[6:9], v[14:15], off th:TH_LOAD_NT
	v_add_nc_u32_e32 v1, 1, v1
	s_mov_b32 s0, -1
	s_mov_b32 s3, -1
	s_mov_b32 s6, exec_lo
	s_wait_xcnt 0x0
	v_cmpx_eq_u32_e32 0xf4240, v1
	s_cbranch_execz .LBB1_1404
; %bb.1403:                             ;   in Loop: Header=BB1_1402 Depth=2
	s_wait_loadcnt 0x0
	s_wait_storecnt 0x0
	global_load_b32 v1, v4, s[10:11] scope:SCOPE_SYS
	s_wait_loadcnt 0x0
	global_inv scope:SCOPE_SYS
	v_cmp_eq_u32_e32 vcc_lo, 0, v1
	v_mov_b32_e32 v1, 0
	s_or_not1_b32 s3, vcc_lo, exec_lo
.LBB1_1404:                             ;   in Loop: Header=BB1_1402 Depth=2
	s_wait_xcnt 0x0
	s_or_b32 exec_lo, exec_lo, s6
	s_and_saveexec_b32 s6, s3
	s_cbranch_execz .LBB1_1406
; %bb.1405:                             ;   in Loop: Header=BB1_1402 Depth=2
	s_wait_loadcnt 0x0
	v_cmp_eq_u32_e32 vcc_lo, s12, v7
	v_cmp_eq_u32_e64 s0, s12, v9
	s_and_b32 s0, vcc_lo, s0
	s_delay_alu instid0(SALU_CYCLE_1)
	s_or_not1_b32 s0, s0, exec_lo
.LBB1_1406:                             ;   in Loop: Header=BB1_1402 Depth=2
	s_or_b32 exec_lo, exec_lo, s6
	s_delay_alu instid0(SALU_CYCLE_1) | instskip(NEXT) | instid1(SALU_CYCLE_1)
	s_and_b32 s0, exec_lo, s0
	s_or_b32 s1, s0, s1
	s_delay_alu instid0(SALU_CYCLE_1)
	s_and_not1_b32 exec_lo, exec_lo, s1
	s_cbranch_execnz .LBB1_1402
; %bb.1407:                             ;   in Loop: Header=BB1_1402 Depth=2
	s_or_b32 exec_lo, exec_lo, s1
	s_wait_loadcnt 0x0
	v_dual_mov_b32 v7, v8 :: v_dual_mov_b32 v1, 0
	s_mov_b32 s1, 0
	s_delay_alu instid0(VALU_DEP_1) | instskip(SKIP_1) | instid1(SALU_CYCLE_1)
	v_cmp_eq_u64_e32 vcc_lo, s[12:13], v[6:7]
	s_or_b32 s14, vcc_lo, s14
	s_and_not1_b32 exec_lo, exec_lo, s14
	s_cbranch_execnz .LBB1_1402
; %bb.1408:                             ;   in Loop: Header=BB1_1 Depth=1
	s_or_b32 exec_lo, exec_lo, s14
	s_add_co_i32 s6, s2, 0xc9
	s_mov_b32 s14, 0
	s_mul_hi_u32 s0, s6, 0x10624dd3
	s_mov_b32 s15, s12
	s_lshr_b32 s3, s0, 6
	s_or_b64 s[0:1], s[14:15], s[12:13]
	s_mulk_i32 s3, 0x3e8
	v_dual_mov_b32 v2, s0 :: v_dual_mov_b32 v3, s1
	s_sub_co_i32 s3, s6, s3
	s_mov_b32 s1, s5
	s_lshl_b32 s0, s3, 12
	v_lshl_add_u64 v[6:7], s[4:5], 4, v[12:13]
	v_add_nc_u64_e32 v[14:15], s[0:1], v[10:11]
	v_dual_mov_b32 v5, s12 :: v_dual_mov_b32 v1, 0
	s_lshl_b32 s4, s3, 8
	s_mov_b32 s7, s5
	s_mov_b32 s1, s14
	global_store_b128 v[6:7], v[2:5], off th:TH_STORE_NT
.LBB1_1409:                             ;   Parent Loop BB1_1 Depth=1
                                        ; =>  This Inner Loop Header: Depth=2
	s_wait_loadcnt 0x0
	global_load_b128 v[6:9], v[14:15], off th:TH_LOAD_NT
	v_add_nc_u32_e32 v1, 1, v1
	s_mov_b32 s0, -1
	s_mov_b32 s3, -1
	s_mov_b32 s12, exec_lo
	s_wait_xcnt 0x0
	v_cmpx_eq_u32_e32 0xf4240, v1
	s_cbranch_execz .LBB1_1411
; %bb.1410:                             ;   in Loop: Header=BB1_1409 Depth=2
	s_wait_loadcnt 0x0
	s_wait_storecnt 0x0
	global_load_b32 v1, v4, s[10:11] scope:SCOPE_SYS
	s_wait_loadcnt 0x0
	global_inv scope:SCOPE_SYS
	v_cmp_eq_u32_e32 vcc_lo, 0, v1
	v_mov_b32_e32 v1, 0
	s_or_not1_b32 s3, vcc_lo, exec_lo
.LBB1_1411:                             ;   in Loop: Header=BB1_1409 Depth=2
	s_wait_xcnt 0x0
	s_or_b32 exec_lo, exec_lo, s12
	s_and_saveexec_b32 s12, s3
	s_cbranch_execz .LBB1_1413
; %bb.1412:                             ;   in Loop: Header=BB1_1409 Depth=2
	s_wait_loadcnt 0x0
	v_cmp_eq_u32_e32 vcc_lo, s6, v7
	v_cmp_eq_u32_e64 s0, s6, v9
	s_and_b32 s0, vcc_lo, s0
	s_delay_alu instid0(SALU_CYCLE_1)
	s_or_not1_b32 s0, s0, exec_lo
.LBB1_1413:                             ;   in Loop: Header=BB1_1409 Depth=2
	s_or_b32 exec_lo, exec_lo, s12
	s_delay_alu instid0(SALU_CYCLE_1) | instskip(NEXT) | instid1(SALU_CYCLE_1)
	s_and_b32 s0, exec_lo, s0
	s_or_b32 s1, s0, s1
	s_delay_alu instid0(SALU_CYCLE_1)
	s_and_not1_b32 exec_lo, exec_lo, s1
	s_cbranch_execnz .LBB1_1409
; %bb.1414:                             ;   in Loop: Header=BB1_1409 Depth=2
	s_or_b32 exec_lo, exec_lo, s1
	s_wait_loadcnt 0x0
	v_dual_mov_b32 v7, v8 :: v_dual_mov_b32 v1, 0
	s_mov_b32 s1, 0
	s_delay_alu instid0(VALU_DEP_1) | instskip(SKIP_1) | instid1(SALU_CYCLE_1)
	v_cmp_eq_u64_e32 vcc_lo, s[6:7], v[6:7]
	s_or_b32 s14, vcc_lo, s14
	s_and_not1_b32 exec_lo, exec_lo, s14
	s_cbranch_execnz .LBB1_1409
; %bb.1415:                             ;   in Loop: Header=BB1_1 Depth=1
	s_or_b32 exec_lo, exec_lo, s14
	s_add_co_i32 s12, s2, 0xca
	s_mov_b32 s14, 0
	s_mul_hi_u32 s0, s12, 0x10624dd3
	s_mov_b32 s15, s6
	s_lshr_b32 s3, s0, 6
	s_or_b64 s[0:1], s[14:15], s[6:7]
	s_mulk_i32 s3, 0x3e8
	v_dual_mov_b32 v2, s0 :: v_dual_mov_b32 v3, s1
	s_sub_co_i32 s3, s12, s3
	s_mov_b32 s1, s5
	s_lshl_b32 s0, s3, 12
	v_lshl_add_u64 v[6:7], s[4:5], 4, v[12:13]
	v_add_nc_u64_e32 v[14:15], s[0:1], v[10:11]
	v_dual_mov_b32 v5, s6 :: v_dual_mov_b32 v1, 0
	s_lshl_b32 s4, s3, 8
	s_mov_b32 s13, s5
	s_mov_b32 s1, s14
	global_store_b128 v[6:7], v[2:5], off th:TH_STORE_NT
.LBB1_1416:                             ;   Parent Loop BB1_1 Depth=1
                                        ; =>  This Inner Loop Header: Depth=2
	s_wait_loadcnt 0x0
	global_load_b128 v[6:9], v[14:15], off th:TH_LOAD_NT
	v_add_nc_u32_e32 v1, 1, v1
	s_mov_b32 s0, -1
	s_mov_b32 s3, -1
	s_mov_b32 s6, exec_lo
	s_wait_xcnt 0x0
	v_cmpx_eq_u32_e32 0xf4240, v1
	s_cbranch_execz .LBB1_1418
; %bb.1417:                             ;   in Loop: Header=BB1_1416 Depth=2
	s_wait_loadcnt 0x0
	s_wait_storecnt 0x0
	global_load_b32 v1, v4, s[10:11] scope:SCOPE_SYS
	s_wait_loadcnt 0x0
	global_inv scope:SCOPE_SYS
	v_cmp_eq_u32_e32 vcc_lo, 0, v1
	v_mov_b32_e32 v1, 0
	s_or_not1_b32 s3, vcc_lo, exec_lo
.LBB1_1418:                             ;   in Loop: Header=BB1_1416 Depth=2
	s_wait_xcnt 0x0
	s_or_b32 exec_lo, exec_lo, s6
	s_and_saveexec_b32 s6, s3
	s_cbranch_execz .LBB1_1420
; %bb.1419:                             ;   in Loop: Header=BB1_1416 Depth=2
	s_wait_loadcnt 0x0
	v_cmp_eq_u32_e32 vcc_lo, s12, v7
	v_cmp_eq_u32_e64 s0, s12, v9
	s_and_b32 s0, vcc_lo, s0
	s_delay_alu instid0(SALU_CYCLE_1)
	s_or_not1_b32 s0, s0, exec_lo
.LBB1_1420:                             ;   in Loop: Header=BB1_1416 Depth=2
	s_or_b32 exec_lo, exec_lo, s6
	s_delay_alu instid0(SALU_CYCLE_1) | instskip(NEXT) | instid1(SALU_CYCLE_1)
	s_and_b32 s0, exec_lo, s0
	s_or_b32 s1, s0, s1
	s_delay_alu instid0(SALU_CYCLE_1)
	s_and_not1_b32 exec_lo, exec_lo, s1
	s_cbranch_execnz .LBB1_1416
; %bb.1421:                             ;   in Loop: Header=BB1_1416 Depth=2
	s_or_b32 exec_lo, exec_lo, s1
	s_wait_loadcnt 0x0
	v_dual_mov_b32 v7, v8 :: v_dual_mov_b32 v1, 0
	s_mov_b32 s1, 0
	s_delay_alu instid0(VALU_DEP_1) | instskip(SKIP_1) | instid1(SALU_CYCLE_1)
	v_cmp_eq_u64_e32 vcc_lo, s[12:13], v[6:7]
	s_or_b32 s14, vcc_lo, s14
	s_and_not1_b32 exec_lo, exec_lo, s14
	s_cbranch_execnz .LBB1_1416
; %bb.1422:                             ;   in Loop: Header=BB1_1 Depth=1
	s_or_b32 exec_lo, exec_lo, s14
	s_add_co_i32 s6, s2, 0xcb
	s_mov_b32 s14, 0
	s_mul_hi_u32 s0, s6, 0x10624dd3
	s_mov_b32 s15, s12
	s_lshr_b32 s3, s0, 6
	s_or_b64 s[0:1], s[14:15], s[12:13]
	s_mulk_i32 s3, 0x3e8
	v_dual_mov_b32 v2, s0 :: v_dual_mov_b32 v3, s1
	s_sub_co_i32 s3, s6, s3
	s_mov_b32 s1, s5
	s_lshl_b32 s0, s3, 12
	v_lshl_add_u64 v[6:7], s[4:5], 4, v[12:13]
	v_add_nc_u64_e32 v[14:15], s[0:1], v[10:11]
	v_dual_mov_b32 v5, s12 :: v_dual_mov_b32 v1, 0
	s_lshl_b32 s4, s3, 8
	s_mov_b32 s7, s5
	s_mov_b32 s1, s14
	global_store_b128 v[6:7], v[2:5], off th:TH_STORE_NT
.LBB1_1423:                             ;   Parent Loop BB1_1 Depth=1
                                        ; =>  This Inner Loop Header: Depth=2
	s_wait_loadcnt 0x0
	global_load_b128 v[6:9], v[14:15], off th:TH_LOAD_NT
	v_add_nc_u32_e32 v1, 1, v1
	s_mov_b32 s0, -1
	s_mov_b32 s3, -1
	s_mov_b32 s12, exec_lo
	s_wait_xcnt 0x0
	v_cmpx_eq_u32_e32 0xf4240, v1
	s_cbranch_execz .LBB1_1425
; %bb.1424:                             ;   in Loop: Header=BB1_1423 Depth=2
	s_wait_loadcnt 0x0
	s_wait_storecnt 0x0
	global_load_b32 v1, v4, s[10:11] scope:SCOPE_SYS
	s_wait_loadcnt 0x0
	global_inv scope:SCOPE_SYS
	v_cmp_eq_u32_e32 vcc_lo, 0, v1
	v_mov_b32_e32 v1, 0
	s_or_not1_b32 s3, vcc_lo, exec_lo
.LBB1_1425:                             ;   in Loop: Header=BB1_1423 Depth=2
	s_wait_xcnt 0x0
	s_or_b32 exec_lo, exec_lo, s12
	s_and_saveexec_b32 s12, s3
	s_cbranch_execz .LBB1_1427
; %bb.1426:                             ;   in Loop: Header=BB1_1423 Depth=2
	s_wait_loadcnt 0x0
	v_cmp_eq_u32_e32 vcc_lo, s6, v7
	v_cmp_eq_u32_e64 s0, s6, v9
	s_and_b32 s0, vcc_lo, s0
	s_delay_alu instid0(SALU_CYCLE_1)
	s_or_not1_b32 s0, s0, exec_lo
.LBB1_1427:                             ;   in Loop: Header=BB1_1423 Depth=2
	s_or_b32 exec_lo, exec_lo, s12
	s_delay_alu instid0(SALU_CYCLE_1) | instskip(NEXT) | instid1(SALU_CYCLE_1)
	s_and_b32 s0, exec_lo, s0
	s_or_b32 s1, s0, s1
	s_delay_alu instid0(SALU_CYCLE_1)
	s_and_not1_b32 exec_lo, exec_lo, s1
	s_cbranch_execnz .LBB1_1423
; %bb.1428:                             ;   in Loop: Header=BB1_1423 Depth=2
	s_or_b32 exec_lo, exec_lo, s1
	s_wait_loadcnt 0x0
	v_dual_mov_b32 v7, v8 :: v_dual_mov_b32 v1, 0
	s_mov_b32 s1, 0
	s_delay_alu instid0(VALU_DEP_1) | instskip(SKIP_1) | instid1(SALU_CYCLE_1)
	v_cmp_eq_u64_e32 vcc_lo, s[6:7], v[6:7]
	s_or_b32 s14, vcc_lo, s14
	s_and_not1_b32 exec_lo, exec_lo, s14
	s_cbranch_execnz .LBB1_1423
; %bb.1429:                             ;   in Loop: Header=BB1_1 Depth=1
	s_or_b32 exec_lo, exec_lo, s14
	s_add_co_i32 s12, s2, 0xcc
	s_mov_b32 s14, 0
	s_mul_hi_u32 s0, s12, 0x10624dd3
	s_mov_b32 s15, s6
	s_lshr_b32 s3, s0, 6
	s_or_b64 s[0:1], s[14:15], s[6:7]
	s_mulk_i32 s3, 0x3e8
	v_dual_mov_b32 v2, s0 :: v_dual_mov_b32 v3, s1
	s_sub_co_i32 s3, s12, s3
	s_mov_b32 s1, s5
	s_lshl_b32 s0, s3, 12
	v_lshl_add_u64 v[6:7], s[4:5], 4, v[12:13]
	v_add_nc_u64_e32 v[14:15], s[0:1], v[10:11]
	v_dual_mov_b32 v5, s6 :: v_dual_mov_b32 v1, 0
	s_lshl_b32 s4, s3, 8
	s_mov_b32 s13, s5
	s_mov_b32 s1, s14
	global_store_b128 v[6:7], v[2:5], off th:TH_STORE_NT
.LBB1_1430:                             ;   Parent Loop BB1_1 Depth=1
                                        ; =>  This Inner Loop Header: Depth=2
	s_wait_loadcnt 0x0
	global_load_b128 v[6:9], v[14:15], off th:TH_LOAD_NT
	v_add_nc_u32_e32 v1, 1, v1
	s_mov_b32 s0, -1
	s_mov_b32 s3, -1
	s_mov_b32 s6, exec_lo
	s_wait_xcnt 0x0
	v_cmpx_eq_u32_e32 0xf4240, v1
	s_cbranch_execz .LBB1_1432
; %bb.1431:                             ;   in Loop: Header=BB1_1430 Depth=2
	s_wait_loadcnt 0x0
	s_wait_storecnt 0x0
	global_load_b32 v1, v4, s[10:11] scope:SCOPE_SYS
	s_wait_loadcnt 0x0
	global_inv scope:SCOPE_SYS
	v_cmp_eq_u32_e32 vcc_lo, 0, v1
	v_mov_b32_e32 v1, 0
	s_or_not1_b32 s3, vcc_lo, exec_lo
.LBB1_1432:                             ;   in Loop: Header=BB1_1430 Depth=2
	s_wait_xcnt 0x0
	s_or_b32 exec_lo, exec_lo, s6
	s_and_saveexec_b32 s6, s3
	s_cbranch_execz .LBB1_1434
; %bb.1433:                             ;   in Loop: Header=BB1_1430 Depth=2
	s_wait_loadcnt 0x0
	v_cmp_eq_u32_e32 vcc_lo, s12, v7
	v_cmp_eq_u32_e64 s0, s12, v9
	s_and_b32 s0, vcc_lo, s0
	s_delay_alu instid0(SALU_CYCLE_1)
	s_or_not1_b32 s0, s0, exec_lo
.LBB1_1434:                             ;   in Loop: Header=BB1_1430 Depth=2
	s_or_b32 exec_lo, exec_lo, s6
	s_delay_alu instid0(SALU_CYCLE_1) | instskip(NEXT) | instid1(SALU_CYCLE_1)
	s_and_b32 s0, exec_lo, s0
	s_or_b32 s1, s0, s1
	s_delay_alu instid0(SALU_CYCLE_1)
	s_and_not1_b32 exec_lo, exec_lo, s1
	s_cbranch_execnz .LBB1_1430
; %bb.1435:                             ;   in Loop: Header=BB1_1430 Depth=2
	s_or_b32 exec_lo, exec_lo, s1
	s_wait_loadcnt 0x0
	v_dual_mov_b32 v7, v8 :: v_dual_mov_b32 v1, 0
	s_mov_b32 s1, 0
	s_delay_alu instid0(VALU_DEP_1) | instskip(SKIP_1) | instid1(SALU_CYCLE_1)
	v_cmp_eq_u64_e32 vcc_lo, s[12:13], v[6:7]
	s_or_b32 s14, vcc_lo, s14
	s_and_not1_b32 exec_lo, exec_lo, s14
	s_cbranch_execnz .LBB1_1430
; %bb.1436:                             ;   in Loop: Header=BB1_1 Depth=1
	s_or_b32 exec_lo, exec_lo, s14
	s_add_co_i32 s6, s2, 0xcd
	s_mov_b32 s14, 0
	s_mul_hi_u32 s0, s6, 0x10624dd3
	s_mov_b32 s15, s12
	s_lshr_b32 s3, s0, 6
	s_or_b64 s[0:1], s[14:15], s[12:13]
	s_mulk_i32 s3, 0x3e8
	v_dual_mov_b32 v2, s0 :: v_dual_mov_b32 v3, s1
	s_sub_co_i32 s3, s6, s3
	s_mov_b32 s1, s5
	s_lshl_b32 s0, s3, 12
	v_lshl_add_u64 v[6:7], s[4:5], 4, v[12:13]
	v_add_nc_u64_e32 v[14:15], s[0:1], v[10:11]
	v_dual_mov_b32 v5, s12 :: v_dual_mov_b32 v1, 0
	s_lshl_b32 s4, s3, 8
	s_mov_b32 s7, s5
	s_mov_b32 s1, s14
	global_store_b128 v[6:7], v[2:5], off th:TH_STORE_NT
.LBB1_1437:                             ;   Parent Loop BB1_1 Depth=1
                                        ; =>  This Inner Loop Header: Depth=2
	s_wait_loadcnt 0x0
	global_load_b128 v[6:9], v[14:15], off th:TH_LOAD_NT
	v_add_nc_u32_e32 v1, 1, v1
	s_mov_b32 s0, -1
	s_mov_b32 s3, -1
	s_mov_b32 s12, exec_lo
	s_wait_xcnt 0x0
	v_cmpx_eq_u32_e32 0xf4240, v1
	s_cbranch_execz .LBB1_1439
; %bb.1438:                             ;   in Loop: Header=BB1_1437 Depth=2
	s_wait_loadcnt 0x0
	s_wait_storecnt 0x0
	global_load_b32 v1, v4, s[10:11] scope:SCOPE_SYS
	s_wait_loadcnt 0x0
	global_inv scope:SCOPE_SYS
	v_cmp_eq_u32_e32 vcc_lo, 0, v1
	v_mov_b32_e32 v1, 0
	s_or_not1_b32 s3, vcc_lo, exec_lo
.LBB1_1439:                             ;   in Loop: Header=BB1_1437 Depth=2
	s_wait_xcnt 0x0
	s_or_b32 exec_lo, exec_lo, s12
	s_and_saveexec_b32 s12, s3
	s_cbranch_execz .LBB1_1441
; %bb.1440:                             ;   in Loop: Header=BB1_1437 Depth=2
	s_wait_loadcnt 0x0
	v_cmp_eq_u32_e32 vcc_lo, s6, v7
	v_cmp_eq_u32_e64 s0, s6, v9
	s_and_b32 s0, vcc_lo, s0
	s_delay_alu instid0(SALU_CYCLE_1)
	s_or_not1_b32 s0, s0, exec_lo
.LBB1_1441:                             ;   in Loop: Header=BB1_1437 Depth=2
	s_or_b32 exec_lo, exec_lo, s12
	s_delay_alu instid0(SALU_CYCLE_1) | instskip(NEXT) | instid1(SALU_CYCLE_1)
	s_and_b32 s0, exec_lo, s0
	s_or_b32 s1, s0, s1
	s_delay_alu instid0(SALU_CYCLE_1)
	s_and_not1_b32 exec_lo, exec_lo, s1
	s_cbranch_execnz .LBB1_1437
; %bb.1442:                             ;   in Loop: Header=BB1_1437 Depth=2
	s_or_b32 exec_lo, exec_lo, s1
	s_wait_loadcnt 0x0
	v_dual_mov_b32 v7, v8 :: v_dual_mov_b32 v1, 0
	s_mov_b32 s1, 0
	s_delay_alu instid0(VALU_DEP_1) | instskip(SKIP_1) | instid1(SALU_CYCLE_1)
	v_cmp_eq_u64_e32 vcc_lo, s[6:7], v[6:7]
	s_or_b32 s14, vcc_lo, s14
	s_and_not1_b32 exec_lo, exec_lo, s14
	s_cbranch_execnz .LBB1_1437
; %bb.1443:                             ;   in Loop: Header=BB1_1 Depth=1
	s_or_b32 exec_lo, exec_lo, s14
	s_add_co_i32 s12, s2, 0xce
	s_mov_b32 s14, 0
	s_mul_hi_u32 s0, s12, 0x10624dd3
	s_mov_b32 s15, s6
	s_lshr_b32 s3, s0, 6
	s_or_b64 s[0:1], s[14:15], s[6:7]
	s_mulk_i32 s3, 0x3e8
	v_dual_mov_b32 v2, s0 :: v_dual_mov_b32 v3, s1
	s_sub_co_i32 s3, s12, s3
	s_mov_b32 s1, s5
	s_lshl_b32 s0, s3, 12
	v_lshl_add_u64 v[6:7], s[4:5], 4, v[12:13]
	v_add_nc_u64_e32 v[14:15], s[0:1], v[10:11]
	v_dual_mov_b32 v5, s6 :: v_dual_mov_b32 v1, 0
	s_lshl_b32 s4, s3, 8
	s_mov_b32 s13, s5
	s_mov_b32 s1, s14
	global_store_b128 v[6:7], v[2:5], off th:TH_STORE_NT
.LBB1_1444:                             ;   Parent Loop BB1_1 Depth=1
                                        ; =>  This Inner Loop Header: Depth=2
	s_wait_loadcnt 0x0
	global_load_b128 v[6:9], v[14:15], off th:TH_LOAD_NT
	v_add_nc_u32_e32 v1, 1, v1
	s_mov_b32 s0, -1
	s_mov_b32 s3, -1
	s_mov_b32 s6, exec_lo
	s_wait_xcnt 0x0
	v_cmpx_eq_u32_e32 0xf4240, v1
	s_cbranch_execz .LBB1_1446
; %bb.1445:                             ;   in Loop: Header=BB1_1444 Depth=2
	s_wait_loadcnt 0x0
	s_wait_storecnt 0x0
	global_load_b32 v1, v4, s[10:11] scope:SCOPE_SYS
	s_wait_loadcnt 0x0
	global_inv scope:SCOPE_SYS
	v_cmp_eq_u32_e32 vcc_lo, 0, v1
	v_mov_b32_e32 v1, 0
	s_or_not1_b32 s3, vcc_lo, exec_lo
.LBB1_1446:                             ;   in Loop: Header=BB1_1444 Depth=2
	s_wait_xcnt 0x0
	s_or_b32 exec_lo, exec_lo, s6
	s_and_saveexec_b32 s6, s3
	s_cbranch_execz .LBB1_1448
; %bb.1447:                             ;   in Loop: Header=BB1_1444 Depth=2
	s_wait_loadcnt 0x0
	v_cmp_eq_u32_e32 vcc_lo, s12, v7
	v_cmp_eq_u32_e64 s0, s12, v9
	s_and_b32 s0, vcc_lo, s0
	s_delay_alu instid0(SALU_CYCLE_1)
	s_or_not1_b32 s0, s0, exec_lo
.LBB1_1448:                             ;   in Loop: Header=BB1_1444 Depth=2
	s_or_b32 exec_lo, exec_lo, s6
	s_delay_alu instid0(SALU_CYCLE_1) | instskip(NEXT) | instid1(SALU_CYCLE_1)
	s_and_b32 s0, exec_lo, s0
	s_or_b32 s1, s0, s1
	s_delay_alu instid0(SALU_CYCLE_1)
	s_and_not1_b32 exec_lo, exec_lo, s1
	s_cbranch_execnz .LBB1_1444
; %bb.1449:                             ;   in Loop: Header=BB1_1444 Depth=2
	s_or_b32 exec_lo, exec_lo, s1
	s_wait_loadcnt 0x0
	v_dual_mov_b32 v7, v8 :: v_dual_mov_b32 v1, 0
	s_mov_b32 s1, 0
	s_delay_alu instid0(VALU_DEP_1) | instskip(SKIP_1) | instid1(SALU_CYCLE_1)
	v_cmp_eq_u64_e32 vcc_lo, s[12:13], v[6:7]
	s_or_b32 s14, vcc_lo, s14
	s_and_not1_b32 exec_lo, exec_lo, s14
	s_cbranch_execnz .LBB1_1444
; %bb.1450:                             ;   in Loop: Header=BB1_1 Depth=1
	s_or_b32 exec_lo, exec_lo, s14
	s_add_co_i32 s6, s2, 0xcf
	s_mov_b32 s14, 0
	s_mul_hi_u32 s0, s6, 0x10624dd3
	s_mov_b32 s15, s12
	s_lshr_b32 s3, s0, 6
	s_or_b64 s[0:1], s[14:15], s[12:13]
	s_mulk_i32 s3, 0x3e8
	v_dual_mov_b32 v2, s0 :: v_dual_mov_b32 v3, s1
	s_sub_co_i32 s3, s6, s3
	s_mov_b32 s1, s5
	s_lshl_b32 s0, s3, 12
	v_lshl_add_u64 v[6:7], s[4:5], 4, v[12:13]
	v_add_nc_u64_e32 v[14:15], s[0:1], v[10:11]
	v_dual_mov_b32 v5, s12 :: v_dual_mov_b32 v1, 0
	s_lshl_b32 s4, s3, 8
	s_mov_b32 s7, s5
	s_mov_b32 s1, s14
	global_store_b128 v[6:7], v[2:5], off th:TH_STORE_NT
.LBB1_1451:                             ;   Parent Loop BB1_1 Depth=1
                                        ; =>  This Inner Loop Header: Depth=2
	s_wait_loadcnt 0x0
	global_load_b128 v[6:9], v[14:15], off th:TH_LOAD_NT
	v_add_nc_u32_e32 v1, 1, v1
	s_mov_b32 s0, -1
	s_mov_b32 s3, -1
	s_mov_b32 s12, exec_lo
	s_wait_xcnt 0x0
	v_cmpx_eq_u32_e32 0xf4240, v1
	s_cbranch_execz .LBB1_1453
; %bb.1452:                             ;   in Loop: Header=BB1_1451 Depth=2
	s_wait_loadcnt 0x0
	s_wait_storecnt 0x0
	global_load_b32 v1, v4, s[10:11] scope:SCOPE_SYS
	s_wait_loadcnt 0x0
	global_inv scope:SCOPE_SYS
	v_cmp_eq_u32_e32 vcc_lo, 0, v1
	v_mov_b32_e32 v1, 0
	s_or_not1_b32 s3, vcc_lo, exec_lo
.LBB1_1453:                             ;   in Loop: Header=BB1_1451 Depth=2
	s_wait_xcnt 0x0
	s_or_b32 exec_lo, exec_lo, s12
	s_and_saveexec_b32 s12, s3
	s_cbranch_execz .LBB1_1455
; %bb.1454:                             ;   in Loop: Header=BB1_1451 Depth=2
	s_wait_loadcnt 0x0
	v_cmp_eq_u32_e32 vcc_lo, s6, v7
	v_cmp_eq_u32_e64 s0, s6, v9
	s_and_b32 s0, vcc_lo, s0
	s_delay_alu instid0(SALU_CYCLE_1)
	s_or_not1_b32 s0, s0, exec_lo
.LBB1_1455:                             ;   in Loop: Header=BB1_1451 Depth=2
	s_or_b32 exec_lo, exec_lo, s12
	s_delay_alu instid0(SALU_CYCLE_1) | instskip(NEXT) | instid1(SALU_CYCLE_1)
	s_and_b32 s0, exec_lo, s0
	s_or_b32 s1, s0, s1
	s_delay_alu instid0(SALU_CYCLE_1)
	s_and_not1_b32 exec_lo, exec_lo, s1
	s_cbranch_execnz .LBB1_1451
; %bb.1456:                             ;   in Loop: Header=BB1_1451 Depth=2
	s_or_b32 exec_lo, exec_lo, s1
	s_wait_loadcnt 0x0
	v_dual_mov_b32 v7, v8 :: v_dual_mov_b32 v1, 0
	s_mov_b32 s1, 0
	s_delay_alu instid0(VALU_DEP_1) | instskip(SKIP_1) | instid1(SALU_CYCLE_1)
	v_cmp_eq_u64_e32 vcc_lo, s[6:7], v[6:7]
	s_or_b32 s14, vcc_lo, s14
	s_and_not1_b32 exec_lo, exec_lo, s14
	s_cbranch_execnz .LBB1_1451
; %bb.1457:                             ;   in Loop: Header=BB1_1 Depth=1
	s_or_b32 exec_lo, exec_lo, s14
	s_add_co_i32 s12, s2, 0xd0
	s_mov_b32 s14, 0
	s_mul_hi_u32 s0, s12, 0x10624dd3
	s_mov_b32 s15, s6
	s_lshr_b32 s3, s0, 6
	s_or_b64 s[0:1], s[14:15], s[6:7]
	s_mulk_i32 s3, 0x3e8
	v_dual_mov_b32 v2, s0 :: v_dual_mov_b32 v3, s1
	s_sub_co_i32 s3, s12, s3
	s_mov_b32 s1, s5
	s_lshl_b32 s0, s3, 12
	v_lshl_add_u64 v[6:7], s[4:5], 4, v[12:13]
	v_add_nc_u64_e32 v[14:15], s[0:1], v[10:11]
	v_dual_mov_b32 v5, s6 :: v_dual_mov_b32 v1, 0
	s_lshl_b32 s4, s3, 8
	s_mov_b32 s13, s5
	s_mov_b32 s1, s14
	global_store_b128 v[6:7], v[2:5], off th:TH_STORE_NT
.LBB1_1458:                             ;   Parent Loop BB1_1 Depth=1
                                        ; =>  This Inner Loop Header: Depth=2
	s_wait_loadcnt 0x0
	global_load_b128 v[6:9], v[14:15], off th:TH_LOAD_NT
	v_add_nc_u32_e32 v1, 1, v1
	s_mov_b32 s0, -1
	s_mov_b32 s3, -1
	s_mov_b32 s6, exec_lo
	s_wait_xcnt 0x0
	v_cmpx_eq_u32_e32 0xf4240, v1
	s_cbranch_execz .LBB1_1460
; %bb.1459:                             ;   in Loop: Header=BB1_1458 Depth=2
	s_wait_loadcnt 0x0
	s_wait_storecnt 0x0
	global_load_b32 v1, v4, s[10:11] scope:SCOPE_SYS
	s_wait_loadcnt 0x0
	global_inv scope:SCOPE_SYS
	v_cmp_eq_u32_e32 vcc_lo, 0, v1
	v_mov_b32_e32 v1, 0
	s_or_not1_b32 s3, vcc_lo, exec_lo
.LBB1_1460:                             ;   in Loop: Header=BB1_1458 Depth=2
	s_wait_xcnt 0x0
	s_or_b32 exec_lo, exec_lo, s6
	s_and_saveexec_b32 s6, s3
	s_cbranch_execz .LBB1_1462
; %bb.1461:                             ;   in Loop: Header=BB1_1458 Depth=2
	s_wait_loadcnt 0x0
	v_cmp_eq_u32_e32 vcc_lo, s12, v7
	v_cmp_eq_u32_e64 s0, s12, v9
	s_and_b32 s0, vcc_lo, s0
	s_delay_alu instid0(SALU_CYCLE_1)
	s_or_not1_b32 s0, s0, exec_lo
.LBB1_1462:                             ;   in Loop: Header=BB1_1458 Depth=2
	s_or_b32 exec_lo, exec_lo, s6
	s_delay_alu instid0(SALU_CYCLE_1) | instskip(NEXT) | instid1(SALU_CYCLE_1)
	s_and_b32 s0, exec_lo, s0
	s_or_b32 s1, s0, s1
	s_delay_alu instid0(SALU_CYCLE_1)
	s_and_not1_b32 exec_lo, exec_lo, s1
	s_cbranch_execnz .LBB1_1458
; %bb.1463:                             ;   in Loop: Header=BB1_1458 Depth=2
	s_or_b32 exec_lo, exec_lo, s1
	s_wait_loadcnt 0x0
	v_dual_mov_b32 v7, v8 :: v_dual_mov_b32 v1, 0
	s_mov_b32 s1, 0
	s_delay_alu instid0(VALU_DEP_1) | instskip(SKIP_1) | instid1(SALU_CYCLE_1)
	v_cmp_eq_u64_e32 vcc_lo, s[12:13], v[6:7]
	s_or_b32 s14, vcc_lo, s14
	s_and_not1_b32 exec_lo, exec_lo, s14
	s_cbranch_execnz .LBB1_1458
; %bb.1464:                             ;   in Loop: Header=BB1_1 Depth=1
	s_or_b32 exec_lo, exec_lo, s14
	s_add_co_i32 s6, s2, 0xd1
	s_mov_b32 s14, 0
	s_mul_hi_u32 s0, s6, 0x10624dd3
	s_mov_b32 s15, s12
	s_lshr_b32 s3, s0, 6
	s_or_b64 s[0:1], s[14:15], s[12:13]
	s_mulk_i32 s3, 0x3e8
	v_dual_mov_b32 v2, s0 :: v_dual_mov_b32 v3, s1
	s_sub_co_i32 s3, s6, s3
	s_mov_b32 s1, s5
	s_lshl_b32 s0, s3, 12
	v_lshl_add_u64 v[6:7], s[4:5], 4, v[12:13]
	v_add_nc_u64_e32 v[14:15], s[0:1], v[10:11]
	v_dual_mov_b32 v5, s12 :: v_dual_mov_b32 v1, 0
	s_lshl_b32 s4, s3, 8
	s_mov_b32 s7, s5
	s_mov_b32 s1, s14
	global_store_b128 v[6:7], v[2:5], off th:TH_STORE_NT
.LBB1_1465:                             ;   Parent Loop BB1_1 Depth=1
                                        ; =>  This Inner Loop Header: Depth=2
	s_wait_loadcnt 0x0
	global_load_b128 v[6:9], v[14:15], off th:TH_LOAD_NT
	v_add_nc_u32_e32 v1, 1, v1
	s_mov_b32 s0, -1
	s_mov_b32 s3, -1
	s_mov_b32 s12, exec_lo
	s_wait_xcnt 0x0
	v_cmpx_eq_u32_e32 0xf4240, v1
	s_cbranch_execz .LBB1_1467
; %bb.1466:                             ;   in Loop: Header=BB1_1465 Depth=2
	s_wait_loadcnt 0x0
	s_wait_storecnt 0x0
	global_load_b32 v1, v4, s[10:11] scope:SCOPE_SYS
	s_wait_loadcnt 0x0
	global_inv scope:SCOPE_SYS
	v_cmp_eq_u32_e32 vcc_lo, 0, v1
	v_mov_b32_e32 v1, 0
	s_or_not1_b32 s3, vcc_lo, exec_lo
.LBB1_1467:                             ;   in Loop: Header=BB1_1465 Depth=2
	s_wait_xcnt 0x0
	s_or_b32 exec_lo, exec_lo, s12
	s_and_saveexec_b32 s12, s3
	s_cbranch_execz .LBB1_1469
; %bb.1468:                             ;   in Loop: Header=BB1_1465 Depth=2
	s_wait_loadcnt 0x0
	v_cmp_eq_u32_e32 vcc_lo, s6, v7
	v_cmp_eq_u32_e64 s0, s6, v9
	s_and_b32 s0, vcc_lo, s0
	s_delay_alu instid0(SALU_CYCLE_1)
	s_or_not1_b32 s0, s0, exec_lo
.LBB1_1469:                             ;   in Loop: Header=BB1_1465 Depth=2
	s_or_b32 exec_lo, exec_lo, s12
	s_delay_alu instid0(SALU_CYCLE_1) | instskip(NEXT) | instid1(SALU_CYCLE_1)
	s_and_b32 s0, exec_lo, s0
	s_or_b32 s1, s0, s1
	s_delay_alu instid0(SALU_CYCLE_1)
	s_and_not1_b32 exec_lo, exec_lo, s1
	s_cbranch_execnz .LBB1_1465
; %bb.1470:                             ;   in Loop: Header=BB1_1465 Depth=2
	s_or_b32 exec_lo, exec_lo, s1
	s_wait_loadcnt 0x0
	v_dual_mov_b32 v7, v8 :: v_dual_mov_b32 v1, 0
	s_mov_b32 s1, 0
	s_delay_alu instid0(VALU_DEP_1) | instskip(SKIP_1) | instid1(SALU_CYCLE_1)
	v_cmp_eq_u64_e32 vcc_lo, s[6:7], v[6:7]
	s_or_b32 s14, vcc_lo, s14
	s_and_not1_b32 exec_lo, exec_lo, s14
	s_cbranch_execnz .LBB1_1465
; %bb.1471:                             ;   in Loop: Header=BB1_1 Depth=1
	s_or_b32 exec_lo, exec_lo, s14
	s_add_co_i32 s12, s2, 0xd2
	s_mov_b32 s14, 0
	s_mul_hi_u32 s0, s12, 0x10624dd3
	s_mov_b32 s15, s6
	s_lshr_b32 s3, s0, 6
	s_or_b64 s[0:1], s[14:15], s[6:7]
	s_mulk_i32 s3, 0x3e8
	v_dual_mov_b32 v2, s0 :: v_dual_mov_b32 v3, s1
	s_sub_co_i32 s3, s12, s3
	s_mov_b32 s1, s5
	s_lshl_b32 s0, s3, 12
	v_lshl_add_u64 v[6:7], s[4:5], 4, v[12:13]
	v_add_nc_u64_e32 v[14:15], s[0:1], v[10:11]
	v_dual_mov_b32 v5, s6 :: v_dual_mov_b32 v1, 0
	s_lshl_b32 s4, s3, 8
	s_mov_b32 s13, s5
	s_mov_b32 s1, s14
	global_store_b128 v[6:7], v[2:5], off th:TH_STORE_NT
.LBB1_1472:                             ;   Parent Loop BB1_1 Depth=1
                                        ; =>  This Inner Loop Header: Depth=2
	s_wait_loadcnt 0x0
	global_load_b128 v[6:9], v[14:15], off th:TH_LOAD_NT
	v_add_nc_u32_e32 v1, 1, v1
	s_mov_b32 s0, -1
	s_mov_b32 s3, -1
	s_mov_b32 s6, exec_lo
	s_wait_xcnt 0x0
	v_cmpx_eq_u32_e32 0xf4240, v1
	s_cbranch_execz .LBB1_1474
; %bb.1473:                             ;   in Loop: Header=BB1_1472 Depth=2
	s_wait_loadcnt 0x0
	s_wait_storecnt 0x0
	global_load_b32 v1, v4, s[10:11] scope:SCOPE_SYS
	s_wait_loadcnt 0x0
	global_inv scope:SCOPE_SYS
	v_cmp_eq_u32_e32 vcc_lo, 0, v1
	v_mov_b32_e32 v1, 0
	s_or_not1_b32 s3, vcc_lo, exec_lo
.LBB1_1474:                             ;   in Loop: Header=BB1_1472 Depth=2
	s_wait_xcnt 0x0
	s_or_b32 exec_lo, exec_lo, s6
	s_and_saveexec_b32 s6, s3
	s_cbranch_execz .LBB1_1476
; %bb.1475:                             ;   in Loop: Header=BB1_1472 Depth=2
	s_wait_loadcnt 0x0
	v_cmp_eq_u32_e32 vcc_lo, s12, v7
	v_cmp_eq_u32_e64 s0, s12, v9
	s_and_b32 s0, vcc_lo, s0
	s_delay_alu instid0(SALU_CYCLE_1)
	s_or_not1_b32 s0, s0, exec_lo
.LBB1_1476:                             ;   in Loop: Header=BB1_1472 Depth=2
	s_or_b32 exec_lo, exec_lo, s6
	s_delay_alu instid0(SALU_CYCLE_1) | instskip(NEXT) | instid1(SALU_CYCLE_1)
	s_and_b32 s0, exec_lo, s0
	s_or_b32 s1, s0, s1
	s_delay_alu instid0(SALU_CYCLE_1)
	s_and_not1_b32 exec_lo, exec_lo, s1
	s_cbranch_execnz .LBB1_1472
; %bb.1477:                             ;   in Loop: Header=BB1_1472 Depth=2
	s_or_b32 exec_lo, exec_lo, s1
	s_wait_loadcnt 0x0
	v_dual_mov_b32 v7, v8 :: v_dual_mov_b32 v1, 0
	s_mov_b32 s1, 0
	s_delay_alu instid0(VALU_DEP_1) | instskip(SKIP_1) | instid1(SALU_CYCLE_1)
	v_cmp_eq_u64_e32 vcc_lo, s[12:13], v[6:7]
	s_or_b32 s14, vcc_lo, s14
	s_and_not1_b32 exec_lo, exec_lo, s14
	s_cbranch_execnz .LBB1_1472
; %bb.1478:                             ;   in Loop: Header=BB1_1 Depth=1
	s_or_b32 exec_lo, exec_lo, s14
	s_add_co_i32 s6, s2, 0xd3
	s_mov_b32 s14, 0
	s_mul_hi_u32 s0, s6, 0x10624dd3
	s_mov_b32 s15, s12
	s_lshr_b32 s3, s0, 6
	s_or_b64 s[0:1], s[14:15], s[12:13]
	s_mulk_i32 s3, 0x3e8
	v_dual_mov_b32 v2, s0 :: v_dual_mov_b32 v3, s1
	s_sub_co_i32 s3, s6, s3
	s_mov_b32 s1, s5
	s_lshl_b32 s0, s3, 12
	v_lshl_add_u64 v[6:7], s[4:5], 4, v[12:13]
	v_add_nc_u64_e32 v[14:15], s[0:1], v[10:11]
	v_dual_mov_b32 v5, s12 :: v_dual_mov_b32 v1, 0
	s_lshl_b32 s4, s3, 8
	s_mov_b32 s7, s5
	s_mov_b32 s1, s14
	global_store_b128 v[6:7], v[2:5], off th:TH_STORE_NT
.LBB1_1479:                             ;   Parent Loop BB1_1 Depth=1
                                        ; =>  This Inner Loop Header: Depth=2
	s_wait_loadcnt 0x0
	global_load_b128 v[6:9], v[14:15], off th:TH_LOAD_NT
	v_add_nc_u32_e32 v1, 1, v1
	s_mov_b32 s0, -1
	s_mov_b32 s3, -1
	s_mov_b32 s12, exec_lo
	s_wait_xcnt 0x0
	v_cmpx_eq_u32_e32 0xf4240, v1
	s_cbranch_execz .LBB1_1481
; %bb.1480:                             ;   in Loop: Header=BB1_1479 Depth=2
	s_wait_loadcnt 0x0
	s_wait_storecnt 0x0
	global_load_b32 v1, v4, s[10:11] scope:SCOPE_SYS
	s_wait_loadcnt 0x0
	global_inv scope:SCOPE_SYS
	v_cmp_eq_u32_e32 vcc_lo, 0, v1
	v_mov_b32_e32 v1, 0
	s_or_not1_b32 s3, vcc_lo, exec_lo
.LBB1_1481:                             ;   in Loop: Header=BB1_1479 Depth=2
	s_wait_xcnt 0x0
	s_or_b32 exec_lo, exec_lo, s12
	s_and_saveexec_b32 s12, s3
	s_cbranch_execz .LBB1_1483
; %bb.1482:                             ;   in Loop: Header=BB1_1479 Depth=2
	s_wait_loadcnt 0x0
	v_cmp_eq_u32_e32 vcc_lo, s6, v7
	v_cmp_eq_u32_e64 s0, s6, v9
	s_and_b32 s0, vcc_lo, s0
	s_delay_alu instid0(SALU_CYCLE_1)
	s_or_not1_b32 s0, s0, exec_lo
.LBB1_1483:                             ;   in Loop: Header=BB1_1479 Depth=2
	s_or_b32 exec_lo, exec_lo, s12
	s_delay_alu instid0(SALU_CYCLE_1) | instskip(NEXT) | instid1(SALU_CYCLE_1)
	s_and_b32 s0, exec_lo, s0
	s_or_b32 s1, s0, s1
	s_delay_alu instid0(SALU_CYCLE_1)
	s_and_not1_b32 exec_lo, exec_lo, s1
	s_cbranch_execnz .LBB1_1479
; %bb.1484:                             ;   in Loop: Header=BB1_1479 Depth=2
	s_or_b32 exec_lo, exec_lo, s1
	s_wait_loadcnt 0x0
	v_dual_mov_b32 v7, v8 :: v_dual_mov_b32 v1, 0
	s_mov_b32 s1, 0
	s_delay_alu instid0(VALU_DEP_1) | instskip(SKIP_1) | instid1(SALU_CYCLE_1)
	v_cmp_eq_u64_e32 vcc_lo, s[6:7], v[6:7]
	s_or_b32 s14, vcc_lo, s14
	s_and_not1_b32 exec_lo, exec_lo, s14
	s_cbranch_execnz .LBB1_1479
; %bb.1485:                             ;   in Loop: Header=BB1_1 Depth=1
	s_or_b32 exec_lo, exec_lo, s14
	s_add_co_i32 s12, s2, 0xd4
	s_mov_b32 s14, 0
	s_mul_hi_u32 s0, s12, 0x10624dd3
	s_mov_b32 s15, s6
	s_lshr_b32 s3, s0, 6
	s_or_b64 s[0:1], s[14:15], s[6:7]
	s_mulk_i32 s3, 0x3e8
	v_dual_mov_b32 v2, s0 :: v_dual_mov_b32 v3, s1
	s_sub_co_i32 s3, s12, s3
	s_mov_b32 s1, s5
	s_lshl_b32 s0, s3, 12
	v_lshl_add_u64 v[6:7], s[4:5], 4, v[12:13]
	v_add_nc_u64_e32 v[14:15], s[0:1], v[10:11]
	v_dual_mov_b32 v5, s6 :: v_dual_mov_b32 v1, 0
	s_lshl_b32 s4, s3, 8
	s_mov_b32 s13, s5
	s_mov_b32 s1, s14
	global_store_b128 v[6:7], v[2:5], off th:TH_STORE_NT
.LBB1_1486:                             ;   Parent Loop BB1_1 Depth=1
                                        ; =>  This Inner Loop Header: Depth=2
	s_wait_loadcnt 0x0
	global_load_b128 v[6:9], v[14:15], off th:TH_LOAD_NT
	v_add_nc_u32_e32 v1, 1, v1
	s_mov_b32 s0, -1
	s_mov_b32 s3, -1
	s_mov_b32 s6, exec_lo
	s_wait_xcnt 0x0
	v_cmpx_eq_u32_e32 0xf4240, v1
	s_cbranch_execz .LBB1_1488
; %bb.1487:                             ;   in Loop: Header=BB1_1486 Depth=2
	s_wait_loadcnt 0x0
	s_wait_storecnt 0x0
	global_load_b32 v1, v4, s[10:11] scope:SCOPE_SYS
	s_wait_loadcnt 0x0
	global_inv scope:SCOPE_SYS
	v_cmp_eq_u32_e32 vcc_lo, 0, v1
	v_mov_b32_e32 v1, 0
	s_or_not1_b32 s3, vcc_lo, exec_lo
.LBB1_1488:                             ;   in Loop: Header=BB1_1486 Depth=2
	s_wait_xcnt 0x0
	s_or_b32 exec_lo, exec_lo, s6
	s_and_saveexec_b32 s6, s3
	s_cbranch_execz .LBB1_1490
; %bb.1489:                             ;   in Loop: Header=BB1_1486 Depth=2
	s_wait_loadcnt 0x0
	v_cmp_eq_u32_e32 vcc_lo, s12, v7
	v_cmp_eq_u32_e64 s0, s12, v9
	s_and_b32 s0, vcc_lo, s0
	s_delay_alu instid0(SALU_CYCLE_1)
	s_or_not1_b32 s0, s0, exec_lo
.LBB1_1490:                             ;   in Loop: Header=BB1_1486 Depth=2
	s_or_b32 exec_lo, exec_lo, s6
	s_delay_alu instid0(SALU_CYCLE_1) | instskip(NEXT) | instid1(SALU_CYCLE_1)
	s_and_b32 s0, exec_lo, s0
	s_or_b32 s1, s0, s1
	s_delay_alu instid0(SALU_CYCLE_1)
	s_and_not1_b32 exec_lo, exec_lo, s1
	s_cbranch_execnz .LBB1_1486
; %bb.1491:                             ;   in Loop: Header=BB1_1486 Depth=2
	s_or_b32 exec_lo, exec_lo, s1
	s_wait_loadcnt 0x0
	v_dual_mov_b32 v7, v8 :: v_dual_mov_b32 v1, 0
	s_mov_b32 s1, 0
	s_delay_alu instid0(VALU_DEP_1) | instskip(SKIP_1) | instid1(SALU_CYCLE_1)
	v_cmp_eq_u64_e32 vcc_lo, s[12:13], v[6:7]
	s_or_b32 s14, vcc_lo, s14
	s_and_not1_b32 exec_lo, exec_lo, s14
	s_cbranch_execnz .LBB1_1486
; %bb.1492:                             ;   in Loop: Header=BB1_1 Depth=1
	s_or_b32 exec_lo, exec_lo, s14
	s_add_co_i32 s6, s2, 0xd5
	s_mov_b32 s14, 0
	s_mul_hi_u32 s0, s6, 0x10624dd3
	s_mov_b32 s15, s12
	s_lshr_b32 s3, s0, 6
	s_or_b64 s[0:1], s[14:15], s[12:13]
	s_mulk_i32 s3, 0x3e8
	v_dual_mov_b32 v2, s0 :: v_dual_mov_b32 v3, s1
	s_sub_co_i32 s3, s6, s3
	s_mov_b32 s1, s5
	s_lshl_b32 s0, s3, 12
	v_lshl_add_u64 v[6:7], s[4:5], 4, v[12:13]
	v_add_nc_u64_e32 v[14:15], s[0:1], v[10:11]
	v_dual_mov_b32 v5, s12 :: v_dual_mov_b32 v1, 0
	s_lshl_b32 s4, s3, 8
	s_mov_b32 s7, s5
	s_mov_b32 s1, s14
	global_store_b128 v[6:7], v[2:5], off th:TH_STORE_NT
.LBB1_1493:                             ;   Parent Loop BB1_1 Depth=1
                                        ; =>  This Inner Loop Header: Depth=2
	s_wait_loadcnt 0x0
	global_load_b128 v[6:9], v[14:15], off th:TH_LOAD_NT
	v_add_nc_u32_e32 v1, 1, v1
	s_mov_b32 s0, -1
	s_mov_b32 s3, -1
	s_mov_b32 s12, exec_lo
	s_wait_xcnt 0x0
	v_cmpx_eq_u32_e32 0xf4240, v1
	s_cbranch_execz .LBB1_1495
; %bb.1494:                             ;   in Loop: Header=BB1_1493 Depth=2
	s_wait_loadcnt 0x0
	s_wait_storecnt 0x0
	global_load_b32 v1, v4, s[10:11] scope:SCOPE_SYS
	s_wait_loadcnt 0x0
	global_inv scope:SCOPE_SYS
	v_cmp_eq_u32_e32 vcc_lo, 0, v1
	v_mov_b32_e32 v1, 0
	s_or_not1_b32 s3, vcc_lo, exec_lo
.LBB1_1495:                             ;   in Loop: Header=BB1_1493 Depth=2
	s_wait_xcnt 0x0
	s_or_b32 exec_lo, exec_lo, s12
	s_and_saveexec_b32 s12, s3
	s_cbranch_execz .LBB1_1497
; %bb.1496:                             ;   in Loop: Header=BB1_1493 Depth=2
	s_wait_loadcnt 0x0
	v_cmp_eq_u32_e32 vcc_lo, s6, v7
	v_cmp_eq_u32_e64 s0, s6, v9
	s_and_b32 s0, vcc_lo, s0
	s_delay_alu instid0(SALU_CYCLE_1)
	s_or_not1_b32 s0, s0, exec_lo
.LBB1_1497:                             ;   in Loop: Header=BB1_1493 Depth=2
	s_or_b32 exec_lo, exec_lo, s12
	s_delay_alu instid0(SALU_CYCLE_1) | instskip(NEXT) | instid1(SALU_CYCLE_1)
	s_and_b32 s0, exec_lo, s0
	s_or_b32 s1, s0, s1
	s_delay_alu instid0(SALU_CYCLE_1)
	s_and_not1_b32 exec_lo, exec_lo, s1
	s_cbranch_execnz .LBB1_1493
; %bb.1498:                             ;   in Loop: Header=BB1_1493 Depth=2
	s_or_b32 exec_lo, exec_lo, s1
	s_wait_loadcnt 0x0
	v_dual_mov_b32 v7, v8 :: v_dual_mov_b32 v1, 0
	s_mov_b32 s1, 0
	s_delay_alu instid0(VALU_DEP_1) | instskip(SKIP_1) | instid1(SALU_CYCLE_1)
	v_cmp_eq_u64_e32 vcc_lo, s[6:7], v[6:7]
	s_or_b32 s14, vcc_lo, s14
	s_and_not1_b32 exec_lo, exec_lo, s14
	s_cbranch_execnz .LBB1_1493
; %bb.1499:                             ;   in Loop: Header=BB1_1 Depth=1
	s_or_b32 exec_lo, exec_lo, s14
	s_add_co_i32 s12, s2, 0xd6
	s_mov_b32 s14, 0
	s_mul_hi_u32 s0, s12, 0x10624dd3
	s_mov_b32 s15, s6
	s_lshr_b32 s3, s0, 6
	s_or_b64 s[0:1], s[14:15], s[6:7]
	s_mulk_i32 s3, 0x3e8
	v_dual_mov_b32 v2, s0 :: v_dual_mov_b32 v3, s1
	s_sub_co_i32 s3, s12, s3
	s_mov_b32 s1, s5
	s_lshl_b32 s0, s3, 12
	v_lshl_add_u64 v[6:7], s[4:5], 4, v[12:13]
	v_add_nc_u64_e32 v[14:15], s[0:1], v[10:11]
	v_dual_mov_b32 v5, s6 :: v_dual_mov_b32 v1, 0
	s_lshl_b32 s4, s3, 8
	s_mov_b32 s13, s5
	s_mov_b32 s1, s14
	global_store_b128 v[6:7], v[2:5], off th:TH_STORE_NT
.LBB1_1500:                             ;   Parent Loop BB1_1 Depth=1
                                        ; =>  This Inner Loop Header: Depth=2
	s_wait_loadcnt 0x0
	global_load_b128 v[6:9], v[14:15], off th:TH_LOAD_NT
	v_add_nc_u32_e32 v1, 1, v1
	s_mov_b32 s0, -1
	s_mov_b32 s3, -1
	s_mov_b32 s6, exec_lo
	s_wait_xcnt 0x0
	v_cmpx_eq_u32_e32 0xf4240, v1
	s_cbranch_execz .LBB1_1502
; %bb.1501:                             ;   in Loop: Header=BB1_1500 Depth=2
	s_wait_loadcnt 0x0
	s_wait_storecnt 0x0
	global_load_b32 v1, v4, s[10:11] scope:SCOPE_SYS
	s_wait_loadcnt 0x0
	global_inv scope:SCOPE_SYS
	v_cmp_eq_u32_e32 vcc_lo, 0, v1
	v_mov_b32_e32 v1, 0
	s_or_not1_b32 s3, vcc_lo, exec_lo
.LBB1_1502:                             ;   in Loop: Header=BB1_1500 Depth=2
	s_wait_xcnt 0x0
	s_or_b32 exec_lo, exec_lo, s6
	s_and_saveexec_b32 s6, s3
	s_cbranch_execz .LBB1_1504
; %bb.1503:                             ;   in Loop: Header=BB1_1500 Depth=2
	s_wait_loadcnt 0x0
	v_cmp_eq_u32_e32 vcc_lo, s12, v7
	v_cmp_eq_u32_e64 s0, s12, v9
	s_and_b32 s0, vcc_lo, s0
	s_delay_alu instid0(SALU_CYCLE_1)
	s_or_not1_b32 s0, s0, exec_lo
.LBB1_1504:                             ;   in Loop: Header=BB1_1500 Depth=2
	s_or_b32 exec_lo, exec_lo, s6
	s_delay_alu instid0(SALU_CYCLE_1) | instskip(NEXT) | instid1(SALU_CYCLE_1)
	s_and_b32 s0, exec_lo, s0
	s_or_b32 s1, s0, s1
	s_delay_alu instid0(SALU_CYCLE_1)
	s_and_not1_b32 exec_lo, exec_lo, s1
	s_cbranch_execnz .LBB1_1500
; %bb.1505:                             ;   in Loop: Header=BB1_1500 Depth=2
	s_or_b32 exec_lo, exec_lo, s1
	s_wait_loadcnt 0x0
	v_dual_mov_b32 v7, v8 :: v_dual_mov_b32 v1, 0
	s_mov_b32 s1, 0
	s_delay_alu instid0(VALU_DEP_1) | instskip(SKIP_1) | instid1(SALU_CYCLE_1)
	v_cmp_eq_u64_e32 vcc_lo, s[12:13], v[6:7]
	s_or_b32 s14, vcc_lo, s14
	s_and_not1_b32 exec_lo, exec_lo, s14
	s_cbranch_execnz .LBB1_1500
; %bb.1506:                             ;   in Loop: Header=BB1_1 Depth=1
	s_or_b32 exec_lo, exec_lo, s14
	s_add_co_i32 s6, s2, 0xd7
	s_mov_b32 s14, 0
	s_mul_hi_u32 s0, s6, 0x10624dd3
	s_mov_b32 s15, s12
	s_lshr_b32 s3, s0, 6
	s_or_b64 s[0:1], s[14:15], s[12:13]
	s_mulk_i32 s3, 0x3e8
	v_dual_mov_b32 v2, s0 :: v_dual_mov_b32 v3, s1
	s_sub_co_i32 s3, s6, s3
	s_mov_b32 s1, s5
	s_lshl_b32 s0, s3, 12
	v_lshl_add_u64 v[6:7], s[4:5], 4, v[12:13]
	v_add_nc_u64_e32 v[14:15], s[0:1], v[10:11]
	v_dual_mov_b32 v5, s12 :: v_dual_mov_b32 v1, 0
	s_lshl_b32 s4, s3, 8
	s_mov_b32 s7, s5
	s_mov_b32 s1, s14
	global_store_b128 v[6:7], v[2:5], off th:TH_STORE_NT
.LBB1_1507:                             ;   Parent Loop BB1_1 Depth=1
                                        ; =>  This Inner Loop Header: Depth=2
	s_wait_loadcnt 0x0
	global_load_b128 v[6:9], v[14:15], off th:TH_LOAD_NT
	v_add_nc_u32_e32 v1, 1, v1
	s_mov_b32 s0, -1
	s_mov_b32 s3, -1
	s_mov_b32 s12, exec_lo
	s_wait_xcnt 0x0
	v_cmpx_eq_u32_e32 0xf4240, v1
	s_cbranch_execz .LBB1_1509
; %bb.1508:                             ;   in Loop: Header=BB1_1507 Depth=2
	s_wait_loadcnt 0x0
	s_wait_storecnt 0x0
	global_load_b32 v1, v4, s[10:11] scope:SCOPE_SYS
	s_wait_loadcnt 0x0
	global_inv scope:SCOPE_SYS
	v_cmp_eq_u32_e32 vcc_lo, 0, v1
	v_mov_b32_e32 v1, 0
	s_or_not1_b32 s3, vcc_lo, exec_lo
.LBB1_1509:                             ;   in Loop: Header=BB1_1507 Depth=2
	s_wait_xcnt 0x0
	s_or_b32 exec_lo, exec_lo, s12
	s_and_saveexec_b32 s12, s3
	s_cbranch_execz .LBB1_1511
; %bb.1510:                             ;   in Loop: Header=BB1_1507 Depth=2
	s_wait_loadcnt 0x0
	v_cmp_eq_u32_e32 vcc_lo, s6, v7
	v_cmp_eq_u32_e64 s0, s6, v9
	s_and_b32 s0, vcc_lo, s0
	s_delay_alu instid0(SALU_CYCLE_1)
	s_or_not1_b32 s0, s0, exec_lo
.LBB1_1511:                             ;   in Loop: Header=BB1_1507 Depth=2
	s_or_b32 exec_lo, exec_lo, s12
	s_delay_alu instid0(SALU_CYCLE_1) | instskip(NEXT) | instid1(SALU_CYCLE_1)
	s_and_b32 s0, exec_lo, s0
	s_or_b32 s1, s0, s1
	s_delay_alu instid0(SALU_CYCLE_1)
	s_and_not1_b32 exec_lo, exec_lo, s1
	s_cbranch_execnz .LBB1_1507
; %bb.1512:                             ;   in Loop: Header=BB1_1507 Depth=2
	s_or_b32 exec_lo, exec_lo, s1
	s_wait_loadcnt 0x0
	v_dual_mov_b32 v7, v8 :: v_dual_mov_b32 v1, 0
	s_mov_b32 s1, 0
	s_delay_alu instid0(VALU_DEP_1) | instskip(SKIP_1) | instid1(SALU_CYCLE_1)
	v_cmp_eq_u64_e32 vcc_lo, s[6:7], v[6:7]
	s_or_b32 s14, vcc_lo, s14
	s_and_not1_b32 exec_lo, exec_lo, s14
	s_cbranch_execnz .LBB1_1507
; %bb.1513:                             ;   in Loop: Header=BB1_1 Depth=1
	s_or_b32 exec_lo, exec_lo, s14
	s_add_co_i32 s12, s2, 0xd8
	s_mov_b32 s14, 0
	s_mul_hi_u32 s0, s12, 0x10624dd3
	s_mov_b32 s15, s6
	s_lshr_b32 s3, s0, 6
	s_or_b64 s[0:1], s[14:15], s[6:7]
	s_mulk_i32 s3, 0x3e8
	v_dual_mov_b32 v2, s0 :: v_dual_mov_b32 v3, s1
	s_sub_co_i32 s3, s12, s3
	s_mov_b32 s1, s5
	s_lshl_b32 s0, s3, 12
	v_lshl_add_u64 v[6:7], s[4:5], 4, v[12:13]
	v_add_nc_u64_e32 v[14:15], s[0:1], v[10:11]
	v_dual_mov_b32 v5, s6 :: v_dual_mov_b32 v1, 0
	s_lshl_b32 s4, s3, 8
	s_mov_b32 s13, s5
	s_mov_b32 s1, s14
	global_store_b128 v[6:7], v[2:5], off th:TH_STORE_NT
.LBB1_1514:                             ;   Parent Loop BB1_1 Depth=1
                                        ; =>  This Inner Loop Header: Depth=2
	s_wait_loadcnt 0x0
	global_load_b128 v[6:9], v[14:15], off th:TH_LOAD_NT
	v_add_nc_u32_e32 v1, 1, v1
	s_mov_b32 s0, -1
	s_mov_b32 s3, -1
	s_mov_b32 s6, exec_lo
	s_wait_xcnt 0x0
	v_cmpx_eq_u32_e32 0xf4240, v1
	s_cbranch_execz .LBB1_1516
; %bb.1515:                             ;   in Loop: Header=BB1_1514 Depth=2
	s_wait_loadcnt 0x0
	s_wait_storecnt 0x0
	global_load_b32 v1, v4, s[10:11] scope:SCOPE_SYS
	s_wait_loadcnt 0x0
	global_inv scope:SCOPE_SYS
	v_cmp_eq_u32_e32 vcc_lo, 0, v1
	v_mov_b32_e32 v1, 0
	s_or_not1_b32 s3, vcc_lo, exec_lo
.LBB1_1516:                             ;   in Loop: Header=BB1_1514 Depth=2
	s_wait_xcnt 0x0
	s_or_b32 exec_lo, exec_lo, s6
	s_and_saveexec_b32 s6, s3
	s_cbranch_execz .LBB1_1518
; %bb.1517:                             ;   in Loop: Header=BB1_1514 Depth=2
	s_wait_loadcnt 0x0
	v_cmp_eq_u32_e32 vcc_lo, s12, v7
	v_cmp_eq_u32_e64 s0, s12, v9
	s_and_b32 s0, vcc_lo, s0
	s_delay_alu instid0(SALU_CYCLE_1)
	s_or_not1_b32 s0, s0, exec_lo
.LBB1_1518:                             ;   in Loop: Header=BB1_1514 Depth=2
	s_or_b32 exec_lo, exec_lo, s6
	s_delay_alu instid0(SALU_CYCLE_1) | instskip(NEXT) | instid1(SALU_CYCLE_1)
	s_and_b32 s0, exec_lo, s0
	s_or_b32 s1, s0, s1
	s_delay_alu instid0(SALU_CYCLE_1)
	s_and_not1_b32 exec_lo, exec_lo, s1
	s_cbranch_execnz .LBB1_1514
; %bb.1519:                             ;   in Loop: Header=BB1_1514 Depth=2
	s_or_b32 exec_lo, exec_lo, s1
	s_wait_loadcnt 0x0
	v_dual_mov_b32 v7, v8 :: v_dual_mov_b32 v1, 0
	s_mov_b32 s1, 0
	s_delay_alu instid0(VALU_DEP_1) | instskip(SKIP_1) | instid1(SALU_CYCLE_1)
	v_cmp_eq_u64_e32 vcc_lo, s[12:13], v[6:7]
	s_or_b32 s14, vcc_lo, s14
	s_and_not1_b32 exec_lo, exec_lo, s14
	s_cbranch_execnz .LBB1_1514
; %bb.1520:                             ;   in Loop: Header=BB1_1 Depth=1
	s_or_b32 exec_lo, exec_lo, s14
	s_add_co_i32 s6, s2, 0xd9
	s_mov_b32 s14, 0
	s_mul_hi_u32 s0, s6, 0x10624dd3
	s_mov_b32 s15, s12
	s_lshr_b32 s3, s0, 6
	s_or_b64 s[0:1], s[14:15], s[12:13]
	s_mulk_i32 s3, 0x3e8
	v_dual_mov_b32 v2, s0 :: v_dual_mov_b32 v3, s1
	s_sub_co_i32 s3, s6, s3
	s_mov_b32 s1, s5
	s_lshl_b32 s0, s3, 12
	v_lshl_add_u64 v[6:7], s[4:5], 4, v[12:13]
	v_add_nc_u64_e32 v[14:15], s[0:1], v[10:11]
	v_dual_mov_b32 v5, s12 :: v_dual_mov_b32 v1, 0
	s_lshl_b32 s4, s3, 8
	s_mov_b32 s7, s5
	s_mov_b32 s1, s14
	global_store_b128 v[6:7], v[2:5], off th:TH_STORE_NT
.LBB1_1521:                             ;   Parent Loop BB1_1 Depth=1
                                        ; =>  This Inner Loop Header: Depth=2
	s_wait_loadcnt 0x0
	global_load_b128 v[6:9], v[14:15], off th:TH_LOAD_NT
	v_add_nc_u32_e32 v1, 1, v1
	s_mov_b32 s0, -1
	s_mov_b32 s3, -1
	s_mov_b32 s12, exec_lo
	s_wait_xcnt 0x0
	v_cmpx_eq_u32_e32 0xf4240, v1
	s_cbranch_execz .LBB1_1523
; %bb.1522:                             ;   in Loop: Header=BB1_1521 Depth=2
	s_wait_loadcnt 0x0
	s_wait_storecnt 0x0
	global_load_b32 v1, v4, s[10:11] scope:SCOPE_SYS
	s_wait_loadcnt 0x0
	global_inv scope:SCOPE_SYS
	v_cmp_eq_u32_e32 vcc_lo, 0, v1
	v_mov_b32_e32 v1, 0
	s_or_not1_b32 s3, vcc_lo, exec_lo
.LBB1_1523:                             ;   in Loop: Header=BB1_1521 Depth=2
	s_wait_xcnt 0x0
	s_or_b32 exec_lo, exec_lo, s12
	s_and_saveexec_b32 s12, s3
	s_cbranch_execz .LBB1_1525
; %bb.1524:                             ;   in Loop: Header=BB1_1521 Depth=2
	s_wait_loadcnt 0x0
	v_cmp_eq_u32_e32 vcc_lo, s6, v7
	v_cmp_eq_u32_e64 s0, s6, v9
	s_and_b32 s0, vcc_lo, s0
	s_delay_alu instid0(SALU_CYCLE_1)
	s_or_not1_b32 s0, s0, exec_lo
.LBB1_1525:                             ;   in Loop: Header=BB1_1521 Depth=2
	s_or_b32 exec_lo, exec_lo, s12
	s_delay_alu instid0(SALU_CYCLE_1) | instskip(NEXT) | instid1(SALU_CYCLE_1)
	s_and_b32 s0, exec_lo, s0
	s_or_b32 s1, s0, s1
	s_delay_alu instid0(SALU_CYCLE_1)
	s_and_not1_b32 exec_lo, exec_lo, s1
	s_cbranch_execnz .LBB1_1521
; %bb.1526:                             ;   in Loop: Header=BB1_1521 Depth=2
	s_or_b32 exec_lo, exec_lo, s1
	s_wait_loadcnt 0x0
	v_dual_mov_b32 v7, v8 :: v_dual_mov_b32 v1, 0
	s_mov_b32 s1, 0
	s_delay_alu instid0(VALU_DEP_1) | instskip(SKIP_1) | instid1(SALU_CYCLE_1)
	v_cmp_eq_u64_e32 vcc_lo, s[6:7], v[6:7]
	s_or_b32 s14, vcc_lo, s14
	s_and_not1_b32 exec_lo, exec_lo, s14
	s_cbranch_execnz .LBB1_1521
; %bb.1527:                             ;   in Loop: Header=BB1_1 Depth=1
	s_or_b32 exec_lo, exec_lo, s14
	s_add_co_i32 s12, s2, 0xda
	s_mov_b32 s14, 0
	s_mul_hi_u32 s0, s12, 0x10624dd3
	s_mov_b32 s15, s6
	s_lshr_b32 s3, s0, 6
	s_or_b64 s[0:1], s[14:15], s[6:7]
	s_mulk_i32 s3, 0x3e8
	v_dual_mov_b32 v2, s0 :: v_dual_mov_b32 v3, s1
	s_sub_co_i32 s3, s12, s3
	s_mov_b32 s1, s5
	s_lshl_b32 s0, s3, 12
	v_lshl_add_u64 v[6:7], s[4:5], 4, v[12:13]
	v_add_nc_u64_e32 v[14:15], s[0:1], v[10:11]
	v_dual_mov_b32 v5, s6 :: v_dual_mov_b32 v1, 0
	s_lshl_b32 s4, s3, 8
	s_mov_b32 s13, s5
	s_mov_b32 s1, s14
	global_store_b128 v[6:7], v[2:5], off th:TH_STORE_NT
.LBB1_1528:                             ;   Parent Loop BB1_1 Depth=1
                                        ; =>  This Inner Loop Header: Depth=2
	s_wait_loadcnt 0x0
	global_load_b128 v[6:9], v[14:15], off th:TH_LOAD_NT
	v_add_nc_u32_e32 v1, 1, v1
	s_mov_b32 s0, -1
	s_mov_b32 s3, -1
	s_mov_b32 s6, exec_lo
	s_wait_xcnt 0x0
	v_cmpx_eq_u32_e32 0xf4240, v1
	s_cbranch_execz .LBB1_1530
; %bb.1529:                             ;   in Loop: Header=BB1_1528 Depth=2
	s_wait_loadcnt 0x0
	s_wait_storecnt 0x0
	global_load_b32 v1, v4, s[10:11] scope:SCOPE_SYS
	s_wait_loadcnt 0x0
	global_inv scope:SCOPE_SYS
	v_cmp_eq_u32_e32 vcc_lo, 0, v1
	v_mov_b32_e32 v1, 0
	s_or_not1_b32 s3, vcc_lo, exec_lo
.LBB1_1530:                             ;   in Loop: Header=BB1_1528 Depth=2
	s_wait_xcnt 0x0
	s_or_b32 exec_lo, exec_lo, s6
	s_and_saveexec_b32 s6, s3
	s_cbranch_execz .LBB1_1532
; %bb.1531:                             ;   in Loop: Header=BB1_1528 Depth=2
	s_wait_loadcnt 0x0
	v_cmp_eq_u32_e32 vcc_lo, s12, v7
	v_cmp_eq_u32_e64 s0, s12, v9
	s_and_b32 s0, vcc_lo, s0
	s_delay_alu instid0(SALU_CYCLE_1)
	s_or_not1_b32 s0, s0, exec_lo
.LBB1_1532:                             ;   in Loop: Header=BB1_1528 Depth=2
	s_or_b32 exec_lo, exec_lo, s6
	s_delay_alu instid0(SALU_CYCLE_1) | instskip(NEXT) | instid1(SALU_CYCLE_1)
	s_and_b32 s0, exec_lo, s0
	s_or_b32 s1, s0, s1
	s_delay_alu instid0(SALU_CYCLE_1)
	s_and_not1_b32 exec_lo, exec_lo, s1
	s_cbranch_execnz .LBB1_1528
; %bb.1533:                             ;   in Loop: Header=BB1_1528 Depth=2
	s_or_b32 exec_lo, exec_lo, s1
	s_wait_loadcnt 0x0
	v_dual_mov_b32 v7, v8 :: v_dual_mov_b32 v1, 0
	s_mov_b32 s1, 0
	s_delay_alu instid0(VALU_DEP_1) | instskip(SKIP_1) | instid1(SALU_CYCLE_1)
	v_cmp_eq_u64_e32 vcc_lo, s[12:13], v[6:7]
	s_or_b32 s14, vcc_lo, s14
	s_and_not1_b32 exec_lo, exec_lo, s14
	s_cbranch_execnz .LBB1_1528
; %bb.1534:                             ;   in Loop: Header=BB1_1 Depth=1
	s_or_b32 exec_lo, exec_lo, s14
	s_add_co_i32 s6, s2, 0xdb
	s_mov_b32 s14, 0
	s_mul_hi_u32 s0, s6, 0x10624dd3
	s_mov_b32 s15, s12
	s_lshr_b32 s3, s0, 6
	s_or_b64 s[0:1], s[14:15], s[12:13]
	s_mulk_i32 s3, 0x3e8
	v_dual_mov_b32 v2, s0 :: v_dual_mov_b32 v3, s1
	s_sub_co_i32 s3, s6, s3
	s_mov_b32 s1, s5
	s_lshl_b32 s0, s3, 12
	v_lshl_add_u64 v[6:7], s[4:5], 4, v[12:13]
	v_add_nc_u64_e32 v[14:15], s[0:1], v[10:11]
	v_dual_mov_b32 v5, s12 :: v_dual_mov_b32 v1, 0
	s_lshl_b32 s4, s3, 8
	s_mov_b32 s7, s5
	s_mov_b32 s1, s14
	global_store_b128 v[6:7], v[2:5], off th:TH_STORE_NT
.LBB1_1535:                             ;   Parent Loop BB1_1 Depth=1
                                        ; =>  This Inner Loop Header: Depth=2
	s_wait_loadcnt 0x0
	global_load_b128 v[6:9], v[14:15], off th:TH_LOAD_NT
	v_add_nc_u32_e32 v1, 1, v1
	s_mov_b32 s0, -1
	s_mov_b32 s3, -1
	s_mov_b32 s12, exec_lo
	s_wait_xcnt 0x0
	v_cmpx_eq_u32_e32 0xf4240, v1
	s_cbranch_execz .LBB1_1537
; %bb.1536:                             ;   in Loop: Header=BB1_1535 Depth=2
	s_wait_loadcnt 0x0
	s_wait_storecnt 0x0
	global_load_b32 v1, v4, s[10:11] scope:SCOPE_SYS
	s_wait_loadcnt 0x0
	global_inv scope:SCOPE_SYS
	v_cmp_eq_u32_e32 vcc_lo, 0, v1
	v_mov_b32_e32 v1, 0
	s_or_not1_b32 s3, vcc_lo, exec_lo
.LBB1_1537:                             ;   in Loop: Header=BB1_1535 Depth=2
	s_wait_xcnt 0x0
	s_or_b32 exec_lo, exec_lo, s12
	s_and_saveexec_b32 s12, s3
	s_cbranch_execz .LBB1_1539
; %bb.1538:                             ;   in Loop: Header=BB1_1535 Depth=2
	s_wait_loadcnt 0x0
	v_cmp_eq_u32_e32 vcc_lo, s6, v7
	v_cmp_eq_u32_e64 s0, s6, v9
	s_and_b32 s0, vcc_lo, s0
	s_delay_alu instid0(SALU_CYCLE_1)
	s_or_not1_b32 s0, s0, exec_lo
.LBB1_1539:                             ;   in Loop: Header=BB1_1535 Depth=2
	s_or_b32 exec_lo, exec_lo, s12
	s_delay_alu instid0(SALU_CYCLE_1) | instskip(NEXT) | instid1(SALU_CYCLE_1)
	s_and_b32 s0, exec_lo, s0
	s_or_b32 s1, s0, s1
	s_delay_alu instid0(SALU_CYCLE_1)
	s_and_not1_b32 exec_lo, exec_lo, s1
	s_cbranch_execnz .LBB1_1535
; %bb.1540:                             ;   in Loop: Header=BB1_1535 Depth=2
	s_or_b32 exec_lo, exec_lo, s1
	s_wait_loadcnt 0x0
	v_dual_mov_b32 v7, v8 :: v_dual_mov_b32 v1, 0
	s_mov_b32 s1, 0
	s_delay_alu instid0(VALU_DEP_1) | instskip(SKIP_1) | instid1(SALU_CYCLE_1)
	v_cmp_eq_u64_e32 vcc_lo, s[6:7], v[6:7]
	s_or_b32 s14, vcc_lo, s14
	s_and_not1_b32 exec_lo, exec_lo, s14
	s_cbranch_execnz .LBB1_1535
; %bb.1541:                             ;   in Loop: Header=BB1_1 Depth=1
	s_or_b32 exec_lo, exec_lo, s14
	s_add_co_i32 s12, s2, 0xdc
	s_mov_b32 s14, 0
	s_mul_hi_u32 s0, s12, 0x10624dd3
	s_mov_b32 s15, s6
	s_lshr_b32 s3, s0, 6
	s_or_b64 s[0:1], s[14:15], s[6:7]
	s_mulk_i32 s3, 0x3e8
	v_dual_mov_b32 v2, s0 :: v_dual_mov_b32 v3, s1
	s_sub_co_i32 s3, s12, s3
	s_mov_b32 s1, s5
	s_lshl_b32 s0, s3, 12
	v_lshl_add_u64 v[6:7], s[4:5], 4, v[12:13]
	v_add_nc_u64_e32 v[14:15], s[0:1], v[10:11]
	v_dual_mov_b32 v5, s6 :: v_dual_mov_b32 v1, 0
	s_lshl_b32 s4, s3, 8
	s_mov_b32 s13, s5
	s_mov_b32 s1, s14
	global_store_b128 v[6:7], v[2:5], off th:TH_STORE_NT
.LBB1_1542:                             ;   Parent Loop BB1_1 Depth=1
                                        ; =>  This Inner Loop Header: Depth=2
	s_wait_loadcnt 0x0
	global_load_b128 v[6:9], v[14:15], off th:TH_LOAD_NT
	v_add_nc_u32_e32 v1, 1, v1
	s_mov_b32 s0, -1
	s_mov_b32 s3, -1
	s_mov_b32 s6, exec_lo
	s_wait_xcnt 0x0
	v_cmpx_eq_u32_e32 0xf4240, v1
	s_cbranch_execz .LBB1_1544
; %bb.1543:                             ;   in Loop: Header=BB1_1542 Depth=2
	s_wait_loadcnt 0x0
	s_wait_storecnt 0x0
	global_load_b32 v1, v4, s[10:11] scope:SCOPE_SYS
	s_wait_loadcnt 0x0
	global_inv scope:SCOPE_SYS
	v_cmp_eq_u32_e32 vcc_lo, 0, v1
	v_mov_b32_e32 v1, 0
	s_or_not1_b32 s3, vcc_lo, exec_lo
.LBB1_1544:                             ;   in Loop: Header=BB1_1542 Depth=2
	s_wait_xcnt 0x0
	s_or_b32 exec_lo, exec_lo, s6
	s_and_saveexec_b32 s6, s3
	s_cbranch_execz .LBB1_1546
; %bb.1545:                             ;   in Loop: Header=BB1_1542 Depth=2
	s_wait_loadcnt 0x0
	v_cmp_eq_u32_e32 vcc_lo, s12, v7
	v_cmp_eq_u32_e64 s0, s12, v9
	s_and_b32 s0, vcc_lo, s0
	s_delay_alu instid0(SALU_CYCLE_1)
	s_or_not1_b32 s0, s0, exec_lo
.LBB1_1546:                             ;   in Loop: Header=BB1_1542 Depth=2
	s_or_b32 exec_lo, exec_lo, s6
	s_delay_alu instid0(SALU_CYCLE_1) | instskip(NEXT) | instid1(SALU_CYCLE_1)
	s_and_b32 s0, exec_lo, s0
	s_or_b32 s1, s0, s1
	s_delay_alu instid0(SALU_CYCLE_1)
	s_and_not1_b32 exec_lo, exec_lo, s1
	s_cbranch_execnz .LBB1_1542
; %bb.1547:                             ;   in Loop: Header=BB1_1542 Depth=2
	s_or_b32 exec_lo, exec_lo, s1
	s_wait_loadcnt 0x0
	v_dual_mov_b32 v7, v8 :: v_dual_mov_b32 v1, 0
	s_mov_b32 s1, 0
	s_delay_alu instid0(VALU_DEP_1) | instskip(SKIP_1) | instid1(SALU_CYCLE_1)
	v_cmp_eq_u64_e32 vcc_lo, s[12:13], v[6:7]
	s_or_b32 s14, vcc_lo, s14
	s_and_not1_b32 exec_lo, exec_lo, s14
	s_cbranch_execnz .LBB1_1542
; %bb.1548:                             ;   in Loop: Header=BB1_1 Depth=1
	s_or_b32 exec_lo, exec_lo, s14
	s_add_co_i32 s6, s2, 0xdd
	s_mov_b32 s14, 0
	s_mul_hi_u32 s0, s6, 0x10624dd3
	s_mov_b32 s15, s12
	s_lshr_b32 s3, s0, 6
	s_or_b64 s[0:1], s[14:15], s[12:13]
	s_mulk_i32 s3, 0x3e8
	v_dual_mov_b32 v2, s0 :: v_dual_mov_b32 v3, s1
	s_sub_co_i32 s3, s6, s3
	s_mov_b32 s1, s5
	s_lshl_b32 s0, s3, 12
	v_lshl_add_u64 v[6:7], s[4:5], 4, v[12:13]
	v_add_nc_u64_e32 v[14:15], s[0:1], v[10:11]
	v_dual_mov_b32 v5, s12 :: v_dual_mov_b32 v1, 0
	s_lshl_b32 s4, s3, 8
	s_mov_b32 s7, s5
	s_mov_b32 s1, s14
	global_store_b128 v[6:7], v[2:5], off th:TH_STORE_NT
.LBB1_1549:                             ;   Parent Loop BB1_1 Depth=1
                                        ; =>  This Inner Loop Header: Depth=2
	s_wait_loadcnt 0x0
	global_load_b128 v[6:9], v[14:15], off th:TH_LOAD_NT
	v_add_nc_u32_e32 v1, 1, v1
	s_mov_b32 s0, -1
	s_mov_b32 s3, -1
	s_mov_b32 s12, exec_lo
	s_wait_xcnt 0x0
	v_cmpx_eq_u32_e32 0xf4240, v1
	s_cbranch_execz .LBB1_1551
; %bb.1550:                             ;   in Loop: Header=BB1_1549 Depth=2
	s_wait_loadcnt 0x0
	s_wait_storecnt 0x0
	global_load_b32 v1, v4, s[10:11] scope:SCOPE_SYS
	s_wait_loadcnt 0x0
	global_inv scope:SCOPE_SYS
	v_cmp_eq_u32_e32 vcc_lo, 0, v1
	v_mov_b32_e32 v1, 0
	s_or_not1_b32 s3, vcc_lo, exec_lo
.LBB1_1551:                             ;   in Loop: Header=BB1_1549 Depth=2
	s_wait_xcnt 0x0
	s_or_b32 exec_lo, exec_lo, s12
	s_and_saveexec_b32 s12, s3
	s_cbranch_execz .LBB1_1553
; %bb.1552:                             ;   in Loop: Header=BB1_1549 Depth=2
	s_wait_loadcnt 0x0
	v_cmp_eq_u32_e32 vcc_lo, s6, v7
	v_cmp_eq_u32_e64 s0, s6, v9
	s_and_b32 s0, vcc_lo, s0
	s_delay_alu instid0(SALU_CYCLE_1)
	s_or_not1_b32 s0, s0, exec_lo
.LBB1_1553:                             ;   in Loop: Header=BB1_1549 Depth=2
	s_or_b32 exec_lo, exec_lo, s12
	s_delay_alu instid0(SALU_CYCLE_1) | instskip(NEXT) | instid1(SALU_CYCLE_1)
	s_and_b32 s0, exec_lo, s0
	s_or_b32 s1, s0, s1
	s_delay_alu instid0(SALU_CYCLE_1)
	s_and_not1_b32 exec_lo, exec_lo, s1
	s_cbranch_execnz .LBB1_1549
; %bb.1554:                             ;   in Loop: Header=BB1_1549 Depth=2
	s_or_b32 exec_lo, exec_lo, s1
	s_wait_loadcnt 0x0
	v_dual_mov_b32 v7, v8 :: v_dual_mov_b32 v1, 0
	s_mov_b32 s1, 0
	s_delay_alu instid0(VALU_DEP_1) | instskip(SKIP_1) | instid1(SALU_CYCLE_1)
	v_cmp_eq_u64_e32 vcc_lo, s[6:7], v[6:7]
	s_or_b32 s14, vcc_lo, s14
	s_and_not1_b32 exec_lo, exec_lo, s14
	s_cbranch_execnz .LBB1_1549
; %bb.1555:                             ;   in Loop: Header=BB1_1 Depth=1
	s_or_b32 exec_lo, exec_lo, s14
	s_add_co_i32 s12, s2, 0xde
	s_mov_b32 s14, 0
	s_mul_hi_u32 s0, s12, 0x10624dd3
	s_mov_b32 s15, s6
	s_lshr_b32 s3, s0, 6
	s_or_b64 s[0:1], s[14:15], s[6:7]
	s_mulk_i32 s3, 0x3e8
	v_dual_mov_b32 v2, s0 :: v_dual_mov_b32 v3, s1
	s_sub_co_i32 s3, s12, s3
	s_mov_b32 s1, s5
	s_lshl_b32 s0, s3, 12
	v_lshl_add_u64 v[6:7], s[4:5], 4, v[12:13]
	v_add_nc_u64_e32 v[14:15], s[0:1], v[10:11]
	v_dual_mov_b32 v5, s6 :: v_dual_mov_b32 v1, 0
	s_lshl_b32 s4, s3, 8
	s_mov_b32 s13, s5
	s_mov_b32 s1, s14
	global_store_b128 v[6:7], v[2:5], off th:TH_STORE_NT
.LBB1_1556:                             ;   Parent Loop BB1_1 Depth=1
                                        ; =>  This Inner Loop Header: Depth=2
	s_wait_loadcnt 0x0
	global_load_b128 v[6:9], v[14:15], off th:TH_LOAD_NT
	v_add_nc_u32_e32 v1, 1, v1
	s_mov_b32 s0, -1
	s_mov_b32 s3, -1
	s_mov_b32 s6, exec_lo
	s_wait_xcnt 0x0
	v_cmpx_eq_u32_e32 0xf4240, v1
	s_cbranch_execz .LBB1_1558
; %bb.1557:                             ;   in Loop: Header=BB1_1556 Depth=2
	s_wait_loadcnt 0x0
	s_wait_storecnt 0x0
	global_load_b32 v1, v4, s[10:11] scope:SCOPE_SYS
	s_wait_loadcnt 0x0
	global_inv scope:SCOPE_SYS
	v_cmp_eq_u32_e32 vcc_lo, 0, v1
	v_mov_b32_e32 v1, 0
	s_or_not1_b32 s3, vcc_lo, exec_lo
.LBB1_1558:                             ;   in Loop: Header=BB1_1556 Depth=2
	s_wait_xcnt 0x0
	s_or_b32 exec_lo, exec_lo, s6
	s_and_saveexec_b32 s6, s3
	s_cbranch_execz .LBB1_1560
; %bb.1559:                             ;   in Loop: Header=BB1_1556 Depth=2
	s_wait_loadcnt 0x0
	v_cmp_eq_u32_e32 vcc_lo, s12, v7
	v_cmp_eq_u32_e64 s0, s12, v9
	s_and_b32 s0, vcc_lo, s0
	s_delay_alu instid0(SALU_CYCLE_1)
	s_or_not1_b32 s0, s0, exec_lo
.LBB1_1560:                             ;   in Loop: Header=BB1_1556 Depth=2
	s_or_b32 exec_lo, exec_lo, s6
	s_delay_alu instid0(SALU_CYCLE_1) | instskip(NEXT) | instid1(SALU_CYCLE_1)
	s_and_b32 s0, exec_lo, s0
	s_or_b32 s1, s0, s1
	s_delay_alu instid0(SALU_CYCLE_1)
	s_and_not1_b32 exec_lo, exec_lo, s1
	s_cbranch_execnz .LBB1_1556
; %bb.1561:                             ;   in Loop: Header=BB1_1556 Depth=2
	s_or_b32 exec_lo, exec_lo, s1
	s_wait_loadcnt 0x0
	v_dual_mov_b32 v7, v8 :: v_dual_mov_b32 v1, 0
	s_mov_b32 s1, 0
	s_delay_alu instid0(VALU_DEP_1) | instskip(SKIP_1) | instid1(SALU_CYCLE_1)
	v_cmp_eq_u64_e32 vcc_lo, s[12:13], v[6:7]
	s_or_b32 s14, vcc_lo, s14
	s_and_not1_b32 exec_lo, exec_lo, s14
	s_cbranch_execnz .LBB1_1556
; %bb.1562:                             ;   in Loop: Header=BB1_1 Depth=1
	s_or_b32 exec_lo, exec_lo, s14
	s_add_co_i32 s6, s2, 0xdf
	s_mov_b32 s14, 0
	s_mul_hi_u32 s0, s6, 0x10624dd3
	s_mov_b32 s15, s12
	s_lshr_b32 s3, s0, 6
	s_or_b64 s[0:1], s[14:15], s[12:13]
	s_mulk_i32 s3, 0x3e8
	v_dual_mov_b32 v2, s0 :: v_dual_mov_b32 v3, s1
	s_sub_co_i32 s3, s6, s3
	s_mov_b32 s1, s5
	s_lshl_b32 s0, s3, 12
	v_lshl_add_u64 v[6:7], s[4:5], 4, v[12:13]
	v_add_nc_u64_e32 v[14:15], s[0:1], v[10:11]
	v_dual_mov_b32 v5, s12 :: v_dual_mov_b32 v1, 0
	s_lshl_b32 s4, s3, 8
	s_mov_b32 s7, s5
	s_mov_b32 s1, s14
	global_store_b128 v[6:7], v[2:5], off th:TH_STORE_NT
.LBB1_1563:                             ;   Parent Loop BB1_1 Depth=1
                                        ; =>  This Inner Loop Header: Depth=2
	s_wait_loadcnt 0x0
	global_load_b128 v[6:9], v[14:15], off th:TH_LOAD_NT
	v_add_nc_u32_e32 v1, 1, v1
	s_mov_b32 s0, -1
	s_mov_b32 s3, -1
	s_mov_b32 s12, exec_lo
	s_wait_xcnt 0x0
	v_cmpx_eq_u32_e32 0xf4240, v1
	s_cbranch_execz .LBB1_1565
; %bb.1564:                             ;   in Loop: Header=BB1_1563 Depth=2
	s_wait_loadcnt 0x0
	s_wait_storecnt 0x0
	global_load_b32 v1, v4, s[10:11] scope:SCOPE_SYS
	s_wait_loadcnt 0x0
	global_inv scope:SCOPE_SYS
	v_cmp_eq_u32_e32 vcc_lo, 0, v1
	v_mov_b32_e32 v1, 0
	s_or_not1_b32 s3, vcc_lo, exec_lo
.LBB1_1565:                             ;   in Loop: Header=BB1_1563 Depth=2
	s_wait_xcnt 0x0
	s_or_b32 exec_lo, exec_lo, s12
	s_and_saveexec_b32 s12, s3
	s_cbranch_execz .LBB1_1567
; %bb.1566:                             ;   in Loop: Header=BB1_1563 Depth=2
	s_wait_loadcnt 0x0
	v_cmp_eq_u32_e32 vcc_lo, s6, v7
	v_cmp_eq_u32_e64 s0, s6, v9
	s_and_b32 s0, vcc_lo, s0
	s_delay_alu instid0(SALU_CYCLE_1)
	s_or_not1_b32 s0, s0, exec_lo
.LBB1_1567:                             ;   in Loop: Header=BB1_1563 Depth=2
	s_or_b32 exec_lo, exec_lo, s12
	s_delay_alu instid0(SALU_CYCLE_1) | instskip(NEXT) | instid1(SALU_CYCLE_1)
	s_and_b32 s0, exec_lo, s0
	s_or_b32 s1, s0, s1
	s_delay_alu instid0(SALU_CYCLE_1)
	s_and_not1_b32 exec_lo, exec_lo, s1
	s_cbranch_execnz .LBB1_1563
; %bb.1568:                             ;   in Loop: Header=BB1_1563 Depth=2
	s_or_b32 exec_lo, exec_lo, s1
	s_wait_loadcnt 0x0
	v_dual_mov_b32 v7, v8 :: v_dual_mov_b32 v1, 0
	s_mov_b32 s1, 0
	s_delay_alu instid0(VALU_DEP_1) | instskip(SKIP_1) | instid1(SALU_CYCLE_1)
	v_cmp_eq_u64_e32 vcc_lo, s[6:7], v[6:7]
	s_or_b32 s14, vcc_lo, s14
	s_and_not1_b32 exec_lo, exec_lo, s14
	s_cbranch_execnz .LBB1_1563
; %bb.1569:                             ;   in Loop: Header=BB1_1 Depth=1
	s_or_b32 exec_lo, exec_lo, s14
	s_add_co_i32 s12, s2, 0xe0
	s_mov_b32 s14, 0
	s_mul_hi_u32 s0, s12, 0x10624dd3
	s_mov_b32 s15, s6
	s_lshr_b32 s3, s0, 6
	s_or_b64 s[0:1], s[14:15], s[6:7]
	s_mulk_i32 s3, 0x3e8
	v_dual_mov_b32 v2, s0 :: v_dual_mov_b32 v3, s1
	s_sub_co_i32 s3, s12, s3
	s_mov_b32 s1, s5
	s_lshl_b32 s0, s3, 12
	v_lshl_add_u64 v[6:7], s[4:5], 4, v[12:13]
	v_add_nc_u64_e32 v[14:15], s[0:1], v[10:11]
	v_dual_mov_b32 v5, s6 :: v_dual_mov_b32 v1, 0
	s_lshl_b32 s4, s3, 8
	s_mov_b32 s13, s5
	s_mov_b32 s1, s14
	global_store_b128 v[6:7], v[2:5], off th:TH_STORE_NT
.LBB1_1570:                             ;   Parent Loop BB1_1 Depth=1
                                        ; =>  This Inner Loop Header: Depth=2
	s_wait_loadcnt 0x0
	global_load_b128 v[6:9], v[14:15], off th:TH_LOAD_NT
	v_add_nc_u32_e32 v1, 1, v1
	s_mov_b32 s0, -1
	s_mov_b32 s3, -1
	s_mov_b32 s6, exec_lo
	s_wait_xcnt 0x0
	v_cmpx_eq_u32_e32 0xf4240, v1
	s_cbranch_execz .LBB1_1572
; %bb.1571:                             ;   in Loop: Header=BB1_1570 Depth=2
	s_wait_loadcnt 0x0
	s_wait_storecnt 0x0
	global_load_b32 v1, v4, s[10:11] scope:SCOPE_SYS
	s_wait_loadcnt 0x0
	global_inv scope:SCOPE_SYS
	v_cmp_eq_u32_e32 vcc_lo, 0, v1
	v_mov_b32_e32 v1, 0
	s_or_not1_b32 s3, vcc_lo, exec_lo
.LBB1_1572:                             ;   in Loop: Header=BB1_1570 Depth=2
	s_wait_xcnt 0x0
	s_or_b32 exec_lo, exec_lo, s6
	s_and_saveexec_b32 s6, s3
	s_cbranch_execz .LBB1_1574
; %bb.1573:                             ;   in Loop: Header=BB1_1570 Depth=2
	s_wait_loadcnt 0x0
	v_cmp_eq_u32_e32 vcc_lo, s12, v7
	v_cmp_eq_u32_e64 s0, s12, v9
	s_and_b32 s0, vcc_lo, s0
	s_delay_alu instid0(SALU_CYCLE_1)
	s_or_not1_b32 s0, s0, exec_lo
.LBB1_1574:                             ;   in Loop: Header=BB1_1570 Depth=2
	s_or_b32 exec_lo, exec_lo, s6
	s_delay_alu instid0(SALU_CYCLE_1) | instskip(NEXT) | instid1(SALU_CYCLE_1)
	s_and_b32 s0, exec_lo, s0
	s_or_b32 s1, s0, s1
	s_delay_alu instid0(SALU_CYCLE_1)
	s_and_not1_b32 exec_lo, exec_lo, s1
	s_cbranch_execnz .LBB1_1570
; %bb.1575:                             ;   in Loop: Header=BB1_1570 Depth=2
	s_or_b32 exec_lo, exec_lo, s1
	s_wait_loadcnt 0x0
	v_dual_mov_b32 v7, v8 :: v_dual_mov_b32 v1, 0
	s_mov_b32 s1, 0
	s_delay_alu instid0(VALU_DEP_1) | instskip(SKIP_1) | instid1(SALU_CYCLE_1)
	v_cmp_eq_u64_e32 vcc_lo, s[12:13], v[6:7]
	s_or_b32 s14, vcc_lo, s14
	s_and_not1_b32 exec_lo, exec_lo, s14
	s_cbranch_execnz .LBB1_1570
; %bb.1576:                             ;   in Loop: Header=BB1_1 Depth=1
	s_or_b32 exec_lo, exec_lo, s14
	s_add_co_i32 s6, s2, 0xe1
	s_mov_b32 s14, 0
	s_mul_hi_u32 s0, s6, 0x10624dd3
	s_mov_b32 s15, s12
	s_lshr_b32 s3, s0, 6
	s_or_b64 s[0:1], s[14:15], s[12:13]
	s_mulk_i32 s3, 0x3e8
	v_dual_mov_b32 v2, s0 :: v_dual_mov_b32 v3, s1
	s_sub_co_i32 s3, s6, s3
	s_mov_b32 s1, s5
	s_lshl_b32 s0, s3, 12
	v_lshl_add_u64 v[6:7], s[4:5], 4, v[12:13]
	v_add_nc_u64_e32 v[14:15], s[0:1], v[10:11]
	v_dual_mov_b32 v5, s12 :: v_dual_mov_b32 v1, 0
	s_lshl_b32 s4, s3, 8
	s_mov_b32 s7, s5
	s_mov_b32 s1, s14
	global_store_b128 v[6:7], v[2:5], off th:TH_STORE_NT
.LBB1_1577:                             ;   Parent Loop BB1_1 Depth=1
                                        ; =>  This Inner Loop Header: Depth=2
	s_wait_loadcnt 0x0
	global_load_b128 v[6:9], v[14:15], off th:TH_LOAD_NT
	v_add_nc_u32_e32 v1, 1, v1
	s_mov_b32 s0, -1
	s_mov_b32 s3, -1
	s_mov_b32 s12, exec_lo
	s_wait_xcnt 0x0
	v_cmpx_eq_u32_e32 0xf4240, v1
	s_cbranch_execz .LBB1_1579
; %bb.1578:                             ;   in Loop: Header=BB1_1577 Depth=2
	s_wait_loadcnt 0x0
	s_wait_storecnt 0x0
	global_load_b32 v1, v4, s[10:11] scope:SCOPE_SYS
	s_wait_loadcnt 0x0
	global_inv scope:SCOPE_SYS
	v_cmp_eq_u32_e32 vcc_lo, 0, v1
	v_mov_b32_e32 v1, 0
	s_or_not1_b32 s3, vcc_lo, exec_lo
.LBB1_1579:                             ;   in Loop: Header=BB1_1577 Depth=2
	s_wait_xcnt 0x0
	s_or_b32 exec_lo, exec_lo, s12
	s_and_saveexec_b32 s12, s3
	s_cbranch_execz .LBB1_1581
; %bb.1580:                             ;   in Loop: Header=BB1_1577 Depth=2
	s_wait_loadcnt 0x0
	v_cmp_eq_u32_e32 vcc_lo, s6, v7
	v_cmp_eq_u32_e64 s0, s6, v9
	s_and_b32 s0, vcc_lo, s0
	s_delay_alu instid0(SALU_CYCLE_1)
	s_or_not1_b32 s0, s0, exec_lo
.LBB1_1581:                             ;   in Loop: Header=BB1_1577 Depth=2
	s_or_b32 exec_lo, exec_lo, s12
	s_delay_alu instid0(SALU_CYCLE_1) | instskip(NEXT) | instid1(SALU_CYCLE_1)
	s_and_b32 s0, exec_lo, s0
	s_or_b32 s1, s0, s1
	s_delay_alu instid0(SALU_CYCLE_1)
	s_and_not1_b32 exec_lo, exec_lo, s1
	s_cbranch_execnz .LBB1_1577
; %bb.1582:                             ;   in Loop: Header=BB1_1577 Depth=2
	s_or_b32 exec_lo, exec_lo, s1
	s_wait_loadcnt 0x0
	v_dual_mov_b32 v7, v8 :: v_dual_mov_b32 v1, 0
	s_mov_b32 s1, 0
	s_delay_alu instid0(VALU_DEP_1) | instskip(SKIP_1) | instid1(SALU_CYCLE_1)
	v_cmp_eq_u64_e32 vcc_lo, s[6:7], v[6:7]
	s_or_b32 s14, vcc_lo, s14
	s_and_not1_b32 exec_lo, exec_lo, s14
	s_cbranch_execnz .LBB1_1577
; %bb.1583:                             ;   in Loop: Header=BB1_1 Depth=1
	s_or_b32 exec_lo, exec_lo, s14
	s_add_co_i32 s12, s2, 0xe2
	s_mov_b32 s14, 0
	s_mul_hi_u32 s0, s12, 0x10624dd3
	s_mov_b32 s15, s6
	s_lshr_b32 s3, s0, 6
	s_or_b64 s[0:1], s[14:15], s[6:7]
	s_mulk_i32 s3, 0x3e8
	v_dual_mov_b32 v2, s0 :: v_dual_mov_b32 v3, s1
	s_sub_co_i32 s3, s12, s3
	s_mov_b32 s1, s5
	s_lshl_b32 s0, s3, 12
	v_lshl_add_u64 v[6:7], s[4:5], 4, v[12:13]
	v_add_nc_u64_e32 v[14:15], s[0:1], v[10:11]
	v_dual_mov_b32 v5, s6 :: v_dual_mov_b32 v1, 0
	s_lshl_b32 s4, s3, 8
	s_mov_b32 s13, s5
	s_mov_b32 s1, s14
	global_store_b128 v[6:7], v[2:5], off th:TH_STORE_NT
.LBB1_1584:                             ;   Parent Loop BB1_1 Depth=1
                                        ; =>  This Inner Loop Header: Depth=2
	s_wait_loadcnt 0x0
	global_load_b128 v[6:9], v[14:15], off th:TH_LOAD_NT
	v_add_nc_u32_e32 v1, 1, v1
	s_mov_b32 s0, -1
	s_mov_b32 s3, -1
	s_mov_b32 s6, exec_lo
	s_wait_xcnt 0x0
	v_cmpx_eq_u32_e32 0xf4240, v1
	s_cbranch_execz .LBB1_1586
; %bb.1585:                             ;   in Loop: Header=BB1_1584 Depth=2
	s_wait_loadcnt 0x0
	s_wait_storecnt 0x0
	global_load_b32 v1, v4, s[10:11] scope:SCOPE_SYS
	s_wait_loadcnt 0x0
	global_inv scope:SCOPE_SYS
	v_cmp_eq_u32_e32 vcc_lo, 0, v1
	v_mov_b32_e32 v1, 0
	s_or_not1_b32 s3, vcc_lo, exec_lo
.LBB1_1586:                             ;   in Loop: Header=BB1_1584 Depth=2
	s_wait_xcnt 0x0
	s_or_b32 exec_lo, exec_lo, s6
	s_and_saveexec_b32 s6, s3
	s_cbranch_execz .LBB1_1588
; %bb.1587:                             ;   in Loop: Header=BB1_1584 Depth=2
	s_wait_loadcnt 0x0
	v_cmp_eq_u32_e32 vcc_lo, s12, v7
	v_cmp_eq_u32_e64 s0, s12, v9
	s_and_b32 s0, vcc_lo, s0
	s_delay_alu instid0(SALU_CYCLE_1)
	s_or_not1_b32 s0, s0, exec_lo
.LBB1_1588:                             ;   in Loop: Header=BB1_1584 Depth=2
	s_or_b32 exec_lo, exec_lo, s6
	s_delay_alu instid0(SALU_CYCLE_1) | instskip(NEXT) | instid1(SALU_CYCLE_1)
	s_and_b32 s0, exec_lo, s0
	s_or_b32 s1, s0, s1
	s_delay_alu instid0(SALU_CYCLE_1)
	s_and_not1_b32 exec_lo, exec_lo, s1
	s_cbranch_execnz .LBB1_1584
; %bb.1589:                             ;   in Loop: Header=BB1_1584 Depth=2
	s_or_b32 exec_lo, exec_lo, s1
	s_wait_loadcnt 0x0
	v_dual_mov_b32 v7, v8 :: v_dual_mov_b32 v1, 0
	s_mov_b32 s1, 0
	s_delay_alu instid0(VALU_DEP_1) | instskip(SKIP_1) | instid1(SALU_CYCLE_1)
	v_cmp_eq_u64_e32 vcc_lo, s[12:13], v[6:7]
	s_or_b32 s14, vcc_lo, s14
	s_and_not1_b32 exec_lo, exec_lo, s14
	s_cbranch_execnz .LBB1_1584
; %bb.1590:                             ;   in Loop: Header=BB1_1 Depth=1
	s_or_b32 exec_lo, exec_lo, s14
	s_add_co_i32 s6, s2, 0xe3
	s_mov_b32 s14, 0
	s_mul_hi_u32 s0, s6, 0x10624dd3
	s_mov_b32 s15, s12
	s_lshr_b32 s3, s0, 6
	s_or_b64 s[0:1], s[14:15], s[12:13]
	s_mulk_i32 s3, 0x3e8
	v_dual_mov_b32 v2, s0 :: v_dual_mov_b32 v3, s1
	s_sub_co_i32 s3, s6, s3
	s_mov_b32 s1, s5
	s_lshl_b32 s0, s3, 12
	v_lshl_add_u64 v[6:7], s[4:5], 4, v[12:13]
	v_add_nc_u64_e32 v[14:15], s[0:1], v[10:11]
	v_dual_mov_b32 v5, s12 :: v_dual_mov_b32 v1, 0
	s_lshl_b32 s4, s3, 8
	s_mov_b32 s7, s5
	s_mov_b32 s1, s14
	global_store_b128 v[6:7], v[2:5], off th:TH_STORE_NT
.LBB1_1591:                             ;   Parent Loop BB1_1 Depth=1
                                        ; =>  This Inner Loop Header: Depth=2
	s_wait_loadcnt 0x0
	global_load_b128 v[6:9], v[14:15], off th:TH_LOAD_NT
	v_add_nc_u32_e32 v1, 1, v1
	s_mov_b32 s0, -1
	s_mov_b32 s3, -1
	s_mov_b32 s12, exec_lo
	s_wait_xcnt 0x0
	v_cmpx_eq_u32_e32 0xf4240, v1
	s_cbranch_execz .LBB1_1593
; %bb.1592:                             ;   in Loop: Header=BB1_1591 Depth=2
	s_wait_loadcnt 0x0
	s_wait_storecnt 0x0
	global_load_b32 v1, v4, s[10:11] scope:SCOPE_SYS
	s_wait_loadcnt 0x0
	global_inv scope:SCOPE_SYS
	v_cmp_eq_u32_e32 vcc_lo, 0, v1
	v_mov_b32_e32 v1, 0
	s_or_not1_b32 s3, vcc_lo, exec_lo
.LBB1_1593:                             ;   in Loop: Header=BB1_1591 Depth=2
	s_wait_xcnt 0x0
	s_or_b32 exec_lo, exec_lo, s12
	s_and_saveexec_b32 s12, s3
	s_cbranch_execz .LBB1_1595
; %bb.1594:                             ;   in Loop: Header=BB1_1591 Depth=2
	s_wait_loadcnt 0x0
	v_cmp_eq_u32_e32 vcc_lo, s6, v7
	v_cmp_eq_u32_e64 s0, s6, v9
	s_and_b32 s0, vcc_lo, s0
	s_delay_alu instid0(SALU_CYCLE_1)
	s_or_not1_b32 s0, s0, exec_lo
.LBB1_1595:                             ;   in Loop: Header=BB1_1591 Depth=2
	s_or_b32 exec_lo, exec_lo, s12
	s_delay_alu instid0(SALU_CYCLE_1) | instskip(NEXT) | instid1(SALU_CYCLE_1)
	s_and_b32 s0, exec_lo, s0
	s_or_b32 s1, s0, s1
	s_delay_alu instid0(SALU_CYCLE_1)
	s_and_not1_b32 exec_lo, exec_lo, s1
	s_cbranch_execnz .LBB1_1591
; %bb.1596:                             ;   in Loop: Header=BB1_1591 Depth=2
	s_or_b32 exec_lo, exec_lo, s1
	s_wait_loadcnt 0x0
	v_dual_mov_b32 v7, v8 :: v_dual_mov_b32 v1, 0
	s_mov_b32 s1, 0
	s_delay_alu instid0(VALU_DEP_1) | instskip(SKIP_1) | instid1(SALU_CYCLE_1)
	v_cmp_eq_u64_e32 vcc_lo, s[6:7], v[6:7]
	s_or_b32 s14, vcc_lo, s14
	s_and_not1_b32 exec_lo, exec_lo, s14
	s_cbranch_execnz .LBB1_1591
; %bb.1597:                             ;   in Loop: Header=BB1_1 Depth=1
	s_or_b32 exec_lo, exec_lo, s14
	s_add_co_i32 s12, s2, 0xe4
	s_mov_b32 s14, 0
	s_mul_hi_u32 s0, s12, 0x10624dd3
	s_mov_b32 s15, s6
	s_lshr_b32 s3, s0, 6
	s_or_b64 s[0:1], s[14:15], s[6:7]
	s_mulk_i32 s3, 0x3e8
	v_dual_mov_b32 v2, s0 :: v_dual_mov_b32 v3, s1
	s_sub_co_i32 s3, s12, s3
	s_mov_b32 s1, s5
	s_lshl_b32 s0, s3, 12
	v_lshl_add_u64 v[6:7], s[4:5], 4, v[12:13]
	v_add_nc_u64_e32 v[14:15], s[0:1], v[10:11]
	v_dual_mov_b32 v5, s6 :: v_dual_mov_b32 v1, 0
	s_lshl_b32 s4, s3, 8
	s_mov_b32 s13, s5
	s_mov_b32 s1, s14
	global_store_b128 v[6:7], v[2:5], off th:TH_STORE_NT
.LBB1_1598:                             ;   Parent Loop BB1_1 Depth=1
                                        ; =>  This Inner Loop Header: Depth=2
	s_wait_loadcnt 0x0
	global_load_b128 v[6:9], v[14:15], off th:TH_LOAD_NT
	v_add_nc_u32_e32 v1, 1, v1
	s_mov_b32 s0, -1
	s_mov_b32 s3, -1
	s_mov_b32 s6, exec_lo
	s_wait_xcnt 0x0
	v_cmpx_eq_u32_e32 0xf4240, v1
	s_cbranch_execz .LBB1_1600
; %bb.1599:                             ;   in Loop: Header=BB1_1598 Depth=2
	s_wait_loadcnt 0x0
	s_wait_storecnt 0x0
	global_load_b32 v1, v4, s[10:11] scope:SCOPE_SYS
	s_wait_loadcnt 0x0
	global_inv scope:SCOPE_SYS
	v_cmp_eq_u32_e32 vcc_lo, 0, v1
	v_mov_b32_e32 v1, 0
	s_or_not1_b32 s3, vcc_lo, exec_lo
.LBB1_1600:                             ;   in Loop: Header=BB1_1598 Depth=2
	s_wait_xcnt 0x0
	s_or_b32 exec_lo, exec_lo, s6
	s_and_saveexec_b32 s6, s3
	s_cbranch_execz .LBB1_1602
; %bb.1601:                             ;   in Loop: Header=BB1_1598 Depth=2
	s_wait_loadcnt 0x0
	v_cmp_eq_u32_e32 vcc_lo, s12, v7
	v_cmp_eq_u32_e64 s0, s12, v9
	s_and_b32 s0, vcc_lo, s0
	s_delay_alu instid0(SALU_CYCLE_1)
	s_or_not1_b32 s0, s0, exec_lo
.LBB1_1602:                             ;   in Loop: Header=BB1_1598 Depth=2
	s_or_b32 exec_lo, exec_lo, s6
	s_delay_alu instid0(SALU_CYCLE_1) | instskip(NEXT) | instid1(SALU_CYCLE_1)
	s_and_b32 s0, exec_lo, s0
	s_or_b32 s1, s0, s1
	s_delay_alu instid0(SALU_CYCLE_1)
	s_and_not1_b32 exec_lo, exec_lo, s1
	s_cbranch_execnz .LBB1_1598
; %bb.1603:                             ;   in Loop: Header=BB1_1598 Depth=2
	s_or_b32 exec_lo, exec_lo, s1
	s_wait_loadcnt 0x0
	v_dual_mov_b32 v7, v8 :: v_dual_mov_b32 v1, 0
	s_mov_b32 s1, 0
	s_delay_alu instid0(VALU_DEP_1) | instskip(SKIP_1) | instid1(SALU_CYCLE_1)
	v_cmp_eq_u64_e32 vcc_lo, s[12:13], v[6:7]
	s_or_b32 s14, vcc_lo, s14
	s_and_not1_b32 exec_lo, exec_lo, s14
	s_cbranch_execnz .LBB1_1598
; %bb.1604:                             ;   in Loop: Header=BB1_1 Depth=1
	s_or_b32 exec_lo, exec_lo, s14
	s_add_co_i32 s6, s2, 0xe5
	s_mov_b32 s14, 0
	s_mul_hi_u32 s0, s6, 0x10624dd3
	s_mov_b32 s15, s12
	s_lshr_b32 s3, s0, 6
	s_or_b64 s[0:1], s[14:15], s[12:13]
	s_mulk_i32 s3, 0x3e8
	v_dual_mov_b32 v2, s0 :: v_dual_mov_b32 v3, s1
	s_sub_co_i32 s3, s6, s3
	s_mov_b32 s1, s5
	s_lshl_b32 s0, s3, 12
	v_lshl_add_u64 v[6:7], s[4:5], 4, v[12:13]
	v_add_nc_u64_e32 v[14:15], s[0:1], v[10:11]
	v_dual_mov_b32 v5, s12 :: v_dual_mov_b32 v1, 0
	s_lshl_b32 s4, s3, 8
	s_mov_b32 s7, s5
	s_mov_b32 s1, s14
	global_store_b128 v[6:7], v[2:5], off th:TH_STORE_NT
.LBB1_1605:                             ;   Parent Loop BB1_1 Depth=1
                                        ; =>  This Inner Loop Header: Depth=2
	s_wait_loadcnt 0x0
	global_load_b128 v[6:9], v[14:15], off th:TH_LOAD_NT
	v_add_nc_u32_e32 v1, 1, v1
	s_mov_b32 s0, -1
	s_mov_b32 s3, -1
	s_mov_b32 s12, exec_lo
	s_wait_xcnt 0x0
	v_cmpx_eq_u32_e32 0xf4240, v1
	s_cbranch_execz .LBB1_1607
; %bb.1606:                             ;   in Loop: Header=BB1_1605 Depth=2
	s_wait_loadcnt 0x0
	s_wait_storecnt 0x0
	global_load_b32 v1, v4, s[10:11] scope:SCOPE_SYS
	s_wait_loadcnt 0x0
	global_inv scope:SCOPE_SYS
	v_cmp_eq_u32_e32 vcc_lo, 0, v1
	v_mov_b32_e32 v1, 0
	s_or_not1_b32 s3, vcc_lo, exec_lo
.LBB1_1607:                             ;   in Loop: Header=BB1_1605 Depth=2
	s_wait_xcnt 0x0
	s_or_b32 exec_lo, exec_lo, s12
	s_and_saveexec_b32 s12, s3
	s_cbranch_execz .LBB1_1609
; %bb.1608:                             ;   in Loop: Header=BB1_1605 Depth=2
	s_wait_loadcnt 0x0
	v_cmp_eq_u32_e32 vcc_lo, s6, v7
	v_cmp_eq_u32_e64 s0, s6, v9
	s_and_b32 s0, vcc_lo, s0
	s_delay_alu instid0(SALU_CYCLE_1)
	s_or_not1_b32 s0, s0, exec_lo
.LBB1_1609:                             ;   in Loop: Header=BB1_1605 Depth=2
	s_or_b32 exec_lo, exec_lo, s12
	s_delay_alu instid0(SALU_CYCLE_1) | instskip(NEXT) | instid1(SALU_CYCLE_1)
	s_and_b32 s0, exec_lo, s0
	s_or_b32 s1, s0, s1
	s_delay_alu instid0(SALU_CYCLE_1)
	s_and_not1_b32 exec_lo, exec_lo, s1
	s_cbranch_execnz .LBB1_1605
; %bb.1610:                             ;   in Loop: Header=BB1_1605 Depth=2
	s_or_b32 exec_lo, exec_lo, s1
	s_wait_loadcnt 0x0
	v_dual_mov_b32 v7, v8 :: v_dual_mov_b32 v1, 0
	s_mov_b32 s1, 0
	s_delay_alu instid0(VALU_DEP_1) | instskip(SKIP_1) | instid1(SALU_CYCLE_1)
	v_cmp_eq_u64_e32 vcc_lo, s[6:7], v[6:7]
	s_or_b32 s14, vcc_lo, s14
	s_and_not1_b32 exec_lo, exec_lo, s14
	s_cbranch_execnz .LBB1_1605
; %bb.1611:                             ;   in Loop: Header=BB1_1 Depth=1
	s_or_b32 exec_lo, exec_lo, s14
	s_add_co_i32 s12, s2, 0xe6
	s_mov_b32 s14, 0
	s_mul_hi_u32 s0, s12, 0x10624dd3
	s_mov_b32 s15, s6
	s_lshr_b32 s3, s0, 6
	s_or_b64 s[0:1], s[14:15], s[6:7]
	s_mulk_i32 s3, 0x3e8
	v_dual_mov_b32 v2, s0 :: v_dual_mov_b32 v3, s1
	s_sub_co_i32 s3, s12, s3
	s_mov_b32 s1, s5
	s_lshl_b32 s0, s3, 12
	v_lshl_add_u64 v[6:7], s[4:5], 4, v[12:13]
	v_add_nc_u64_e32 v[14:15], s[0:1], v[10:11]
	v_dual_mov_b32 v5, s6 :: v_dual_mov_b32 v1, 0
	s_lshl_b32 s4, s3, 8
	s_mov_b32 s13, s5
	s_mov_b32 s1, s14
	global_store_b128 v[6:7], v[2:5], off th:TH_STORE_NT
.LBB1_1612:                             ;   Parent Loop BB1_1 Depth=1
                                        ; =>  This Inner Loop Header: Depth=2
	s_wait_loadcnt 0x0
	global_load_b128 v[6:9], v[14:15], off th:TH_LOAD_NT
	v_add_nc_u32_e32 v1, 1, v1
	s_mov_b32 s0, -1
	s_mov_b32 s3, -1
	s_mov_b32 s6, exec_lo
	s_wait_xcnt 0x0
	v_cmpx_eq_u32_e32 0xf4240, v1
	s_cbranch_execz .LBB1_1614
; %bb.1613:                             ;   in Loop: Header=BB1_1612 Depth=2
	s_wait_loadcnt 0x0
	s_wait_storecnt 0x0
	global_load_b32 v1, v4, s[10:11] scope:SCOPE_SYS
	s_wait_loadcnt 0x0
	global_inv scope:SCOPE_SYS
	v_cmp_eq_u32_e32 vcc_lo, 0, v1
	v_mov_b32_e32 v1, 0
	s_or_not1_b32 s3, vcc_lo, exec_lo
.LBB1_1614:                             ;   in Loop: Header=BB1_1612 Depth=2
	s_wait_xcnt 0x0
	s_or_b32 exec_lo, exec_lo, s6
	s_and_saveexec_b32 s6, s3
	s_cbranch_execz .LBB1_1616
; %bb.1615:                             ;   in Loop: Header=BB1_1612 Depth=2
	s_wait_loadcnt 0x0
	v_cmp_eq_u32_e32 vcc_lo, s12, v7
	v_cmp_eq_u32_e64 s0, s12, v9
	s_and_b32 s0, vcc_lo, s0
	s_delay_alu instid0(SALU_CYCLE_1)
	s_or_not1_b32 s0, s0, exec_lo
.LBB1_1616:                             ;   in Loop: Header=BB1_1612 Depth=2
	s_or_b32 exec_lo, exec_lo, s6
	s_delay_alu instid0(SALU_CYCLE_1) | instskip(NEXT) | instid1(SALU_CYCLE_1)
	s_and_b32 s0, exec_lo, s0
	s_or_b32 s1, s0, s1
	s_delay_alu instid0(SALU_CYCLE_1)
	s_and_not1_b32 exec_lo, exec_lo, s1
	s_cbranch_execnz .LBB1_1612
; %bb.1617:                             ;   in Loop: Header=BB1_1612 Depth=2
	s_or_b32 exec_lo, exec_lo, s1
	s_wait_loadcnt 0x0
	v_dual_mov_b32 v7, v8 :: v_dual_mov_b32 v1, 0
	s_mov_b32 s1, 0
	s_delay_alu instid0(VALU_DEP_1) | instskip(SKIP_1) | instid1(SALU_CYCLE_1)
	v_cmp_eq_u64_e32 vcc_lo, s[12:13], v[6:7]
	s_or_b32 s14, vcc_lo, s14
	s_and_not1_b32 exec_lo, exec_lo, s14
	s_cbranch_execnz .LBB1_1612
; %bb.1618:                             ;   in Loop: Header=BB1_1 Depth=1
	s_or_b32 exec_lo, exec_lo, s14
	s_add_co_i32 s6, s2, 0xe7
	s_mov_b32 s14, 0
	s_mul_hi_u32 s0, s6, 0x10624dd3
	s_mov_b32 s15, s12
	s_lshr_b32 s3, s0, 6
	s_or_b64 s[0:1], s[14:15], s[12:13]
	s_mulk_i32 s3, 0x3e8
	v_dual_mov_b32 v2, s0 :: v_dual_mov_b32 v3, s1
	s_sub_co_i32 s3, s6, s3
	s_mov_b32 s1, s5
	s_lshl_b32 s0, s3, 12
	v_lshl_add_u64 v[6:7], s[4:5], 4, v[12:13]
	v_add_nc_u64_e32 v[14:15], s[0:1], v[10:11]
	v_dual_mov_b32 v5, s12 :: v_dual_mov_b32 v1, 0
	s_lshl_b32 s4, s3, 8
	s_mov_b32 s7, s5
	s_mov_b32 s1, s14
	global_store_b128 v[6:7], v[2:5], off th:TH_STORE_NT
.LBB1_1619:                             ;   Parent Loop BB1_1 Depth=1
                                        ; =>  This Inner Loop Header: Depth=2
	s_wait_loadcnt 0x0
	global_load_b128 v[6:9], v[14:15], off th:TH_LOAD_NT
	v_add_nc_u32_e32 v1, 1, v1
	s_mov_b32 s0, -1
	s_mov_b32 s3, -1
	s_mov_b32 s12, exec_lo
	s_wait_xcnt 0x0
	v_cmpx_eq_u32_e32 0xf4240, v1
	s_cbranch_execz .LBB1_1621
; %bb.1620:                             ;   in Loop: Header=BB1_1619 Depth=2
	s_wait_loadcnt 0x0
	s_wait_storecnt 0x0
	global_load_b32 v1, v4, s[10:11] scope:SCOPE_SYS
	s_wait_loadcnt 0x0
	global_inv scope:SCOPE_SYS
	v_cmp_eq_u32_e32 vcc_lo, 0, v1
	v_mov_b32_e32 v1, 0
	s_or_not1_b32 s3, vcc_lo, exec_lo
.LBB1_1621:                             ;   in Loop: Header=BB1_1619 Depth=2
	s_wait_xcnt 0x0
	s_or_b32 exec_lo, exec_lo, s12
	s_and_saveexec_b32 s12, s3
	s_cbranch_execz .LBB1_1623
; %bb.1622:                             ;   in Loop: Header=BB1_1619 Depth=2
	s_wait_loadcnt 0x0
	v_cmp_eq_u32_e32 vcc_lo, s6, v7
	v_cmp_eq_u32_e64 s0, s6, v9
	s_and_b32 s0, vcc_lo, s0
	s_delay_alu instid0(SALU_CYCLE_1)
	s_or_not1_b32 s0, s0, exec_lo
.LBB1_1623:                             ;   in Loop: Header=BB1_1619 Depth=2
	s_or_b32 exec_lo, exec_lo, s12
	s_delay_alu instid0(SALU_CYCLE_1) | instskip(NEXT) | instid1(SALU_CYCLE_1)
	s_and_b32 s0, exec_lo, s0
	s_or_b32 s1, s0, s1
	s_delay_alu instid0(SALU_CYCLE_1)
	s_and_not1_b32 exec_lo, exec_lo, s1
	s_cbranch_execnz .LBB1_1619
; %bb.1624:                             ;   in Loop: Header=BB1_1619 Depth=2
	s_or_b32 exec_lo, exec_lo, s1
	s_wait_loadcnt 0x0
	v_dual_mov_b32 v7, v8 :: v_dual_mov_b32 v1, 0
	s_mov_b32 s1, 0
	s_delay_alu instid0(VALU_DEP_1) | instskip(SKIP_1) | instid1(SALU_CYCLE_1)
	v_cmp_eq_u64_e32 vcc_lo, s[6:7], v[6:7]
	s_or_b32 s14, vcc_lo, s14
	s_and_not1_b32 exec_lo, exec_lo, s14
	s_cbranch_execnz .LBB1_1619
; %bb.1625:                             ;   in Loop: Header=BB1_1 Depth=1
	s_or_b32 exec_lo, exec_lo, s14
	s_add_co_i32 s12, s2, 0xe8
	s_mov_b32 s14, 0
	s_mul_hi_u32 s0, s12, 0x10624dd3
	s_mov_b32 s15, s6
	s_lshr_b32 s3, s0, 6
	s_or_b64 s[0:1], s[14:15], s[6:7]
	s_mulk_i32 s3, 0x3e8
	v_dual_mov_b32 v2, s0 :: v_dual_mov_b32 v3, s1
	s_sub_co_i32 s3, s12, s3
	s_mov_b32 s1, s5
	s_lshl_b32 s0, s3, 12
	v_lshl_add_u64 v[6:7], s[4:5], 4, v[12:13]
	v_add_nc_u64_e32 v[14:15], s[0:1], v[10:11]
	v_dual_mov_b32 v5, s6 :: v_dual_mov_b32 v1, 0
	s_lshl_b32 s4, s3, 8
	s_mov_b32 s13, s5
	s_mov_b32 s1, s14
	global_store_b128 v[6:7], v[2:5], off th:TH_STORE_NT
.LBB1_1626:                             ;   Parent Loop BB1_1 Depth=1
                                        ; =>  This Inner Loop Header: Depth=2
	s_wait_loadcnt 0x0
	global_load_b128 v[6:9], v[14:15], off th:TH_LOAD_NT
	v_add_nc_u32_e32 v1, 1, v1
	s_mov_b32 s0, -1
	s_mov_b32 s3, -1
	s_mov_b32 s6, exec_lo
	s_wait_xcnt 0x0
	v_cmpx_eq_u32_e32 0xf4240, v1
	s_cbranch_execz .LBB1_1628
; %bb.1627:                             ;   in Loop: Header=BB1_1626 Depth=2
	s_wait_loadcnt 0x0
	s_wait_storecnt 0x0
	global_load_b32 v1, v4, s[10:11] scope:SCOPE_SYS
	s_wait_loadcnt 0x0
	global_inv scope:SCOPE_SYS
	v_cmp_eq_u32_e32 vcc_lo, 0, v1
	v_mov_b32_e32 v1, 0
	s_or_not1_b32 s3, vcc_lo, exec_lo
.LBB1_1628:                             ;   in Loop: Header=BB1_1626 Depth=2
	s_wait_xcnt 0x0
	s_or_b32 exec_lo, exec_lo, s6
	s_and_saveexec_b32 s6, s3
	s_cbranch_execz .LBB1_1630
; %bb.1629:                             ;   in Loop: Header=BB1_1626 Depth=2
	s_wait_loadcnt 0x0
	v_cmp_eq_u32_e32 vcc_lo, s12, v7
	v_cmp_eq_u32_e64 s0, s12, v9
	s_and_b32 s0, vcc_lo, s0
	s_delay_alu instid0(SALU_CYCLE_1)
	s_or_not1_b32 s0, s0, exec_lo
.LBB1_1630:                             ;   in Loop: Header=BB1_1626 Depth=2
	s_or_b32 exec_lo, exec_lo, s6
	s_delay_alu instid0(SALU_CYCLE_1) | instskip(NEXT) | instid1(SALU_CYCLE_1)
	s_and_b32 s0, exec_lo, s0
	s_or_b32 s1, s0, s1
	s_delay_alu instid0(SALU_CYCLE_1)
	s_and_not1_b32 exec_lo, exec_lo, s1
	s_cbranch_execnz .LBB1_1626
; %bb.1631:                             ;   in Loop: Header=BB1_1626 Depth=2
	s_or_b32 exec_lo, exec_lo, s1
	s_wait_loadcnt 0x0
	v_dual_mov_b32 v7, v8 :: v_dual_mov_b32 v1, 0
	s_mov_b32 s1, 0
	s_delay_alu instid0(VALU_DEP_1) | instskip(SKIP_1) | instid1(SALU_CYCLE_1)
	v_cmp_eq_u64_e32 vcc_lo, s[12:13], v[6:7]
	s_or_b32 s14, vcc_lo, s14
	s_and_not1_b32 exec_lo, exec_lo, s14
	s_cbranch_execnz .LBB1_1626
; %bb.1632:                             ;   in Loop: Header=BB1_1 Depth=1
	s_or_b32 exec_lo, exec_lo, s14
	s_add_co_i32 s6, s2, 0xe9
	s_mov_b32 s14, 0
	s_mul_hi_u32 s0, s6, 0x10624dd3
	s_mov_b32 s15, s12
	s_lshr_b32 s3, s0, 6
	s_or_b64 s[0:1], s[14:15], s[12:13]
	s_mulk_i32 s3, 0x3e8
	v_dual_mov_b32 v2, s0 :: v_dual_mov_b32 v3, s1
	s_sub_co_i32 s3, s6, s3
	s_mov_b32 s1, s5
	s_lshl_b32 s0, s3, 12
	v_lshl_add_u64 v[6:7], s[4:5], 4, v[12:13]
	v_add_nc_u64_e32 v[14:15], s[0:1], v[10:11]
	v_dual_mov_b32 v5, s12 :: v_dual_mov_b32 v1, 0
	s_lshl_b32 s4, s3, 8
	s_mov_b32 s7, s5
	s_mov_b32 s1, s14
	global_store_b128 v[6:7], v[2:5], off th:TH_STORE_NT
.LBB1_1633:                             ;   Parent Loop BB1_1 Depth=1
                                        ; =>  This Inner Loop Header: Depth=2
	s_wait_loadcnt 0x0
	global_load_b128 v[6:9], v[14:15], off th:TH_LOAD_NT
	v_add_nc_u32_e32 v1, 1, v1
	s_mov_b32 s0, -1
	s_mov_b32 s3, -1
	s_mov_b32 s12, exec_lo
	s_wait_xcnt 0x0
	v_cmpx_eq_u32_e32 0xf4240, v1
	s_cbranch_execz .LBB1_1635
; %bb.1634:                             ;   in Loop: Header=BB1_1633 Depth=2
	s_wait_loadcnt 0x0
	s_wait_storecnt 0x0
	global_load_b32 v1, v4, s[10:11] scope:SCOPE_SYS
	s_wait_loadcnt 0x0
	global_inv scope:SCOPE_SYS
	v_cmp_eq_u32_e32 vcc_lo, 0, v1
	v_mov_b32_e32 v1, 0
	s_or_not1_b32 s3, vcc_lo, exec_lo
.LBB1_1635:                             ;   in Loop: Header=BB1_1633 Depth=2
	s_wait_xcnt 0x0
	s_or_b32 exec_lo, exec_lo, s12
	s_and_saveexec_b32 s12, s3
	s_cbranch_execz .LBB1_1637
; %bb.1636:                             ;   in Loop: Header=BB1_1633 Depth=2
	s_wait_loadcnt 0x0
	v_cmp_eq_u32_e32 vcc_lo, s6, v7
	v_cmp_eq_u32_e64 s0, s6, v9
	s_and_b32 s0, vcc_lo, s0
	s_delay_alu instid0(SALU_CYCLE_1)
	s_or_not1_b32 s0, s0, exec_lo
.LBB1_1637:                             ;   in Loop: Header=BB1_1633 Depth=2
	s_or_b32 exec_lo, exec_lo, s12
	s_delay_alu instid0(SALU_CYCLE_1) | instskip(NEXT) | instid1(SALU_CYCLE_1)
	s_and_b32 s0, exec_lo, s0
	s_or_b32 s1, s0, s1
	s_delay_alu instid0(SALU_CYCLE_1)
	s_and_not1_b32 exec_lo, exec_lo, s1
	s_cbranch_execnz .LBB1_1633
; %bb.1638:                             ;   in Loop: Header=BB1_1633 Depth=2
	s_or_b32 exec_lo, exec_lo, s1
	s_wait_loadcnt 0x0
	v_dual_mov_b32 v7, v8 :: v_dual_mov_b32 v1, 0
	s_mov_b32 s1, 0
	s_delay_alu instid0(VALU_DEP_1) | instskip(SKIP_1) | instid1(SALU_CYCLE_1)
	v_cmp_eq_u64_e32 vcc_lo, s[6:7], v[6:7]
	s_or_b32 s14, vcc_lo, s14
	s_and_not1_b32 exec_lo, exec_lo, s14
	s_cbranch_execnz .LBB1_1633
; %bb.1639:                             ;   in Loop: Header=BB1_1 Depth=1
	s_or_b32 exec_lo, exec_lo, s14
	s_add_co_i32 s12, s2, 0xea
	s_mov_b32 s14, 0
	s_mul_hi_u32 s0, s12, 0x10624dd3
	s_mov_b32 s15, s6
	s_lshr_b32 s3, s0, 6
	s_or_b64 s[0:1], s[14:15], s[6:7]
	s_mulk_i32 s3, 0x3e8
	v_dual_mov_b32 v2, s0 :: v_dual_mov_b32 v3, s1
	s_sub_co_i32 s3, s12, s3
	s_mov_b32 s1, s5
	s_lshl_b32 s0, s3, 12
	v_lshl_add_u64 v[6:7], s[4:5], 4, v[12:13]
	v_add_nc_u64_e32 v[14:15], s[0:1], v[10:11]
	v_dual_mov_b32 v5, s6 :: v_dual_mov_b32 v1, 0
	s_lshl_b32 s4, s3, 8
	s_mov_b32 s13, s5
	s_mov_b32 s1, s14
	global_store_b128 v[6:7], v[2:5], off th:TH_STORE_NT
.LBB1_1640:                             ;   Parent Loop BB1_1 Depth=1
                                        ; =>  This Inner Loop Header: Depth=2
	s_wait_loadcnt 0x0
	global_load_b128 v[6:9], v[14:15], off th:TH_LOAD_NT
	v_add_nc_u32_e32 v1, 1, v1
	s_mov_b32 s0, -1
	s_mov_b32 s3, -1
	s_mov_b32 s6, exec_lo
	s_wait_xcnt 0x0
	v_cmpx_eq_u32_e32 0xf4240, v1
	s_cbranch_execz .LBB1_1642
; %bb.1641:                             ;   in Loop: Header=BB1_1640 Depth=2
	s_wait_loadcnt 0x0
	s_wait_storecnt 0x0
	global_load_b32 v1, v4, s[10:11] scope:SCOPE_SYS
	s_wait_loadcnt 0x0
	global_inv scope:SCOPE_SYS
	v_cmp_eq_u32_e32 vcc_lo, 0, v1
	v_mov_b32_e32 v1, 0
	s_or_not1_b32 s3, vcc_lo, exec_lo
.LBB1_1642:                             ;   in Loop: Header=BB1_1640 Depth=2
	s_wait_xcnt 0x0
	s_or_b32 exec_lo, exec_lo, s6
	s_and_saveexec_b32 s6, s3
	s_cbranch_execz .LBB1_1644
; %bb.1643:                             ;   in Loop: Header=BB1_1640 Depth=2
	s_wait_loadcnt 0x0
	v_cmp_eq_u32_e32 vcc_lo, s12, v7
	v_cmp_eq_u32_e64 s0, s12, v9
	s_and_b32 s0, vcc_lo, s0
	s_delay_alu instid0(SALU_CYCLE_1)
	s_or_not1_b32 s0, s0, exec_lo
.LBB1_1644:                             ;   in Loop: Header=BB1_1640 Depth=2
	s_or_b32 exec_lo, exec_lo, s6
	s_delay_alu instid0(SALU_CYCLE_1) | instskip(NEXT) | instid1(SALU_CYCLE_1)
	s_and_b32 s0, exec_lo, s0
	s_or_b32 s1, s0, s1
	s_delay_alu instid0(SALU_CYCLE_1)
	s_and_not1_b32 exec_lo, exec_lo, s1
	s_cbranch_execnz .LBB1_1640
; %bb.1645:                             ;   in Loop: Header=BB1_1640 Depth=2
	s_or_b32 exec_lo, exec_lo, s1
	s_wait_loadcnt 0x0
	v_dual_mov_b32 v7, v8 :: v_dual_mov_b32 v1, 0
	s_mov_b32 s1, 0
	s_delay_alu instid0(VALU_DEP_1) | instskip(SKIP_1) | instid1(SALU_CYCLE_1)
	v_cmp_eq_u64_e32 vcc_lo, s[12:13], v[6:7]
	s_or_b32 s14, vcc_lo, s14
	s_and_not1_b32 exec_lo, exec_lo, s14
	s_cbranch_execnz .LBB1_1640
; %bb.1646:                             ;   in Loop: Header=BB1_1 Depth=1
	s_or_b32 exec_lo, exec_lo, s14
	s_add_co_i32 s6, s2, 0xeb
	s_mov_b32 s14, 0
	s_mul_hi_u32 s0, s6, 0x10624dd3
	s_mov_b32 s15, s12
	s_lshr_b32 s3, s0, 6
	s_or_b64 s[0:1], s[14:15], s[12:13]
	s_mulk_i32 s3, 0x3e8
	v_dual_mov_b32 v2, s0 :: v_dual_mov_b32 v3, s1
	s_sub_co_i32 s3, s6, s3
	s_mov_b32 s1, s5
	s_lshl_b32 s0, s3, 12
	v_lshl_add_u64 v[6:7], s[4:5], 4, v[12:13]
	v_add_nc_u64_e32 v[14:15], s[0:1], v[10:11]
	v_dual_mov_b32 v5, s12 :: v_dual_mov_b32 v1, 0
	s_lshl_b32 s4, s3, 8
	s_mov_b32 s7, s5
	s_mov_b32 s1, s14
	global_store_b128 v[6:7], v[2:5], off th:TH_STORE_NT
.LBB1_1647:                             ;   Parent Loop BB1_1 Depth=1
                                        ; =>  This Inner Loop Header: Depth=2
	s_wait_loadcnt 0x0
	global_load_b128 v[6:9], v[14:15], off th:TH_LOAD_NT
	v_add_nc_u32_e32 v1, 1, v1
	s_mov_b32 s0, -1
	s_mov_b32 s3, -1
	s_mov_b32 s12, exec_lo
	s_wait_xcnt 0x0
	v_cmpx_eq_u32_e32 0xf4240, v1
	s_cbranch_execz .LBB1_1649
; %bb.1648:                             ;   in Loop: Header=BB1_1647 Depth=2
	s_wait_loadcnt 0x0
	s_wait_storecnt 0x0
	global_load_b32 v1, v4, s[10:11] scope:SCOPE_SYS
	s_wait_loadcnt 0x0
	global_inv scope:SCOPE_SYS
	v_cmp_eq_u32_e32 vcc_lo, 0, v1
	v_mov_b32_e32 v1, 0
	s_or_not1_b32 s3, vcc_lo, exec_lo
.LBB1_1649:                             ;   in Loop: Header=BB1_1647 Depth=2
	s_wait_xcnt 0x0
	s_or_b32 exec_lo, exec_lo, s12
	s_and_saveexec_b32 s12, s3
	s_cbranch_execz .LBB1_1651
; %bb.1650:                             ;   in Loop: Header=BB1_1647 Depth=2
	s_wait_loadcnt 0x0
	v_cmp_eq_u32_e32 vcc_lo, s6, v7
	v_cmp_eq_u32_e64 s0, s6, v9
	s_and_b32 s0, vcc_lo, s0
	s_delay_alu instid0(SALU_CYCLE_1)
	s_or_not1_b32 s0, s0, exec_lo
.LBB1_1651:                             ;   in Loop: Header=BB1_1647 Depth=2
	s_or_b32 exec_lo, exec_lo, s12
	s_delay_alu instid0(SALU_CYCLE_1) | instskip(NEXT) | instid1(SALU_CYCLE_1)
	s_and_b32 s0, exec_lo, s0
	s_or_b32 s1, s0, s1
	s_delay_alu instid0(SALU_CYCLE_1)
	s_and_not1_b32 exec_lo, exec_lo, s1
	s_cbranch_execnz .LBB1_1647
; %bb.1652:                             ;   in Loop: Header=BB1_1647 Depth=2
	s_or_b32 exec_lo, exec_lo, s1
	s_wait_loadcnt 0x0
	v_dual_mov_b32 v7, v8 :: v_dual_mov_b32 v1, 0
	s_mov_b32 s1, 0
	s_delay_alu instid0(VALU_DEP_1) | instskip(SKIP_1) | instid1(SALU_CYCLE_1)
	v_cmp_eq_u64_e32 vcc_lo, s[6:7], v[6:7]
	s_or_b32 s14, vcc_lo, s14
	s_and_not1_b32 exec_lo, exec_lo, s14
	s_cbranch_execnz .LBB1_1647
; %bb.1653:                             ;   in Loop: Header=BB1_1 Depth=1
	s_or_b32 exec_lo, exec_lo, s14
	s_add_co_i32 s12, s2, 0xec
	s_mov_b32 s14, 0
	s_mul_hi_u32 s0, s12, 0x10624dd3
	s_mov_b32 s15, s6
	s_lshr_b32 s3, s0, 6
	s_or_b64 s[0:1], s[14:15], s[6:7]
	s_mulk_i32 s3, 0x3e8
	v_dual_mov_b32 v2, s0 :: v_dual_mov_b32 v3, s1
	s_sub_co_i32 s3, s12, s3
	s_mov_b32 s1, s5
	s_lshl_b32 s0, s3, 12
	v_lshl_add_u64 v[6:7], s[4:5], 4, v[12:13]
	v_add_nc_u64_e32 v[14:15], s[0:1], v[10:11]
	v_dual_mov_b32 v5, s6 :: v_dual_mov_b32 v1, 0
	s_lshl_b32 s4, s3, 8
	s_mov_b32 s13, s5
	s_mov_b32 s1, s14
	global_store_b128 v[6:7], v[2:5], off th:TH_STORE_NT
.LBB1_1654:                             ;   Parent Loop BB1_1 Depth=1
                                        ; =>  This Inner Loop Header: Depth=2
	s_wait_loadcnt 0x0
	global_load_b128 v[6:9], v[14:15], off th:TH_LOAD_NT
	v_add_nc_u32_e32 v1, 1, v1
	s_mov_b32 s0, -1
	s_mov_b32 s3, -1
	s_mov_b32 s6, exec_lo
	s_wait_xcnt 0x0
	v_cmpx_eq_u32_e32 0xf4240, v1
	s_cbranch_execz .LBB1_1656
; %bb.1655:                             ;   in Loop: Header=BB1_1654 Depth=2
	s_wait_loadcnt 0x0
	s_wait_storecnt 0x0
	global_load_b32 v1, v4, s[10:11] scope:SCOPE_SYS
	s_wait_loadcnt 0x0
	global_inv scope:SCOPE_SYS
	v_cmp_eq_u32_e32 vcc_lo, 0, v1
	v_mov_b32_e32 v1, 0
	s_or_not1_b32 s3, vcc_lo, exec_lo
.LBB1_1656:                             ;   in Loop: Header=BB1_1654 Depth=2
	s_wait_xcnt 0x0
	s_or_b32 exec_lo, exec_lo, s6
	s_and_saveexec_b32 s6, s3
	s_cbranch_execz .LBB1_1658
; %bb.1657:                             ;   in Loop: Header=BB1_1654 Depth=2
	s_wait_loadcnt 0x0
	v_cmp_eq_u32_e32 vcc_lo, s12, v7
	v_cmp_eq_u32_e64 s0, s12, v9
	s_and_b32 s0, vcc_lo, s0
	s_delay_alu instid0(SALU_CYCLE_1)
	s_or_not1_b32 s0, s0, exec_lo
.LBB1_1658:                             ;   in Loop: Header=BB1_1654 Depth=2
	s_or_b32 exec_lo, exec_lo, s6
	s_delay_alu instid0(SALU_CYCLE_1) | instskip(NEXT) | instid1(SALU_CYCLE_1)
	s_and_b32 s0, exec_lo, s0
	s_or_b32 s1, s0, s1
	s_delay_alu instid0(SALU_CYCLE_1)
	s_and_not1_b32 exec_lo, exec_lo, s1
	s_cbranch_execnz .LBB1_1654
; %bb.1659:                             ;   in Loop: Header=BB1_1654 Depth=2
	s_or_b32 exec_lo, exec_lo, s1
	s_wait_loadcnt 0x0
	v_dual_mov_b32 v7, v8 :: v_dual_mov_b32 v1, 0
	s_mov_b32 s1, 0
	s_delay_alu instid0(VALU_DEP_1) | instskip(SKIP_1) | instid1(SALU_CYCLE_1)
	v_cmp_eq_u64_e32 vcc_lo, s[12:13], v[6:7]
	s_or_b32 s14, vcc_lo, s14
	s_and_not1_b32 exec_lo, exec_lo, s14
	s_cbranch_execnz .LBB1_1654
; %bb.1660:                             ;   in Loop: Header=BB1_1 Depth=1
	s_or_b32 exec_lo, exec_lo, s14
	s_add_co_i32 s6, s2, 0xed
	s_mov_b32 s14, 0
	s_mul_hi_u32 s0, s6, 0x10624dd3
	s_mov_b32 s15, s12
	s_lshr_b32 s3, s0, 6
	s_or_b64 s[0:1], s[14:15], s[12:13]
	s_mulk_i32 s3, 0x3e8
	v_dual_mov_b32 v2, s0 :: v_dual_mov_b32 v3, s1
	s_sub_co_i32 s3, s6, s3
	s_mov_b32 s1, s5
	s_lshl_b32 s0, s3, 12
	v_lshl_add_u64 v[6:7], s[4:5], 4, v[12:13]
	v_add_nc_u64_e32 v[14:15], s[0:1], v[10:11]
	v_dual_mov_b32 v5, s12 :: v_dual_mov_b32 v1, 0
	s_lshl_b32 s4, s3, 8
	s_mov_b32 s7, s5
	s_mov_b32 s1, s14
	global_store_b128 v[6:7], v[2:5], off th:TH_STORE_NT
.LBB1_1661:                             ;   Parent Loop BB1_1 Depth=1
                                        ; =>  This Inner Loop Header: Depth=2
	s_wait_loadcnt 0x0
	global_load_b128 v[6:9], v[14:15], off th:TH_LOAD_NT
	v_add_nc_u32_e32 v1, 1, v1
	s_mov_b32 s0, -1
	s_mov_b32 s3, -1
	s_mov_b32 s12, exec_lo
	s_wait_xcnt 0x0
	v_cmpx_eq_u32_e32 0xf4240, v1
	s_cbranch_execz .LBB1_1663
; %bb.1662:                             ;   in Loop: Header=BB1_1661 Depth=2
	s_wait_loadcnt 0x0
	s_wait_storecnt 0x0
	global_load_b32 v1, v4, s[10:11] scope:SCOPE_SYS
	s_wait_loadcnt 0x0
	global_inv scope:SCOPE_SYS
	v_cmp_eq_u32_e32 vcc_lo, 0, v1
	v_mov_b32_e32 v1, 0
	s_or_not1_b32 s3, vcc_lo, exec_lo
.LBB1_1663:                             ;   in Loop: Header=BB1_1661 Depth=2
	s_wait_xcnt 0x0
	s_or_b32 exec_lo, exec_lo, s12
	s_and_saveexec_b32 s12, s3
	s_cbranch_execz .LBB1_1665
; %bb.1664:                             ;   in Loop: Header=BB1_1661 Depth=2
	s_wait_loadcnt 0x0
	v_cmp_eq_u32_e32 vcc_lo, s6, v7
	v_cmp_eq_u32_e64 s0, s6, v9
	s_and_b32 s0, vcc_lo, s0
	s_delay_alu instid0(SALU_CYCLE_1)
	s_or_not1_b32 s0, s0, exec_lo
.LBB1_1665:                             ;   in Loop: Header=BB1_1661 Depth=2
	s_or_b32 exec_lo, exec_lo, s12
	s_delay_alu instid0(SALU_CYCLE_1) | instskip(NEXT) | instid1(SALU_CYCLE_1)
	s_and_b32 s0, exec_lo, s0
	s_or_b32 s1, s0, s1
	s_delay_alu instid0(SALU_CYCLE_1)
	s_and_not1_b32 exec_lo, exec_lo, s1
	s_cbranch_execnz .LBB1_1661
; %bb.1666:                             ;   in Loop: Header=BB1_1661 Depth=2
	s_or_b32 exec_lo, exec_lo, s1
	s_wait_loadcnt 0x0
	v_dual_mov_b32 v7, v8 :: v_dual_mov_b32 v1, 0
	s_mov_b32 s1, 0
	s_delay_alu instid0(VALU_DEP_1) | instskip(SKIP_1) | instid1(SALU_CYCLE_1)
	v_cmp_eq_u64_e32 vcc_lo, s[6:7], v[6:7]
	s_or_b32 s14, vcc_lo, s14
	s_and_not1_b32 exec_lo, exec_lo, s14
	s_cbranch_execnz .LBB1_1661
; %bb.1667:                             ;   in Loop: Header=BB1_1 Depth=1
	s_or_b32 exec_lo, exec_lo, s14
	s_add_co_i32 s12, s2, 0xee
	s_mov_b32 s14, 0
	s_mul_hi_u32 s0, s12, 0x10624dd3
	s_mov_b32 s15, s6
	s_lshr_b32 s3, s0, 6
	s_or_b64 s[0:1], s[14:15], s[6:7]
	s_mulk_i32 s3, 0x3e8
	v_dual_mov_b32 v2, s0 :: v_dual_mov_b32 v3, s1
	s_sub_co_i32 s3, s12, s3
	s_mov_b32 s1, s5
	s_lshl_b32 s0, s3, 12
	v_lshl_add_u64 v[6:7], s[4:5], 4, v[12:13]
	v_add_nc_u64_e32 v[14:15], s[0:1], v[10:11]
	v_dual_mov_b32 v5, s6 :: v_dual_mov_b32 v1, 0
	s_lshl_b32 s4, s3, 8
	s_mov_b32 s13, s5
	s_mov_b32 s1, s14
	global_store_b128 v[6:7], v[2:5], off th:TH_STORE_NT
.LBB1_1668:                             ;   Parent Loop BB1_1 Depth=1
                                        ; =>  This Inner Loop Header: Depth=2
	s_wait_loadcnt 0x0
	global_load_b128 v[6:9], v[14:15], off th:TH_LOAD_NT
	v_add_nc_u32_e32 v1, 1, v1
	s_mov_b32 s0, -1
	s_mov_b32 s3, -1
	s_mov_b32 s6, exec_lo
	s_wait_xcnt 0x0
	v_cmpx_eq_u32_e32 0xf4240, v1
	s_cbranch_execz .LBB1_1670
; %bb.1669:                             ;   in Loop: Header=BB1_1668 Depth=2
	s_wait_loadcnt 0x0
	s_wait_storecnt 0x0
	global_load_b32 v1, v4, s[10:11] scope:SCOPE_SYS
	s_wait_loadcnt 0x0
	global_inv scope:SCOPE_SYS
	v_cmp_eq_u32_e32 vcc_lo, 0, v1
	v_mov_b32_e32 v1, 0
	s_or_not1_b32 s3, vcc_lo, exec_lo
.LBB1_1670:                             ;   in Loop: Header=BB1_1668 Depth=2
	s_wait_xcnt 0x0
	s_or_b32 exec_lo, exec_lo, s6
	s_and_saveexec_b32 s6, s3
	s_cbranch_execz .LBB1_1672
; %bb.1671:                             ;   in Loop: Header=BB1_1668 Depth=2
	s_wait_loadcnt 0x0
	v_cmp_eq_u32_e32 vcc_lo, s12, v7
	v_cmp_eq_u32_e64 s0, s12, v9
	s_and_b32 s0, vcc_lo, s0
	s_delay_alu instid0(SALU_CYCLE_1)
	s_or_not1_b32 s0, s0, exec_lo
.LBB1_1672:                             ;   in Loop: Header=BB1_1668 Depth=2
	s_or_b32 exec_lo, exec_lo, s6
	s_delay_alu instid0(SALU_CYCLE_1) | instskip(NEXT) | instid1(SALU_CYCLE_1)
	s_and_b32 s0, exec_lo, s0
	s_or_b32 s1, s0, s1
	s_delay_alu instid0(SALU_CYCLE_1)
	s_and_not1_b32 exec_lo, exec_lo, s1
	s_cbranch_execnz .LBB1_1668
; %bb.1673:                             ;   in Loop: Header=BB1_1668 Depth=2
	s_or_b32 exec_lo, exec_lo, s1
	s_wait_loadcnt 0x0
	v_dual_mov_b32 v7, v8 :: v_dual_mov_b32 v1, 0
	s_mov_b32 s1, 0
	s_delay_alu instid0(VALU_DEP_1) | instskip(SKIP_1) | instid1(SALU_CYCLE_1)
	v_cmp_eq_u64_e32 vcc_lo, s[12:13], v[6:7]
	s_or_b32 s14, vcc_lo, s14
	s_and_not1_b32 exec_lo, exec_lo, s14
	s_cbranch_execnz .LBB1_1668
; %bb.1674:                             ;   in Loop: Header=BB1_1 Depth=1
	s_or_b32 exec_lo, exec_lo, s14
	s_add_co_i32 s6, s2, 0xef
	s_mov_b32 s14, 0
	s_mul_hi_u32 s0, s6, 0x10624dd3
	s_mov_b32 s15, s12
	s_lshr_b32 s3, s0, 6
	s_or_b64 s[0:1], s[14:15], s[12:13]
	s_mulk_i32 s3, 0x3e8
	v_dual_mov_b32 v2, s0 :: v_dual_mov_b32 v3, s1
	s_sub_co_i32 s3, s6, s3
	s_mov_b32 s1, s5
	s_lshl_b32 s0, s3, 12
	v_lshl_add_u64 v[6:7], s[4:5], 4, v[12:13]
	v_add_nc_u64_e32 v[14:15], s[0:1], v[10:11]
	v_dual_mov_b32 v5, s12 :: v_dual_mov_b32 v1, 0
	s_lshl_b32 s4, s3, 8
	s_mov_b32 s7, s5
	s_mov_b32 s1, s14
	global_store_b128 v[6:7], v[2:5], off th:TH_STORE_NT
.LBB1_1675:                             ;   Parent Loop BB1_1 Depth=1
                                        ; =>  This Inner Loop Header: Depth=2
	s_wait_loadcnt 0x0
	global_load_b128 v[6:9], v[14:15], off th:TH_LOAD_NT
	v_add_nc_u32_e32 v1, 1, v1
	s_mov_b32 s0, -1
	s_mov_b32 s3, -1
	s_mov_b32 s12, exec_lo
	s_wait_xcnt 0x0
	v_cmpx_eq_u32_e32 0xf4240, v1
	s_cbranch_execz .LBB1_1677
; %bb.1676:                             ;   in Loop: Header=BB1_1675 Depth=2
	s_wait_loadcnt 0x0
	s_wait_storecnt 0x0
	global_load_b32 v1, v4, s[10:11] scope:SCOPE_SYS
	s_wait_loadcnt 0x0
	global_inv scope:SCOPE_SYS
	v_cmp_eq_u32_e32 vcc_lo, 0, v1
	v_mov_b32_e32 v1, 0
	s_or_not1_b32 s3, vcc_lo, exec_lo
.LBB1_1677:                             ;   in Loop: Header=BB1_1675 Depth=2
	s_wait_xcnt 0x0
	s_or_b32 exec_lo, exec_lo, s12
	s_and_saveexec_b32 s12, s3
	s_cbranch_execz .LBB1_1679
; %bb.1678:                             ;   in Loop: Header=BB1_1675 Depth=2
	s_wait_loadcnt 0x0
	v_cmp_eq_u32_e32 vcc_lo, s6, v7
	v_cmp_eq_u32_e64 s0, s6, v9
	s_and_b32 s0, vcc_lo, s0
	s_delay_alu instid0(SALU_CYCLE_1)
	s_or_not1_b32 s0, s0, exec_lo
.LBB1_1679:                             ;   in Loop: Header=BB1_1675 Depth=2
	s_or_b32 exec_lo, exec_lo, s12
	s_delay_alu instid0(SALU_CYCLE_1) | instskip(NEXT) | instid1(SALU_CYCLE_1)
	s_and_b32 s0, exec_lo, s0
	s_or_b32 s1, s0, s1
	s_delay_alu instid0(SALU_CYCLE_1)
	s_and_not1_b32 exec_lo, exec_lo, s1
	s_cbranch_execnz .LBB1_1675
; %bb.1680:                             ;   in Loop: Header=BB1_1675 Depth=2
	s_or_b32 exec_lo, exec_lo, s1
	s_wait_loadcnt 0x0
	v_dual_mov_b32 v7, v8 :: v_dual_mov_b32 v1, 0
	s_mov_b32 s1, 0
	s_delay_alu instid0(VALU_DEP_1) | instskip(SKIP_1) | instid1(SALU_CYCLE_1)
	v_cmp_eq_u64_e32 vcc_lo, s[6:7], v[6:7]
	s_or_b32 s14, vcc_lo, s14
	s_and_not1_b32 exec_lo, exec_lo, s14
	s_cbranch_execnz .LBB1_1675
; %bb.1681:                             ;   in Loop: Header=BB1_1 Depth=1
	s_or_b32 exec_lo, exec_lo, s14
	s_add_co_i32 s12, s2, 0xf0
	s_mov_b32 s14, 0
	s_mul_hi_u32 s0, s12, 0x10624dd3
	s_mov_b32 s15, s6
	s_lshr_b32 s3, s0, 6
	s_or_b64 s[0:1], s[14:15], s[6:7]
	s_mulk_i32 s3, 0x3e8
	v_dual_mov_b32 v2, s0 :: v_dual_mov_b32 v3, s1
	s_sub_co_i32 s3, s12, s3
	s_mov_b32 s1, s5
	s_lshl_b32 s0, s3, 12
	v_lshl_add_u64 v[6:7], s[4:5], 4, v[12:13]
	v_add_nc_u64_e32 v[14:15], s[0:1], v[10:11]
	v_dual_mov_b32 v5, s6 :: v_dual_mov_b32 v1, 0
	s_lshl_b32 s4, s3, 8
	s_mov_b32 s13, s5
	s_mov_b32 s1, s14
	global_store_b128 v[6:7], v[2:5], off th:TH_STORE_NT
.LBB1_1682:                             ;   Parent Loop BB1_1 Depth=1
                                        ; =>  This Inner Loop Header: Depth=2
	s_wait_loadcnt 0x0
	global_load_b128 v[6:9], v[14:15], off th:TH_LOAD_NT
	v_add_nc_u32_e32 v1, 1, v1
	s_mov_b32 s0, -1
	s_mov_b32 s3, -1
	s_mov_b32 s6, exec_lo
	s_wait_xcnt 0x0
	v_cmpx_eq_u32_e32 0xf4240, v1
	s_cbranch_execz .LBB1_1684
; %bb.1683:                             ;   in Loop: Header=BB1_1682 Depth=2
	s_wait_loadcnt 0x0
	s_wait_storecnt 0x0
	global_load_b32 v1, v4, s[10:11] scope:SCOPE_SYS
	s_wait_loadcnt 0x0
	global_inv scope:SCOPE_SYS
	v_cmp_eq_u32_e32 vcc_lo, 0, v1
	v_mov_b32_e32 v1, 0
	s_or_not1_b32 s3, vcc_lo, exec_lo
.LBB1_1684:                             ;   in Loop: Header=BB1_1682 Depth=2
	s_wait_xcnt 0x0
	s_or_b32 exec_lo, exec_lo, s6
	s_and_saveexec_b32 s6, s3
	s_cbranch_execz .LBB1_1686
; %bb.1685:                             ;   in Loop: Header=BB1_1682 Depth=2
	s_wait_loadcnt 0x0
	v_cmp_eq_u32_e32 vcc_lo, s12, v7
	v_cmp_eq_u32_e64 s0, s12, v9
	s_and_b32 s0, vcc_lo, s0
	s_delay_alu instid0(SALU_CYCLE_1)
	s_or_not1_b32 s0, s0, exec_lo
.LBB1_1686:                             ;   in Loop: Header=BB1_1682 Depth=2
	s_or_b32 exec_lo, exec_lo, s6
	s_delay_alu instid0(SALU_CYCLE_1) | instskip(NEXT) | instid1(SALU_CYCLE_1)
	s_and_b32 s0, exec_lo, s0
	s_or_b32 s1, s0, s1
	s_delay_alu instid0(SALU_CYCLE_1)
	s_and_not1_b32 exec_lo, exec_lo, s1
	s_cbranch_execnz .LBB1_1682
; %bb.1687:                             ;   in Loop: Header=BB1_1682 Depth=2
	s_or_b32 exec_lo, exec_lo, s1
	s_wait_loadcnt 0x0
	v_dual_mov_b32 v7, v8 :: v_dual_mov_b32 v1, 0
	s_mov_b32 s1, 0
	s_delay_alu instid0(VALU_DEP_1) | instskip(SKIP_1) | instid1(SALU_CYCLE_1)
	v_cmp_eq_u64_e32 vcc_lo, s[12:13], v[6:7]
	s_or_b32 s14, vcc_lo, s14
	s_and_not1_b32 exec_lo, exec_lo, s14
	s_cbranch_execnz .LBB1_1682
; %bb.1688:                             ;   in Loop: Header=BB1_1 Depth=1
	s_or_b32 exec_lo, exec_lo, s14
	s_add_co_i32 s6, s2, 0xf1
	s_mov_b32 s14, 0
	s_mul_hi_u32 s0, s6, 0x10624dd3
	s_mov_b32 s15, s12
	s_lshr_b32 s3, s0, 6
	s_or_b64 s[0:1], s[14:15], s[12:13]
	s_mulk_i32 s3, 0x3e8
	v_dual_mov_b32 v2, s0 :: v_dual_mov_b32 v3, s1
	s_sub_co_i32 s3, s6, s3
	s_mov_b32 s1, s5
	s_lshl_b32 s0, s3, 12
	v_lshl_add_u64 v[6:7], s[4:5], 4, v[12:13]
	v_add_nc_u64_e32 v[14:15], s[0:1], v[10:11]
	v_dual_mov_b32 v5, s12 :: v_dual_mov_b32 v1, 0
	s_lshl_b32 s4, s3, 8
	s_mov_b32 s7, s5
	s_mov_b32 s1, s14
	global_store_b128 v[6:7], v[2:5], off th:TH_STORE_NT
.LBB1_1689:                             ;   Parent Loop BB1_1 Depth=1
                                        ; =>  This Inner Loop Header: Depth=2
	s_wait_loadcnt 0x0
	global_load_b128 v[6:9], v[14:15], off th:TH_LOAD_NT
	v_add_nc_u32_e32 v1, 1, v1
	s_mov_b32 s0, -1
	s_mov_b32 s3, -1
	s_mov_b32 s12, exec_lo
	s_wait_xcnt 0x0
	v_cmpx_eq_u32_e32 0xf4240, v1
	s_cbranch_execz .LBB1_1691
; %bb.1690:                             ;   in Loop: Header=BB1_1689 Depth=2
	s_wait_loadcnt 0x0
	s_wait_storecnt 0x0
	global_load_b32 v1, v4, s[10:11] scope:SCOPE_SYS
	s_wait_loadcnt 0x0
	global_inv scope:SCOPE_SYS
	v_cmp_eq_u32_e32 vcc_lo, 0, v1
	v_mov_b32_e32 v1, 0
	s_or_not1_b32 s3, vcc_lo, exec_lo
.LBB1_1691:                             ;   in Loop: Header=BB1_1689 Depth=2
	s_wait_xcnt 0x0
	s_or_b32 exec_lo, exec_lo, s12
	s_and_saveexec_b32 s12, s3
	s_cbranch_execz .LBB1_1693
; %bb.1692:                             ;   in Loop: Header=BB1_1689 Depth=2
	s_wait_loadcnt 0x0
	v_cmp_eq_u32_e32 vcc_lo, s6, v7
	v_cmp_eq_u32_e64 s0, s6, v9
	s_and_b32 s0, vcc_lo, s0
	s_delay_alu instid0(SALU_CYCLE_1)
	s_or_not1_b32 s0, s0, exec_lo
.LBB1_1693:                             ;   in Loop: Header=BB1_1689 Depth=2
	s_or_b32 exec_lo, exec_lo, s12
	s_delay_alu instid0(SALU_CYCLE_1) | instskip(NEXT) | instid1(SALU_CYCLE_1)
	s_and_b32 s0, exec_lo, s0
	s_or_b32 s1, s0, s1
	s_delay_alu instid0(SALU_CYCLE_1)
	s_and_not1_b32 exec_lo, exec_lo, s1
	s_cbranch_execnz .LBB1_1689
; %bb.1694:                             ;   in Loop: Header=BB1_1689 Depth=2
	s_or_b32 exec_lo, exec_lo, s1
	s_wait_loadcnt 0x0
	v_dual_mov_b32 v7, v8 :: v_dual_mov_b32 v1, 0
	s_mov_b32 s1, 0
	s_delay_alu instid0(VALU_DEP_1) | instskip(SKIP_1) | instid1(SALU_CYCLE_1)
	v_cmp_eq_u64_e32 vcc_lo, s[6:7], v[6:7]
	s_or_b32 s14, vcc_lo, s14
	s_and_not1_b32 exec_lo, exec_lo, s14
	s_cbranch_execnz .LBB1_1689
; %bb.1695:                             ;   in Loop: Header=BB1_1 Depth=1
	s_or_b32 exec_lo, exec_lo, s14
	s_add_co_i32 s12, s2, 0xf2
	s_mov_b32 s14, 0
	s_mul_hi_u32 s0, s12, 0x10624dd3
	s_mov_b32 s15, s6
	s_lshr_b32 s3, s0, 6
	s_or_b64 s[0:1], s[14:15], s[6:7]
	s_mulk_i32 s3, 0x3e8
	v_dual_mov_b32 v2, s0 :: v_dual_mov_b32 v3, s1
	s_sub_co_i32 s3, s12, s3
	s_mov_b32 s1, s5
	s_lshl_b32 s0, s3, 12
	v_lshl_add_u64 v[6:7], s[4:5], 4, v[12:13]
	v_add_nc_u64_e32 v[14:15], s[0:1], v[10:11]
	v_dual_mov_b32 v5, s6 :: v_dual_mov_b32 v1, 0
	s_lshl_b32 s4, s3, 8
	s_mov_b32 s13, s5
	s_mov_b32 s1, s14
	global_store_b128 v[6:7], v[2:5], off th:TH_STORE_NT
.LBB1_1696:                             ;   Parent Loop BB1_1 Depth=1
                                        ; =>  This Inner Loop Header: Depth=2
	s_wait_loadcnt 0x0
	global_load_b128 v[6:9], v[14:15], off th:TH_LOAD_NT
	v_add_nc_u32_e32 v1, 1, v1
	s_mov_b32 s0, -1
	s_mov_b32 s3, -1
	s_mov_b32 s6, exec_lo
	s_wait_xcnt 0x0
	v_cmpx_eq_u32_e32 0xf4240, v1
	s_cbranch_execz .LBB1_1698
; %bb.1697:                             ;   in Loop: Header=BB1_1696 Depth=2
	s_wait_loadcnt 0x0
	s_wait_storecnt 0x0
	global_load_b32 v1, v4, s[10:11] scope:SCOPE_SYS
	s_wait_loadcnt 0x0
	global_inv scope:SCOPE_SYS
	v_cmp_eq_u32_e32 vcc_lo, 0, v1
	v_mov_b32_e32 v1, 0
	s_or_not1_b32 s3, vcc_lo, exec_lo
.LBB1_1698:                             ;   in Loop: Header=BB1_1696 Depth=2
	s_wait_xcnt 0x0
	s_or_b32 exec_lo, exec_lo, s6
	s_and_saveexec_b32 s6, s3
	s_cbranch_execz .LBB1_1700
; %bb.1699:                             ;   in Loop: Header=BB1_1696 Depth=2
	s_wait_loadcnt 0x0
	v_cmp_eq_u32_e32 vcc_lo, s12, v7
	v_cmp_eq_u32_e64 s0, s12, v9
	s_and_b32 s0, vcc_lo, s0
	s_delay_alu instid0(SALU_CYCLE_1)
	s_or_not1_b32 s0, s0, exec_lo
.LBB1_1700:                             ;   in Loop: Header=BB1_1696 Depth=2
	s_or_b32 exec_lo, exec_lo, s6
	s_delay_alu instid0(SALU_CYCLE_1) | instskip(NEXT) | instid1(SALU_CYCLE_1)
	s_and_b32 s0, exec_lo, s0
	s_or_b32 s1, s0, s1
	s_delay_alu instid0(SALU_CYCLE_1)
	s_and_not1_b32 exec_lo, exec_lo, s1
	s_cbranch_execnz .LBB1_1696
; %bb.1701:                             ;   in Loop: Header=BB1_1696 Depth=2
	s_or_b32 exec_lo, exec_lo, s1
	s_wait_loadcnt 0x0
	v_dual_mov_b32 v7, v8 :: v_dual_mov_b32 v1, 0
	s_mov_b32 s1, 0
	s_delay_alu instid0(VALU_DEP_1) | instskip(SKIP_1) | instid1(SALU_CYCLE_1)
	v_cmp_eq_u64_e32 vcc_lo, s[12:13], v[6:7]
	s_or_b32 s14, vcc_lo, s14
	s_and_not1_b32 exec_lo, exec_lo, s14
	s_cbranch_execnz .LBB1_1696
; %bb.1702:                             ;   in Loop: Header=BB1_1 Depth=1
	s_or_b32 exec_lo, exec_lo, s14
	s_add_co_i32 s6, s2, 0xf3
	s_mov_b32 s14, 0
	s_mul_hi_u32 s0, s6, 0x10624dd3
	s_mov_b32 s15, s12
	s_lshr_b32 s3, s0, 6
	s_or_b64 s[0:1], s[14:15], s[12:13]
	s_mulk_i32 s3, 0x3e8
	v_dual_mov_b32 v2, s0 :: v_dual_mov_b32 v3, s1
	s_sub_co_i32 s3, s6, s3
	s_mov_b32 s1, s5
	s_lshl_b32 s0, s3, 12
	v_lshl_add_u64 v[6:7], s[4:5], 4, v[12:13]
	v_add_nc_u64_e32 v[14:15], s[0:1], v[10:11]
	v_dual_mov_b32 v5, s12 :: v_dual_mov_b32 v1, 0
	s_lshl_b32 s4, s3, 8
	s_mov_b32 s7, s5
	s_mov_b32 s1, s14
	global_store_b128 v[6:7], v[2:5], off th:TH_STORE_NT
.LBB1_1703:                             ;   Parent Loop BB1_1 Depth=1
                                        ; =>  This Inner Loop Header: Depth=2
	s_wait_loadcnt 0x0
	global_load_b128 v[6:9], v[14:15], off th:TH_LOAD_NT
	v_add_nc_u32_e32 v1, 1, v1
	s_mov_b32 s0, -1
	s_mov_b32 s3, -1
	s_mov_b32 s12, exec_lo
	s_wait_xcnt 0x0
	v_cmpx_eq_u32_e32 0xf4240, v1
	s_cbranch_execz .LBB1_1705
; %bb.1704:                             ;   in Loop: Header=BB1_1703 Depth=2
	s_wait_loadcnt 0x0
	s_wait_storecnt 0x0
	global_load_b32 v1, v4, s[10:11] scope:SCOPE_SYS
	s_wait_loadcnt 0x0
	global_inv scope:SCOPE_SYS
	v_cmp_eq_u32_e32 vcc_lo, 0, v1
	v_mov_b32_e32 v1, 0
	s_or_not1_b32 s3, vcc_lo, exec_lo
.LBB1_1705:                             ;   in Loop: Header=BB1_1703 Depth=2
	s_wait_xcnt 0x0
	s_or_b32 exec_lo, exec_lo, s12
	s_and_saveexec_b32 s12, s3
	s_cbranch_execz .LBB1_1707
; %bb.1706:                             ;   in Loop: Header=BB1_1703 Depth=2
	s_wait_loadcnt 0x0
	v_cmp_eq_u32_e32 vcc_lo, s6, v7
	v_cmp_eq_u32_e64 s0, s6, v9
	s_and_b32 s0, vcc_lo, s0
	s_delay_alu instid0(SALU_CYCLE_1)
	s_or_not1_b32 s0, s0, exec_lo
.LBB1_1707:                             ;   in Loop: Header=BB1_1703 Depth=2
	s_or_b32 exec_lo, exec_lo, s12
	s_delay_alu instid0(SALU_CYCLE_1) | instskip(NEXT) | instid1(SALU_CYCLE_1)
	s_and_b32 s0, exec_lo, s0
	s_or_b32 s1, s0, s1
	s_delay_alu instid0(SALU_CYCLE_1)
	s_and_not1_b32 exec_lo, exec_lo, s1
	s_cbranch_execnz .LBB1_1703
; %bb.1708:                             ;   in Loop: Header=BB1_1703 Depth=2
	s_or_b32 exec_lo, exec_lo, s1
	s_wait_loadcnt 0x0
	v_dual_mov_b32 v7, v8 :: v_dual_mov_b32 v1, 0
	s_mov_b32 s1, 0
	s_delay_alu instid0(VALU_DEP_1) | instskip(SKIP_1) | instid1(SALU_CYCLE_1)
	v_cmp_eq_u64_e32 vcc_lo, s[6:7], v[6:7]
	s_or_b32 s14, vcc_lo, s14
	s_and_not1_b32 exec_lo, exec_lo, s14
	s_cbranch_execnz .LBB1_1703
; %bb.1709:                             ;   in Loop: Header=BB1_1 Depth=1
	s_or_b32 exec_lo, exec_lo, s14
	s_add_co_i32 s12, s2, 0xf4
	s_mov_b32 s14, 0
	s_mul_hi_u32 s0, s12, 0x10624dd3
	s_mov_b32 s15, s6
	s_lshr_b32 s3, s0, 6
	s_or_b64 s[0:1], s[14:15], s[6:7]
	s_mulk_i32 s3, 0x3e8
	v_dual_mov_b32 v2, s0 :: v_dual_mov_b32 v3, s1
	s_sub_co_i32 s3, s12, s3
	s_mov_b32 s1, s5
	s_lshl_b32 s0, s3, 12
	v_lshl_add_u64 v[6:7], s[4:5], 4, v[12:13]
	v_add_nc_u64_e32 v[14:15], s[0:1], v[10:11]
	v_dual_mov_b32 v5, s6 :: v_dual_mov_b32 v1, 0
	s_lshl_b32 s4, s3, 8
	s_mov_b32 s13, s5
	s_mov_b32 s1, s14
	global_store_b128 v[6:7], v[2:5], off th:TH_STORE_NT
.LBB1_1710:                             ;   Parent Loop BB1_1 Depth=1
                                        ; =>  This Inner Loop Header: Depth=2
	s_wait_loadcnt 0x0
	global_load_b128 v[6:9], v[14:15], off th:TH_LOAD_NT
	v_add_nc_u32_e32 v1, 1, v1
	s_mov_b32 s0, -1
	s_mov_b32 s3, -1
	s_mov_b32 s6, exec_lo
	s_wait_xcnt 0x0
	v_cmpx_eq_u32_e32 0xf4240, v1
	s_cbranch_execz .LBB1_1712
; %bb.1711:                             ;   in Loop: Header=BB1_1710 Depth=2
	s_wait_loadcnt 0x0
	s_wait_storecnt 0x0
	global_load_b32 v1, v4, s[10:11] scope:SCOPE_SYS
	s_wait_loadcnt 0x0
	global_inv scope:SCOPE_SYS
	v_cmp_eq_u32_e32 vcc_lo, 0, v1
	v_mov_b32_e32 v1, 0
	s_or_not1_b32 s3, vcc_lo, exec_lo
.LBB1_1712:                             ;   in Loop: Header=BB1_1710 Depth=2
	s_wait_xcnt 0x0
	s_or_b32 exec_lo, exec_lo, s6
	s_and_saveexec_b32 s6, s3
	s_cbranch_execz .LBB1_1714
; %bb.1713:                             ;   in Loop: Header=BB1_1710 Depth=2
	s_wait_loadcnt 0x0
	v_cmp_eq_u32_e32 vcc_lo, s12, v7
	v_cmp_eq_u32_e64 s0, s12, v9
	s_and_b32 s0, vcc_lo, s0
	s_delay_alu instid0(SALU_CYCLE_1)
	s_or_not1_b32 s0, s0, exec_lo
.LBB1_1714:                             ;   in Loop: Header=BB1_1710 Depth=2
	s_or_b32 exec_lo, exec_lo, s6
	s_delay_alu instid0(SALU_CYCLE_1) | instskip(NEXT) | instid1(SALU_CYCLE_1)
	s_and_b32 s0, exec_lo, s0
	s_or_b32 s1, s0, s1
	s_delay_alu instid0(SALU_CYCLE_1)
	s_and_not1_b32 exec_lo, exec_lo, s1
	s_cbranch_execnz .LBB1_1710
; %bb.1715:                             ;   in Loop: Header=BB1_1710 Depth=2
	s_or_b32 exec_lo, exec_lo, s1
	s_wait_loadcnt 0x0
	v_dual_mov_b32 v7, v8 :: v_dual_mov_b32 v1, 0
	s_mov_b32 s1, 0
	s_delay_alu instid0(VALU_DEP_1) | instskip(SKIP_1) | instid1(SALU_CYCLE_1)
	v_cmp_eq_u64_e32 vcc_lo, s[12:13], v[6:7]
	s_or_b32 s14, vcc_lo, s14
	s_and_not1_b32 exec_lo, exec_lo, s14
	s_cbranch_execnz .LBB1_1710
; %bb.1716:                             ;   in Loop: Header=BB1_1 Depth=1
	s_or_b32 exec_lo, exec_lo, s14
	s_add_co_i32 s6, s2, 0xf5
	s_mov_b32 s14, 0
	s_mul_hi_u32 s0, s6, 0x10624dd3
	s_mov_b32 s15, s12
	s_lshr_b32 s3, s0, 6
	s_or_b64 s[0:1], s[14:15], s[12:13]
	s_mulk_i32 s3, 0x3e8
	v_dual_mov_b32 v2, s0 :: v_dual_mov_b32 v3, s1
	s_sub_co_i32 s3, s6, s3
	s_mov_b32 s1, s5
	s_lshl_b32 s0, s3, 12
	v_lshl_add_u64 v[6:7], s[4:5], 4, v[12:13]
	v_add_nc_u64_e32 v[14:15], s[0:1], v[10:11]
	v_dual_mov_b32 v5, s12 :: v_dual_mov_b32 v1, 0
	s_lshl_b32 s4, s3, 8
	s_mov_b32 s7, s5
	s_mov_b32 s1, s14
	global_store_b128 v[6:7], v[2:5], off th:TH_STORE_NT
.LBB1_1717:                             ;   Parent Loop BB1_1 Depth=1
                                        ; =>  This Inner Loop Header: Depth=2
	s_wait_loadcnt 0x0
	global_load_b128 v[6:9], v[14:15], off th:TH_LOAD_NT
	v_add_nc_u32_e32 v1, 1, v1
	s_mov_b32 s0, -1
	s_mov_b32 s3, -1
	s_mov_b32 s12, exec_lo
	s_wait_xcnt 0x0
	v_cmpx_eq_u32_e32 0xf4240, v1
	s_cbranch_execz .LBB1_1719
; %bb.1718:                             ;   in Loop: Header=BB1_1717 Depth=2
	s_wait_loadcnt 0x0
	s_wait_storecnt 0x0
	global_load_b32 v1, v4, s[10:11] scope:SCOPE_SYS
	s_wait_loadcnt 0x0
	global_inv scope:SCOPE_SYS
	v_cmp_eq_u32_e32 vcc_lo, 0, v1
	v_mov_b32_e32 v1, 0
	s_or_not1_b32 s3, vcc_lo, exec_lo
.LBB1_1719:                             ;   in Loop: Header=BB1_1717 Depth=2
	s_wait_xcnt 0x0
	s_or_b32 exec_lo, exec_lo, s12
	s_and_saveexec_b32 s12, s3
	s_cbranch_execz .LBB1_1721
; %bb.1720:                             ;   in Loop: Header=BB1_1717 Depth=2
	s_wait_loadcnt 0x0
	v_cmp_eq_u32_e32 vcc_lo, s6, v7
	v_cmp_eq_u32_e64 s0, s6, v9
	s_and_b32 s0, vcc_lo, s0
	s_delay_alu instid0(SALU_CYCLE_1)
	s_or_not1_b32 s0, s0, exec_lo
.LBB1_1721:                             ;   in Loop: Header=BB1_1717 Depth=2
	s_or_b32 exec_lo, exec_lo, s12
	s_delay_alu instid0(SALU_CYCLE_1) | instskip(NEXT) | instid1(SALU_CYCLE_1)
	s_and_b32 s0, exec_lo, s0
	s_or_b32 s1, s0, s1
	s_delay_alu instid0(SALU_CYCLE_1)
	s_and_not1_b32 exec_lo, exec_lo, s1
	s_cbranch_execnz .LBB1_1717
; %bb.1722:                             ;   in Loop: Header=BB1_1717 Depth=2
	s_or_b32 exec_lo, exec_lo, s1
	s_wait_loadcnt 0x0
	v_dual_mov_b32 v7, v8 :: v_dual_mov_b32 v1, 0
	s_mov_b32 s1, 0
	s_delay_alu instid0(VALU_DEP_1) | instskip(SKIP_1) | instid1(SALU_CYCLE_1)
	v_cmp_eq_u64_e32 vcc_lo, s[6:7], v[6:7]
	s_or_b32 s14, vcc_lo, s14
	s_and_not1_b32 exec_lo, exec_lo, s14
	s_cbranch_execnz .LBB1_1717
; %bb.1723:                             ;   in Loop: Header=BB1_1 Depth=1
	s_or_b32 exec_lo, exec_lo, s14
	s_add_co_i32 s12, s2, 0xf6
	s_mov_b32 s14, 0
	s_mul_hi_u32 s0, s12, 0x10624dd3
	s_mov_b32 s15, s6
	s_lshr_b32 s3, s0, 6
	s_or_b64 s[0:1], s[14:15], s[6:7]
	s_mulk_i32 s3, 0x3e8
	v_dual_mov_b32 v2, s0 :: v_dual_mov_b32 v3, s1
	s_sub_co_i32 s3, s12, s3
	s_mov_b32 s1, s5
	s_lshl_b32 s0, s3, 12
	v_lshl_add_u64 v[6:7], s[4:5], 4, v[12:13]
	v_add_nc_u64_e32 v[14:15], s[0:1], v[10:11]
	v_dual_mov_b32 v5, s6 :: v_dual_mov_b32 v1, 0
	s_lshl_b32 s4, s3, 8
	s_mov_b32 s13, s5
	s_mov_b32 s1, s14
	global_store_b128 v[6:7], v[2:5], off th:TH_STORE_NT
.LBB1_1724:                             ;   Parent Loop BB1_1 Depth=1
                                        ; =>  This Inner Loop Header: Depth=2
	s_wait_loadcnt 0x0
	global_load_b128 v[6:9], v[14:15], off th:TH_LOAD_NT
	v_add_nc_u32_e32 v1, 1, v1
	s_mov_b32 s0, -1
	s_mov_b32 s3, -1
	s_mov_b32 s6, exec_lo
	s_wait_xcnt 0x0
	v_cmpx_eq_u32_e32 0xf4240, v1
	s_cbranch_execz .LBB1_1726
; %bb.1725:                             ;   in Loop: Header=BB1_1724 Depth=2
	s_wait_loadcnt 0x0
	s_wait_storecnt 0x0
	global_load_b32 v1, v4, s[10:11] scope:SCOPE_SYS
	s_wait_loadcnt 0x0
	global_inv scope:SCOPE_SYS
	v_cmp_eq_u32_e32 vcc_lo, 0, v1
	v_mov_b32_e32 v1, 0
	s_or_not1_b32 s3, vcc_lo, exec_lo
.LBB1_1726:                             ;   in Loop: Header=BB1_1724 Depth=2
	s_wait_xcnt 0x0
	s_or_b32 exec_lo, exec_lo, s6
	s_and_saveexec_b32 s6, s3
	s_cbranch_execz .LBB1_1728
; %bb.1727:                             ;   in Loop: Header=BB1_1724 Depth=2
	s_wait_loadcnt 0x0
	v_cmp_eq_u32_e32 vcc_lo, s12, v7
	v_cmp_eq_u32_e64 s0, s12, v9
	s_and_b32 s0, vcc_lo, s0
	s_delay_alu instid0(SALU_CYCLE_1)
	s_or_not1_b32 s0, s0, exec_lo
.LBB1_1728:                             ;   in Loop: Header=BB1_1724 Depth=2
	s_or_b32 exec_lo, exec_lo, s6
	s_delay_alu instid0(SALU_CYCLE_1) | instskip(NEXT) | instid1(SALU_CYCLE_1)
	s_and_b32 s0, exec_lo, s0
	s_or_b32 s1, s0, s1
	s_delay_alu instid0(SALU_CYCLE_1)
	s_and_not1_b32 exec_lo, exec_lo, s1
	s_cbranch_execnz .LBB1_1724
; %bb.1729:                             ;   in Loop: Header=BB1_1724 Depth=2
	s_or_b32 exec_lo, exec_lo, s1
	s_wait_loadcnt 0x0
	v_dual_mov_b32 v7, v8 :: v_dual_mov_b32 v1, 0
	s_mov_b32 s1, 0
	s_delay_alu instid0(VALU_DEP_1) | instskip(SKIP_1) | instid1(SALU_CYCLE_1)
	v_cmp_eq_u64_e32 vcc_lo, s[12:13], v[6:7]
	s_or_b32 s14, vcc_lo, s14
	s_and_not1_b32 exec_lo, exec_lo, s14
	s_cbranch_execnz .LBB1_1724
; %bb.1730:                             ;   in Loop: Header=BB1_1 Depth=1
	s_or_b32 exec_lo, exec_lo, s14
	s_add_co_i32 s6, s2, 0xf7
	s_mov_b32 s14, 0
	s_mul_hi_u32 s0, s6, 0x10624dd3
	s_mov_b32 s15, s12
	s_lshr_b32 s3, s0, 6
	s_or_b64 s[0:1], s[14:15], s[12:13]
	s_mulk_i32 s3, 0x3e8
	v_dual_mov_b32 v2, s0 :: v_dual_mov_b32 v3, s1
	s_sub_co_i32 s3, s6, s3
	s_mov_b32 s1, s5
	s_lshl_b32 s0, s3, 12
	v_lshl_add_u64 v[6:7], s[4:5], 4, v[12:13]
	v_add_nc_u64_e32 v[14:15], s[0:1], v[10:11]
	v_dual_mov_b32 v5, s12 :: v_dual_mov_b32 v1, 0
	s_lshl_b32 s4, s3, 8
	s_mov_b32 s7, s5
	s_mov_b32 s1, s14
	global_store_b128 v[6:7], v[2:5], off th:TH_STORE_NT
.LBB1_1731:                             ;   Parent Loop BB1_1 Depth=1
                                        ; =>  This Inner Loop Header: Depth=2
	s_wait_loadcnt 0x0
	global_load_b128 v[6:9], v[14:15], off th:TH_LOAD_NT
	v_add_nc_u32_e32 v1, 1, v1
	s_mov_b32 s0, -1
	s_mov_b32 s3, -1
	s_mov_b32 s12, exec_lo
	s_wait_xcnt 0x0
	v_cmpx_eq_u32_e32 0xf4240, v1
	s_cbranch_execz .LBB1_1733
; %bb.1732:                             ;   in Loop: Header=BB1_1731 Depth=2
	s_wait_loadcnt 0x0
	s_wait_storecnt 0x0
	global_load_b32 v1, v4, s[10:11] scope:SCOPE_SYS
	s_wait_loadcnt 0x0
	global_inv scope:SCOPE_SYS
	v_cmp_eq_u32_e32 vcc_lo, 0, v1
	v_mov_b32_e32 v1, 0
	s_or_not1_b32 s3, vcc_lo, exec_lo
.LBB1_1733:                             ;   in Loop: Header=BB1_1731 Depth=2
	s_wait_xcnt 0x0
	s_or_b32 exec_lo, exec_lo, s12
	s_and_saveexec_b32 s12, s3
	s_cbranch_execz .LBB1_1735
; %bb.1734:                             ;   in Loop: Header=BB1_1731 Depth=2
	s_wait_loadcnt 0x0
	v_cmp_eq_u32_e32 vcc_lo, s6, v7
	v_cmp_eq_u32_e64 s0, s6, v9
	s_and_b32 s0, vcc_lo, s0
	s_delay_alu instid0(SALU_CYCLE_1)
	s_or_not1_b32 s0, s0, exec_lo
.LBB1_1735:                             ;   in Loop: Header=BB1_1731 Depth=2
	s_or_b32 exec_lo, exec_lo, s12
	s_delay_alu instid0(SALU_CYCLE_1) | instskip(NEXT) | instid1(SALU_CYCLE_1)
	s_and_b32 s0, exec_lo, s0
	s_or_b32 s1, s0, s1
	s_delay_alu instid0(SALU_CYCLE_1)
	s_and_not1_b32 exec_lo, exec_lo, s1
	s_cbranch_execnz .LBB1_1731
; %bb.1736:                             ;   in Loop: Header=BB1_1731 Depth=2
	s_or_b32 exec_lo, exec_lo, s1
	s_wait_loadcnt 0x0
	v_dual_mov_b32 v7, v8 :: v_dual_mov_b32 v1, 0
	s_mov_b32 s1, 0
	s_delay_alu instid0(VALU_DEP_1) | instskip(SKIP_1) | instid1(SALU_CYCLE_1)
	v_cmp_eq_u64_e32 vcc_lo, s[6:7], v[6:7]
	s_or_b32 s14, vcc_lo, s14
	s_and_not1_b32 exec_lo, exec_lo, s14
	s_cbranch_execnz .LBB1_1731
; %bb.1737:                             ;   in Loop: Header=BB1_1 Depth=1
	s_or_b32 exec_lo, exec_lo, s14
	s_add_co_i32 s12, s2, 0xf8
	s_mov_b32 s14, 0
	s_mul_hi_u32 s0, s12, 0x10624dd3
	s_mov_b32 s15, s6
	s_lshr_b32 s3, s0, 6
	s_or_b64 s[0:1], s[14:15], s[6:7]
	s_mulk_i32 s3, 0x3e8
	v_dual_mov_b32 v2, s0 :: v_dual_mov_b32 v3, s1
	s_sub_co_i32 s3, s12, s3
	s_mov_b32 s1, s5
	s_lshl_b32 s0, s3, 12
	v_lshl_add_u64 v[6:7], s[4:5], 4, v[12:13]
	v_add_nc_u64_e32 v[14:15], s[0:1], v[10:11]
	v_dual_mov_b32 v5, s6 :: v_dual_mov_b32 v1, 0
	s_lshl_b32 s4, s3, 8
	s_mov_b32 s13, s5
	s_mov_b32 s1, s14
	global_store_b128 v[6:7], v[2:5], off th:TH_STORE_NT
.LBB1_1738:                             ;   Parent Loop BB1_1 Depth=1
                                        ; =>  This Inner Loop Header: Depth=2
	s_wait_loadcnt 0x0
	global_load_b128 v[6:9], v[14:15], off th:TH_LOAD_NT
	v_add_nc_u32_e32 v1, 1, v1
	s_mov_b32 s0, -1
	s_mov_b32 s3, -1
	s_mov_b32 s6, exec_lo
	s_wait_xcnt 0x0
	v_cmpx_eq_u32_e32 0xf4240, v1
	s_cbranch_execz .LBB1_1740
; %bb.1739:                             ;   in Loop: Header=BB1_1738 Depth=2
	s_wait_loadcnt 0x0
	s_wait_storecnt 0x0
	global_load_b32 v1, v4, s[10:11] scope:SCOPE_SYS
	s_wait_loadcnt 0x0
	global_inv scope:SCOPE_SYS
	v_cmp_eq_u32_e32 vcc_lo, 0, v1
	v_mov_b32_e32 v1, 0
	s_or_not1_b32 s3, vcc_lo, exec_lo
.LBB1_1740:                             ;   in Loop: Header=BB1_1738 Depth=2
	s_wait_xcnt 0x0
	s_or_b32 exec_lo, exec_lo, s6
	s_and_saveexec_b32 s6, s3
	s_cbranch_execz .LBB1_1742
; %bb.1741:                             ;   in Loop: Header=BB1_1738 Depth=2
	s_wait_loadcnt 0x0
	v_cmp_eq_u32_e32 vcc_lo, s12, v7
	v_cmp_eq_u32_e64 s0, s12, v9
	s_and_b32 s0, vcc_lo, s0
	s_delay_alu instid0(SALU_CYCLE_1)
	s_or_not1_b32 s0, s0, exec_lo
.LBB1_1742:                             ;   in Loop: Header=BB1_1738 Depth=2
	s_or_b32 exec_lo, exec_lo, s6
	s_delay_alu instid0(SALU_CYCLE_1) | instskip(NEXT) | instid1(SALU_CYCLE_1)
	s_and_b32 s0, exec_lo, s0
	s_or_b32 s1, s0, s1
	s_delay_alu instid0(SALU_CYCLE_1)
	s_and_not1_b32 exec_lo, exec_lo, s1
	s_cbranch_execnz .LBB1_1738
; %bb.1743:                             ;   in Loop: Header=BB1_1738 Depth=2
	s_or_b32 exec_lo, exec_lo, s1
	s_wait_loadcnt 0x0
	v_dual_mov_b32 v7, v8 :: v_dual_mov_b32 v1, 0
	s_mov_b32 s1, 0
	s_delay_alu instid0(VALU_DEP_1) | instskip(SKIP_1) | instid1(SALU_CYCLE_1)
	v_cmp_eq_u64_e32 vcc_lo, s[12:13], v[6:7]
	s_or_b32 s14, vcc_lo, s14
	s_and_not1_b32 exec_lo, exec_lo, s14
	s_cbranch_execnz .LBB1_1738
; %bb.1744:                             ;   in Loop: Header=BB1_1 Depth=1
	s_or_b32 exec_lo, exec_lo, s14
	s_add_co_i32 s6, s2, 0xf9
	s_mov_b32 s14, 0
	s_mul_hi_u32 s0, s6, 0x10624dd3
	s_mov_b32 s15, s12
	s_lshr_b32 s3, s0, 6
	s_or_b64 s[0:1], s[14:15], s[12:13]
	s_mulk_i32 s3, 0x3e8
	v_dual_mov_b32 v2, s0 :: v_dual_mov_b32 v3, s1
	s_sub_co_i32 s3, s6, s3
	s_mov_b32 s1, s5
	s_lshl_b32 s0, s3, 12
	v_lshl_add_u64 v[6:7], s[4:5], 4, v[12:13]
	v_add_nc_u64_e32 v[14:15], s[0:1], v[10:11]
	v_dual_mov_b32 v5, s12 :: v_dual_mov_b32 v1, 0
	s_lshl_b32 s4, s3, 8
	s_mov_b32 s7, s5
	s_mov_b32 s1, s14
	global_store_b128 v[6:7], v[2:5], off th:TH_STORE_NT
.LBB1_1745:                             ;   Parent Loop BB1_1 Depth=1
                                        ; =>  This Inner Loop Header: Depth=2
	s_wait_loadcnt 0x0
	global_load_b128 v[6:9], v[14:15], off th:TH_LOAD_NT
	v_add_nc_u32_e32 v1, 1, v1
	s_mov_b32 s0, -1
	s_mov_b32 s3, -1
	s_mov_b32 s12, exec_lo
	s_wait_xcnt 0x0
	v_cmpx_eq_u32_e32 0xf4240, v1
	s_cbranch_execz .LBB1_1747
; %bb.1746:                             ;   in Loop: Header=BB1_1745 Depth=2
	s_wait_loadcnt 0x0
	s_wait_storecnt 0x0
	global_load_b32 v1, v4, s[10:11] scope:SCOPE_SYS
	s_wait_loadcnt 0x0
	global_inv scope:SCOPE_SYS
	v_cmp_eq_u32_e32 vcc_lo, 0, v1
	v_mov_b32_e32 v1, 0
	s_or_not1_b32 s3, vcc_lo, exec_lo
.LBB1_1747:                             ;   in Loop: Header=BB1_1745 Depth=2
	s_wait_xcnt 0x0
	s_or_b32 exec_lo, exec_lo, s12
	s_and_saveexec_b32 s12, s3
	s_cbranch_execz .LBB1_1749
; %bb.1748:                             ;   in Loop: Header=BB1_1745 Depth=2
	s_wait_loadcnt 0x0
	v_cmp_eq_u32_e32 vcc_lo, s6, v7
	v_cmp_eq_u32_e64 s0, s6, v9
	s_and_b32 s0, vcc_lo, s0
	s_delay_alu instid0(SALU_CYCLE_1)
	s_or_not1_b32 s0, s0, exec_lo
.LBB1_1749:                             ;   in Loop: Header=BB1_1745 Depth=2
	s_or_b32 exec_lo, exec_lo, s12
	s_delay_alu instid0(SALU_CYCLE_1) | instskip(NEXT) | instid1(SALU_CYCLE_1)
	s_and_b32 s0, exec_lo, s0
	s_or_b32 s1, s0, s1
	s_delay_alu instid0(SALU_CYCLE_1)
	s_and_not1_b32 exec_lo, exec_lo, s1
	s_cbranch_execnz .LBB1_1745
; %bb.1750:                             ;   in Loop: Header=BB1_1745 Depth=2
	s_or_b32 exec_lo, exec_lo, s1
	s_wait_loadcnt 0x0
	v_dual_mov_b32 v7, v8 :: v_dual_mov_b32 v1, 0
	s_mov_b32 s1, 0
	s_delay_alu instid0(VALU_DEP_1) | instskip(SKIP_1) | instid1(SALU_CYCLE_1)
	v_cmp_eq_u64_e32 vcc_lo, s[6:7], v[6:7]
	s_or_b32 s14, vcc_lo, s14
	s_and_not1_b32 exec_lo, exec_lo, s14
	s_cbranch_execnz .LBB1_1745
; %bb.1751:                             ;   in Loop: Header=BB1_1 Depth=1
	s_or_b32 exec_lo, exec_lo, s14
	s_mov_b32 s0, s5
	s_mov_b32 s1, s6
	v_lshl_add_u64 v[6:7], s[4:5], 4, v[12:13]
	s_or_b64 s[0:1], s[0:1], s[6:7]
	s_delay_alu instid0(SALU_CYCLE_1) | instskip(SKIP_2) | instid1(SALU_CYCLE_1)
	v_dual_mov_b32 v5, s6 :: v_dual_mov_b32 v2, s0
	v_mov_b32_e32 v3, s1
	s_addk_co_i32 s2, 0xfa
	s_cmp_eq_u32 s2, 0x7d1
	global_store_b128 v[6:7], v[2:5], off th:TH_STORE_NT
	s_cbranch_scc0 .LBB1_1
; %bb.1752:
	v_cmp_eq_u32_e32 vcc_lo, 0, v0
	s_mov_b32 s5, 0
                                        ; implicit-def: $sgpr2_sgpr3
	s_wait_xcnt 0x0
	s_and_saveexec_b32 s0, vcc_lo
; %bb.1753:
	s_sendmsg_rtn_b64 s[2:3], sendmsg(MSG_RTN_GET_REALTIME)
; %bb.1754:
	s_or_b32 exec_lo, exec_lo, s0
	v_mov_b32_e32 v2, 0
	s_movk_i32 s6, 0x7d1
.LBB1_1755:                             ; =>This Loop Header: Depth=1
                                        ;     Child Loop BB1_1756 Depth 2
                                        ;     Child Loop BB1_1763 Depth 2
	;; [unrolled: 1-line block ×250, first 2 shown]
	s_delay_alu instid0(SALU_CYCLE_1)
	s_mul_hi_u32 s0, s6, 0x10624dd3
	s_mov_b32 s1, s5
	s_lshr_b32 s0, s0, 6
	s_wait_xcnt 0x0
	v_mov_b32_e32 v3, 0
	s_mulk_i32 s0, 0x3e8
	s_mov_b32 s7, s5
	s_sub_co_i32 s4, s6, s0
	s_mov_b32 s12, 0
	s_lshl_b32 s0, s4, 12
	s_lshl_b32 s4, s4, 8
	v_add_nc_u64_e32 v[0:1], s[0:1], v[10:11]
	s_mov_b32 s13, 0
.LBB1_1756:                             ;   Parent Loop BB1_1755 Depth=1
                                        ; =>  This Inner Loop Header: Depth=2
	s_wait_loadcnt 0x0
	global_load_b128 v[4:7], v[0:1], off th:TH_LOAD_NT
	v_add_nc_u32_e32 v3, 1, v3
	s_mov_b32 s1, -1
	s_mov_b32 s14, -1
	s_mov_b32 s15, exec_lo
	s_wait_xcnt 0x0
	v_cmpx_eq_u32_e32 0xf4240, v3
	s_cbranch_execz .LBB1_1758
; %bb.1757:                             ;   in Loop: Header=BB1_1756 Depth=2
	s_wait_loadcnt 0x0
	s_wait_storecnt 0x0
	global_load_b32 v3, v2, s[10:11] scope:SCOPE_SYS
	s_wait_loadcnt 0x0
	global_inv scope:SCOPE_SYS
	v_cmp_eq_u32_e64 s0, 0, v3
	v_mov_b32_e32 v3, 0
	s_or_not1_b32 s14, s0, exec_lo
.LBB1_1758:                             ;   in Loop: Header=BB1_1756 Depth=2
	s_wait_xcnt 0x0
	s_or_b32 exec_lo, exec_lo, s15
	s_and_saveexec_b32 s15, s14
	s_cbranch_execz .LBB1_1760
; %bb.1759:                             ;   in Loop: Header=BB1_1756 Depth=2
	s_wait_loadcnt 0x0
	v_cmp_eq_u32_e64 s0, s6, v5
	v_cmp_eq_u32_e64 s1, s6, v7
	s_and_b32 s0, s0, s1
	s_delay_alu instid0(SALU_CYCLE_1)
	s_or_not1_b32 s1, s0, exec_lo
.LBB1_1760:                             ;   in Loop: Header=BB1_1756 Depth=2
	s_or_b32 exec_lo, exec_lo, s15
	s_delay_alu instid0(SALU_CYCLE_1) | instskip(NEXT) | instid1(SALU_CYCLE_1)
	s_and_b32 s0, exec_lo, s1
	s_or_b32 s13, s0, s13
	s_delay_alu instid0(SALU_CYCLE_1)
	s_and_not1_b32 exec_lo, exec_lo, s13
	s_cbranch_execnz .LBB1_1756
; %bb.1761:                             ;   in Loop: Header=BB1_1756 Depth=2
	s_or_b32 exec_lo, exec_lo, s13
	s_wait_loadcnt 0x0
	v_dual_mov_b32 v5, v6 :: v_dual_mov_b32 v3, 0
	s_mov_b32 s13, 0
	s_delay_alu instid0(VALU_DEP_1) | instskip(SKIP_1) | instid1(SALU_CYCLE_1)
	v_cmp_eq_u64_e64 s0, s[6:7], v[4:5]
	s_or_b32 s12, s0, s12
	s_and_not1_b32 exec_lo, exec_lo, s12
	s_cbranch_execnz .LBB1_1756
; %bb.1762:                             ;   in Loop: Header=BB1_1755 Depth=1
	s_or_b32 exec_lo, exec_lo, s12
	s_add_co_i32 s12, s6, 1
	v_lshl_add_u64 v[4:5], s[4:5], 4, v[12:13]
	s_mul_hi_u32 s0, s12, 0x10624dd3
	s_mov_b32 s14, 0
	s_lshr_b32 s0, s0, 6
	s_mov_b32 s15, s6
	s_mul_i32 s4, s0, 0x3e8
	s_mov_b32 s17, s5
	s_sub_co_i32 s4, s12, s4
	s_or_b64 s[0:1], s[14:15], s[6:7]
	s_lshl_b32 s16, s4, 12
	v_dual_mov_b32 v0, s0 :: v_dual_mov_b32 v1, s1
	v_add_nc_u64_e32 v[8:9], s[16:17], v[10:11]
	v_dual_mov_b32 v3, s6 :: v_dual_mov_b32 v14, 0
	s_lshl_b32 s4, s4, 8
	s_mov_b32 s13, s5
	s_mov_b32 s7, s14
	global_store_b128 v[4:5], v[0:3], off th:TH_STORE_NT
.LBB1_1763:                             ;   Parent Loop BB1_1755 Depth=1
                                        ; =>  This Inner Loop Header: Depth=2
	s_wait_loadcnt 0x0
	global_load_b128 v[4:7], v[8:9], off th:TH_LOAD_NT
	v_add_nc_u32_e32 v14, 1, v14
	s_mov_b32 s1, -1
	s_mov_b32 s15, -1
	s_mov_b32 s16, exec_lo
	s_wait_xcnt 0x0
	v_cmpx_eq_u32_e32 0xf4240, v14
	s_cbranch_execz .LBB1_1765
; %bb.1764:                             ;   in Loop: Header=BB1_1763 Depth=2
	s_wait_loadcnt 0x0
	s_wait_storecnt 0x0
	global_load_b32 v0, v2, s[10:11] scope:SCOPE_SYS
	s_wait_loadcnt 0x0
	global_inv scope:SCOPE_SYS
	v_mov_b32_e32 v14, 0
	v_cmp_eq_u32_e64 s0, 0, v0
	s_or_not1_b32 s15, s0, exec_lo
.LBB1_1765:                             ;   in Loop: Header=BB1_1763 Depth=2
	s_wait_xcnt 0x0
	s_or_b32 exec_lo, exec_lo, s16
	s_and_saveexec_b32 s16, s15
	s_cbranch_execz .LBB1_1767
; %bb.1766:                             ;   in Loop: Header=BB1_1763 Depth=2
	s_wait_loadcnt 0x0
	v_cmp_eq_u32_e64 s0, s12, v5
	v_cmp_eq_u32_e64 s1, s12, v7
	s_and_b32 s0, s0, s1
	s_delay_alu instid0(SALU_CYCLE_1)
	s_or_not1_b32 s1, s0, exec_lo
.LBB1_1767:                             ;   in Loop: Header=BB1_1763 Depth=2
	s_or_b32 exec_lo, exec_lo, s16
	s_delay_alu instid0(SALU_CYCLE_1) | instskip(NEXT) | instid1(SALU_CYCLE_1)
	s_and_b32 s0, exec_lo, s1
	s_or_b32 s7, s0, s7
	s_delay_alu instid0(SALU_CYCLE_1)
	s_and_not1_b32 exec_lo, exec_lo, s7
	s_cbranch_execnz .LBB1_1763
; %bb.1768:                             ;   in Loop: Header=BB1_1763 Depth=2
	s_or_b32 exec_lo, exec_lo, s7
	s_wait_loadcnt 0x0
	v_dual_mov_b32 v5, v6 :: v_dual_mov_b32 v14, 0
	s_mov_b32 s7, 0
	s_delay_alu instid0(VALU_DEP_1) | instskip(SKIP_1) | instid1(SALU_CYCLE_1)
	v_cmp_eq_u64_e64 s0, s[12:13], v[4:5]
	s_or_b32 s14, s0, s14
	s_and_not1_b32 exec_lo, exec_lo, s14
	s_cbranch_execnz .LBB1_1763
; %bb.1769:                             ;   in Loop: Header=BB1_1755 Depth=1
	s_or_b32 exec_lo, exec_lo, s14
	s_add_co_i32 s14, s6, 2
	v_lshl_add_u64 v[4:5], s[4:5], 4, v[12:13]
	s_mul_hi_u32 s0, s14, 0x10624dd3
	s_mov_b32 s16, 0
	s_lshr_b32 s0, s0, 6
	s_mov_b32 s17, s12
	s_mul_i32 s4, s0, 0x3e8
	s_mov_b32 s19, s5
	s_sub_co_i32 s4, s14, s4
	s_or_b64 s[0:1], s[16:17], s[12:13]
	s_lshl_b32 s18, s4, 12
	v_dual_mov_b32 v0, s0 :: v_dual_mov_b32 v1, s1
	v_add_nc_u64_e32 v[8:9], s[18:19], v[10:11]
	v_dual_mov_b32 v3, s12 :: v_dual_mov_b32 v14, 0
	s_lshl_b32 s4, s4, 8
	s_mov_b32 s15, s5
	s_mov_b32 s7, s16
	global_store_b128 v[4:5], v[0:3], off th:TH_STORE_NT
.LBB1_1770:                             ;   Parent Loop BB1_1755 Depth=1
                                        ; =>  This Inner Loop Header: Depth=2
	s_wait_loadcnt 0x0
	global_load_b128 v[4:7], v[8:9], off th:TH_LOAD_NT
	v_add_nc_u32_e32 v14, 1, v14
	s_mov_b32 s1, -1
	s_mov_b32 s12, -1
	s_mov_b32 s13, exec_lo
	s_wait_xcnt 0x0
	v_cmpx_eq_u32_e32 0xf4240, v14
	s_cbranch_execz .LBB1_1772
; %bb.1771:                             ;   in Loop: Header=BB1_1770 Depth=2
	s_wait_loadcnt 0x0
	s_wait_storecnt 0x0
	global_load_b32 v0, v2, s[10:11] scope:SCOPE_SYS
	s_wait_loadcnt 0x0
	global_inv scope:SCOPE_SYS
	v_mov_b32_e32 v14, 0
	v_cmp_eq_u32_e64 s0, 0, v0
	s_or_not1_b32 s12, s0, exec_lo
.LBB1_1772:                             ;   in Loop: Header=BB1_1770 Depth=2
	s_wait_xcnt 0x0
	s_or_b32 exec_lo, exec_lo, s13
	s_and_saveexec_b32 s13, s12
	s_cbranch_execz .LBB1_1774
; %bb.1773:                             ;   in Loop: Header=BB1_1770 Depth=2
	s_wait_loadcnt 0x0
	v_cmp_eq_u32_e64 s0, s14, v5
	v_cmp_eq_u32_e64 s1, s14, v7
	s_and_b32 s0, s0, s1
	s_delay_alu instid0(SALU_CYCLE_1)
	s_or_not1_b32 s1, s0, exec_lo
.LBB1_1774:                             ;   in Loop: Header=BB1_1770 Depth=2
	s_or_b32 exec_lo, exec_lo, s13
	s_delay_alu instid0(SALU_CYCLE_1) | instskip(NEXT) | instid1(SALU_CYCLE_1)
	s_and_b32 s0, exec_lo, s1
	s_or_b32 s7, s0, s7
	s_delay_alu instid0(SALU_CYCLE_1)
	s_and_not1_b32 exec_lo, exec_lo, s7
	s_cbranch_execnz .LBB1_1770
; %bb.1775:                             ;   in Loop: Header=BB1_1770 Depth=2
	s_or_b32 exec_lo, exec_lo, s7
	s_wait_loadcnt 0x0
	v_dual_mov_b32 v5, v6 :: v_dual_mov_b32 v14, 0
	s_mov_b32 s7, 0
	s_delay_alu instid0(VALU_DEP_1) | instskip(SKIP_1) | instid1(SALU_CYCLE_1)
	v_cmp_eq_u64_e64 s0, s[14:15], v[4:5]
	s_or_b32 s16, s0, s16
	s_and_not1_b32 exec_lo, exec_lo, s16
	s_cbranch_execnz .LBB1_1770
; %bb.1776:                             ;   in Loop: Header=BB1_1755 Depth=1
	s_or_b32 exec_lo, exec_lo, s16
	s_add_co_i32 s12, s6, 3
	v_lshl_add_u64 v[4:5], s[4:5], 4, v[12:13]
	s_mul_hi_u32 s0, s12, 0x10624dd3
	s_mov_b32 s16, 0
	s_lshr_b32 s0, s0, 6
	s_mov_b32 s17, s14
	s_mul_i32 s4, s0, 0x3e8
	s_mov_b32 s19, s5
	s_sub_co_i32 s4, s12, s4
	s_or_b64 s[0:1], s[16:17], s[14:15]
	s_lshl_b32 s18, s4, 12
	v_dual_mov_b32 v0, s0 :: v_dual_mov_b32 v1, s1
	v_add_nc_u64_e32 v[8:9], s[18:19], v[10:11]
	v_dual_mov_b32 v3, s14 :: v_dual_mov_b32 v14, 0
	s_lshl_b32 s4, s4, 8
	s_mov_b32 s13, s5
	s_mov_b32 s7, s16
	global_store_b128 v[4:5], v[0:3], off th:TH_STORE_NT
.LBB1_1777:                             ;   Parent Loop BB1_1755 Depth=1
                                        ; =>  This Inner Loop Header: Depth=2
	s_wait_loadcnt 0x0
	global_load_b128 v[4:7], v[8:9], off th:TH_LOAD_NT
	v_add_nc_u32_e32 v14, 1, v14
	s_mov_b32 s1, -1
	s_mov_b32 s14, -1
	s_mov_b32 s15, exec_lo
	s_wait_xcnt 0x0
	v_cmpx_eq_u32_e32 0xf4240, v14
	s_cbranch_execz .LBB1_1779
; %bb.1778:                             ;   in Loop: Header=BB1_1777 Depth=2
	s_wait_loadcnt 0x0
	s_wait_storecnt 0x0
	global_load_b32 v0, v2, s[10:11] scope:SCOPE_SYS
	s_wait_loadcnt 0x0
	global_inv scope:SCOPE_SYS
	v_mov_b32_e32 v14, 0
	v_cmp_eq_u32_e64 s0, 0, v0
	s_or_not1_b32 s14, s0, exec_lo
.LBB1_1779:                             ;   in Loop: Header=BB1_1777 Depth=2
	s_wait_xcnt 0x0
	s_or_b32 exec_lo, exec_lo, s15
	s_and_saveexec_b32 s15, s14
	s_cbranch_execz .LBB1_1781
; %bb.1780:                             ;   in Loop: Header=BB1_1777 Depth=2
	s_wait_loadcnt 0x0
	v_cmp_eq_u32_e64 s0, s12, v5
	v_cmp_eq_u32_e64 s1, s12, v7
	s_and_b32 s0, s0, s1
	s_delay_alu instid0(SALU_CYCLE_1)
	s_or_not1_b32 s1, s0, exec_lo
.LBB1_1781:                             ;   in Loop: Header=BB1_1777 Depth=2
	s_or_b32 exec_lo, exec_lo, s15
	s_delay_alu instid0(SALU_CYCLE_1) | instskip(NEXT) | instid1(SALU_CYCLE_1)
	s_and_b32 s0, exec_lo, s1
	s_or_b32 s7, s0, s7
	s_delay_alu instid0(SALU_CYCLE_1)
	s_and_not1_b32 exec_lo, exec_lo, s7
	s_cbranch_execnz .LBB1_1777
; %bb.1782:                             ;   in Loop: Header=BB1_1777 Depth=2
	s_or_b32 exec_lo, exec_lo, s7
	s_wait_loadcnt 0x0
	v_dual_mov_b32 v5, v6 :: v_dual_mov_b32 v14, 0
	s_mov_b32 s7, 0
	s_delay_alu instid0(VALU_DEP_1) | instskip(SKIP_1) | instid1(SALU_CYCLE_1)
	v_cmp_eq_u64_e64 s0, s[12:13], v[4:5]
	s_or_b32 s16, s0, s16
	s_and_not1_b32 exec_lo, exec_lo, s16
	s_cbranch_execnz .LBB1_1777
; %bb.1783:                             ;   in Loop: Header=BB1_1755 Depth=1
	s_or_b32 exec_lo, exec_lo, s16
	s_add_co_i32 s14, s6, 4
	v_lshl_add_u64 v[4:5], s[4:5], 4, v[12:13]
	s_mul_hi_u32 s0, s14, 0x10624dd3
	s_mov_b32 s16, 0
	s_lshr_b32 s0, s0, 6
	s_mov_b32 s17, s12
	s_mul_i32 s4, s0, 0x3e8
	s_mov_b32 s19, s5
	s_sub_co_i32 s4, s14, s4
	s_or_b64 s[0:1], s[16:17], s[12:13]
	s_lshl_b32 s18, s4, 12
	v_dual_mov_b32 v0, s0 :: v_dual_mov_b32 v1, s1
	v_add_nc_u64_e32 v[8:9], s[18:19], v[10:11]
	v_dual_mov_b32 v3, s12 :: v_dual_mov_b32 v14, 0
	s_lshl_b32 s4, s4, 8
	s_mov_b32 s15, s5
	s_mov_b32 s7, s16
	global_store_b128 v[4:5], v[0:3], off th:TH_STORE_NT
.LBB1_1784:                             ;   Parent Loop BB1_1755 Depth=1
                                        ; =>  This Inner Loop Header: Depth=2
	s_wait_loadcnt 0x0
	global_load_b128 v[4:7], v[8:9], off th:TH_LOAD_NT
	v_add_nc_u32_e32 v14, 1, v14
	s_mov_b32 s1, -1
	s_mov_b32 s12, -1
	s_mov_b32 s13, exec_lo
	s_wait_xcnt 0x0
	v_cmpx_eq_u32_e32 0xf4240, v14
	s_cbranch_execz .LBB1_1786
; %bb.1785:                             ;   in Loop: Header=BB1_1784 Depth=2
	s_wait_loadcnt 0x0
	s_wait_storecnt 0x0
	global_load_b32 v0, v2, s[10:11] scope:SCOPE_SYS
	s_wait_loadcnt 0x0
	global_inv scope:SCOPE_SYS
	v_mov_b32_e32 v14, 0
	v_cmp_eq_u32_e64 s0, 0, v0
	s_or_not1_b32 s12, s0, exec_lo
.LBB1_1786:                             ;   in Loop: Header=BB1_1784 Depth=2
	s_wait_xcnt 0x0
	s_or_b32 exec_lo, exec_lo, s13
	s_and_saveexec_b32 s13, s12
	s_cbranch_execz .LBB1_1788
; %bb.1787:                             ;   in Loop: Header=BB1_1784 Depth=2
	s_wait_loadcnt 0x0
	v_cmp_eq_u32_e64 s0, s14, v5
	v_cmp_eq_u32_e64 s1, s14, v7
	s_and_b32 s0, s0, s1
	s_delay_alu instid0(SALU_CYCLE_1)
	s_or_not1_b32 s1, s0, exec_lo
.LBB1_1788:                             ;   in Loop: Header=BB1_1784 Depth=2
	s_or_b32 exec_lo, exec_lo, s13
	s_delay_alu instid0(SALU_CYCLE_1) | instskip(NEXT) | instid1(SALU_CYCLE_1)
	s_and_b32 s0, exec_lo, s1
	s_or_b32 s7, s0, s7
	s_delay_alu instid0(SALU_CYCLE_1)
	s_and_not1_b32 exec_lo, exec_lo, s7
	s_cbranch_execnz .LBB1_1784
; %bb.1789:                             ;   in Loop: Header=BB1_1784 Depth=2
	s_or_b32 exec_lo, exec_lo, s7
	s_wait_loadcnt 0x0
	v_dual_mov_b32 v5, v6 :: v_dual_mov_b32 v14, 0
	s_mov_b32 s7, 0
	s_delay_alu instid0(VALU_DEP_1) | instskip(SKIP_1) | instid1(SALU_CYCLE_1)
	v_cmp_eq_u64_e64 s0, s[14:15], v[4:5]
	s_or_b32 s16, s0, s16
	s_and_not1_b32 exec_lo, exec_lo, s16
	s_cbranch_execnz .LBB1_1784
; %bb.1790:                             ;   in Loop: Header=BB1_1755 Depth=1
	s_or_b32 exec_lo, exec_lo, s16
	s_add_co_i32 s12, s6, 5
	v_lshl_add_u64 v[4:5], s[4:5], 4, v[12:13]
	s_mul_hi_u32 s0, s12, 0x10624dd3
	s_mov_b32 s16, 0
	s_lshr_b32 s0, s0, 6
	s_mov_b32 s17, s14
	s_mul_i32 s4, s0, 0x3e8
	s_mov_b32 s19, s5
	s_sub_co_i32 s4, s12, s4
	s_or_b64 s[0:1], s[16:17], s[14:15]
	s_lshl_b32 s18, s4, 12
	v_dual_mov_b32 v0, s0 :: v_dual_mov_b32 v1, s1
	v_add_nc_u64_e32 v[8:9], s[18:19], v[10:11]
	v_dual_mov_b32 v3, s14 :: v_dual_mov_b32 v14, 0
	s_lshl_b32 s4, s4, 8
	s_mov_b32 s13, s5
	s_mov_b32 s7, s16
	global_store_b128 v[4:5], v[0:3], off th:TH_STORE_NT
.LBB1_1791:                             ;   Parent Loop BB1_1755 Depth=1
                                        ; =>  This Inner Loop Header: Depth=2
	s_wait_loadcnt 0x0
	global_load_b128 v[4:7], v[8:9], off th:TH_LOAD_NT
	v_add_nc_u32_e32 v14, 1, v14
	s_mov_b32 s1, -1
	s_mov_b32 s14, -1
	s_mov_b32 s15, exec_lo
	s_wait_xcnt 0x0
	v_cmpx_eq_u32_e32 0xf4240, v14
	s_cbranch_execz .LBB1_1793
; %bb.1792:                             ;   in Loop: Header=BB1_1791 Depth=2
	s_wait_loadcnt 0x0
	s_wait_storecnt 0x0
	global_load_b32 v0, v2, s[10:11] scope:SCOPE_SYS
	s_wait_loadcnt 0x0
	global_inv scope:SCOPE_SYS
	v_mov_b32_e32 v14, 0
	v_cmp_eq_u32_e64 s0, 0, v0
	s_or_not1_b32 s14, s0, exec_lo
.LBB1_1793:                             ;   in Loop: Header=BB1_1791 Depth=2
	s_wait_xcnt 0x0
	s_or_b32 exec_lo, exec_lo, s15
	s_and_saveexec_b32 s15, s14
	s_cbranch_execz .LBB1_1795
; %bb.1794:                             ;   in Loop: Header=BB1_1791 Depth=2
	s_wait_loadcnt 0x0
	v_cmp_eq_u32_e64 s0, s12, v5
	v_cmp_eq_u32_e64 s1, s12, v7
	s_and_b32 s0, s0, s1
	s_delay_alu instid0(SALU_CYCLE_1)
	s_or_not1_b32 s1, s0, exec_lo
.LBB1_1795:                             ;   in Loop: Header=BB1_1791 Depth=2
	s_or_b32 exec_lo, exec_lo, s15
	s_delay_alu instid0(SALU_CYCLE_1) | instskip(NEXT) | instid1(SALU_CYCLE_1)
	s_and_b32 s0, exec_lo, s1
	s_or_b32 s7, s0, s7
	s_delay_alu instid0(SALU_CYCLE_1)
	s_and_not1_b32 exec_lo, exec_lo, s7
	s_cbranch_execnz .LBB1_1791
; %bb.1796:                             ;   in Loop: Header=BB1_1791 Depth=2
	s_or_b32 exec_lo, exec_lo, s7
	s_wait_loadcnt 0x0
	v_dual_mov_b32 v5, v6 :: v_dual_mov_b32 v14, 0
	s_mov_b32 s7, 0
	s_delay_alu instid0(VALU_DEP_1) | instskip(SKIP_1) | instid1(SALU_CYCLE_1)
	v_cmp_eq_u64_e64 s0, s[12:13], v[4:5]
	s_or_b32 s16, s0, s16
	s_and_not1_b32 exec_lo, exec_lo, s16
	s_cbranch_execnz .LBB1_1791
; %bb.1797:                             ;   in Loop: Header=BB1_1755 Depth=1
	s_or_b32 exec_lo, exec_lo, s16
	s_add_co_i32 s14, s6, 6
	v_lshl_add_u64 v[4:5], s[4:5], 4, v[12:13]
	s_mul_hi_u32 s0, s14, 0x10624dd3
	s_mov_b32 s16, 0
	s_lshr_b32 s0, s0, 6
	s_mov_b32 s17, s12
	s_mul_i32 s4, s0, 0x3e8
	s_mov_b32 s19, s5
	s_sub_co_i32 s4, s14, s4
	s_or_b64 s[0:1], s[16:17], s[12:13]
	s_lshl_b32 s18, s4, 12
	v_dual_mov_b32 v0, s0 :: v_dual_mov_b32 v1, s1
	v_add_nc_u64_e32 v[8:9], s[18:19], v[10:11]
	v_dual_mov_b32 v3, s12 :: v_dual_mov_b32 v14, 0
	s_lshl_b32 s4, s4, 8
	s_mov_b32 s15, s5
	s_mov_b32 s7, s16
	global_store_b128 v[4:5], v[0:3], off th:TH_STORE_NT
.LBB1_1798:                             ;   Parent Loop BB1_1755 Depth=1
                                        ; =>  This Inner Loop Header: Depth=2
	s_wait_loadcnt 0x0
	global_load_b128 v[4:7], v[8:9], off th:TH_LOAD_NT
	v_add_nc_u32_e32 v14, 1, v14
	s_mov_b32 s1, -1
	s_mov_b32 s12, -1
	s_mov_b32 s13, exec_lo
	s_wait_xcnt 0x0
	v_cmpx_eq_u32_e32 0xf4240, v14
	s_cbranch_execz .LBB1_1800
; %bb.1799:                             ;   in Loop: Header=BB1_1798 Depth=2
	s_wait_loadcnt 0x0
	s_wait_storecnt 0x0
	global_load_b32 v0, v2, s[10:11] scope:SCOPE_SYS
	s_wait_loadcnt 0x0
	global_inv scope:SCOPE_SYS
	v_mov_b32_e32 v14, 0
	v_cmp_eq_u32_e64 s0, 0, v0
	s_or_not1_b32 s12, s0, exec_lo
.LBB1_1800:                             ;   in Loop: Header=BB1_1798 Depth=2
	s_wait_xcnt 0x0
	s_or_b32 exec_lo, exec_lo, s13
	s_and_saveexec_b32 s13, s12
	s_cbranch_execz .LBB1_1802
; %bb.1801:                             ;   in Loop: Header=BB1_1798 Depth=2
	s_wait_loadcnt 0x0
	v_cmp_eq_u32_e64 s0, s14, v5
	v_cmp_eq_u32_e64 s1, s14, v7
	s_and_b32 s0, s0, s1
	s_delay_alu instid0(SALU_CYCLE_1)
	s_or_not1_b32 s1, s0, exec_lo
.LBB1_1802:                             ;   in Loop: Header=BB1_1798 Depth=2
	s_or_b32 exec_lo, exec_lo, s13
	s_delay_alu instid0(SALU_CYCLE_1) | instskip(NEXT) | instid1(SALU_CYCLE_1)
	s_and_b32 s0, exec_lo, s1
	s_or_b32 s7, s0, s7
	s_delay_alu instid0(SALU_CYCLE_1)
	s_and_not1_b32 exec_lo, exec_lo, s7
	s_cbranch_execnz .LBB1_1798
; %bb.1803:                             ;   in Loop: Header=BB1_1798 Depth=2
	s_or_b32 exec_lo, exec_lo, s7
	s_wait_loadcnt 0x0
	v_dual_mov_b32 v5, v6 :: v_dual_mov_b32 v14, 0
	s_mov_b32 s7, 0
	s_delay_alu instid0(VALU_DEP_1) | instskip(SKIP_1) | instid1(SALU_CYCLE_1)
	v_cmp_eq_u64_e64 s0, s[14:15], v[4:5]
	s_or_b32 s16, s0, s16
	s_and_not1_b32 exec_lo, exec_lo, s16
	s_cbranch_execnz .LBB1_1798
; %bb.1804:                             ;   in Loop: Header=BB1_1755 Depth=1
	s_or_b32 exec_lo, exec_lo, s16
	s_add_co_i32 s12, s6, 7
	v_lshl_add_u64 v[4:5], s[4:5], 4, v[12:13]
	s_mul_hi_u32 s0, s12, 0x10624dd3
	s_mov_b32 s16, 0
	s_lshr_b32 s0, s0, 6
	s_mov_b32 s17, s14
	s_mul_i32 s4, s0, 0x3e8
	s_mov_b32 s19, s5
	s_sub_co_i32 s4, s12, s4
	s_or_b64 s[0:1], s[16:17], s[14:15]
	s_lshl_b32 s18, s4, 12
	v_dual_mov_b32 v0, s0 :: v_dual_mov_b32 v1, s1
	v_add_nc_u64_e32 v[8:9], s[18:19], v[10:11]
	v_dual_mov_b32 v3, s14 :: v_dual_mov_b32 v14, 0
	s_lshl_b32 s4, s4, 8
	s_mov_b32 s13, s5
	s_mov_b32 s7, s16
	global_store_b128 v[4:5], v[0:3], off th:TH_STORE_NT
.LBB1_1805:                             ;   Parent Loop BB1_1755 Depth=1
                                        ; =>  This Inner Loop Header: Depth=2
	s_wait_loadcnt 0x0
	global_load_b128 v[4:7], v[8:9], off th:TH_LOAD_NT
	v_add_nc_u32_e32 v14, 1, v14
	s_mov_b32 s1, -1
	s_mov_b32 s14, -1
	s_mov_b32 s15, exec_lo
	s_wait_xcnt 0x0
	v_cmpx_eq_u32_e32 0xf4240, v14
	s_cbranch_execz .LBB1_1807
; %bb.1806:                             ;   in Loop: Header=BB1_1805 Depth=2
	s_wait_loadcnt 0x0
	s_wait_storecnt 0x0
	global_load_b32 v0, v2, s[10:11] scope:SCOPE_SYS
	s_wait_loadcnt 0x0
	global_inv scope:SCOPE_SYS
	v_mov_b32_e32 v14, 0
	v_cmp_eq_u32_e64 s0, 0, v0
	s_or_not1_b32 s14, s0, exec_lo
.LBB1_1807:                             ;   in Loop: Header=BB1_1805 Depth=2
	s_wait_xcnt 0x0
	s_or_b32 exec_lo, exec_lo, s15
	s_and_saveexec_b32 s15, s14
	s_cbranch_execz .LBB1_1809
; %bb.1808:                             ;   in Loop: Header=BB1_1805 Depth=2
	s_wait_loadcnt 0x0
	v_cmp_eq_u32_e64 s0, s12, v5
	v_cmp_eq_u32_e64 s1, s12, v7
	s_and_b32 s0, s0, s1
	s_delay_alu instid0(SALU_CYCLE_1)
	s_or_not1_b32 s1, s0, exec_lo
.LBB1_1809:                             ;   in Loop: Header=BB1_1805 Depth=2
	s_or_b32 exec_lo, exec_lo, s15
	s_delay_alu instid0(SALU_CYCLE_1) | instskip(NEXT) | instid1(SALU_CYCLE_1)
	s_and_b32 s0, exec_lo, s1
	s_or_b32 s7, s0, s7
	s_delay_alu instid0(SALU_CYCLE_1)
	s_and_not1_b32 exec_lo, exec_lo, s7
	s_cbranch_execnz .LBB1_1805
; %bb.1810:                             ;   in Loop: Header=BB1_1805 Depth=2
	s_or_b32 exec_lo, exec_lo, s7
	s_wait_loadcnt 0x0
	v_dual_mov_b32 v5, v6 :: v_dual_mov_b32 v14, 0
	s_mov_b32 s7, 0
	s_delay_alu instid0(VALU_DEP_1) | instskip(SKIP_1) | instid1(SALU_CYCLE_1)
	v_cmp_eq_u64_e64 s0, s[12:13], v[4:5]
	s_or_b32 s16, s0, s16
	s_and_not1_b32 exec_lo, exec_lo, s16
	s_cbranch_execnz .LBB1_1805
; %bb.1811:                             ;   in Loop: Header=BB1_1755 Depth=1
	s_or_b32 exec_lo, exec_lo, s16
	s_add_co_i32 s14, s6, 8
	v_lshl_add_u64 v[4:5], s[4:5], 4, v[12:13]
	s_mul_hi_u32 s0, s14, 0x10624dd3
	s_mov_b32 s16, 0
	s_lshr_b32 s0, s0, 6
	s_mov_b32 s17, s12
	s_mul_i32 s4, s0, 0x3e8
	s_mov_b32 s19, s5
	s_sub_co_i32 s4, s14, s4
	s_or_b64 s[0:1], s[16:17], s[12:13]
	s_lshl_b32 s18, s4, 12
	v_dual_mov_b32 v0, s0 :: v_dual_mov_b32 v1, s1
	v_add_nc_u64_e32 v[8:9], s[18:19], v[10:11]
	v_dual_mov_b32 v3, s12 :: v_dual_mov_b32 v14, 0
	s_lshl_b32 s4, s4, 8
	s_mov_b32 s15, s5
	s_mov_b32 s7, s16
	global_store_b128 v[4:5], v[0:3], off th:TH_STORE_NT
.LBB1_1812:                             ;   Parent Loop BB1_1755 Depth=1
                                        ; =>  This Inner Loop Header: Depth=2
	s_wait_loadcnt 0x0
	global_load_b128 v[4:7], v[8:9], off th:TH_LOAD_NT
	v_add_nc_u32_e32 v14, 1, v14
	s_mov_b32 s1, -1
	s_mov_b32 s12, -1
	s_mov_b32 s13, exec_lo
	s_wait_xcnt 0x0
	v_cmpx_eq_u32_e32 0xf4240, v14
	s_cbranch_execz .LBB1_1814
; %bb.1813:                             ;   in Loop: Header=BB1_1812 Depth=2
	s_wait_loadcnt 0x0
	s_wait_storecnt 0x0
	global_load_b32 v0, v2, s[10:11] scope:SCOPE_SYS
	s_wait_loadcnt 0x0
	global_inv scope:SCOPE_SYS
	v_mov_b32_e32 v14, 0
	v_cmp_eq_u32_e64 s0, 0, v0
	s_or_not1_b32 s12, s0, exec_lo
.LBB1_1814:                             ;   in Loop: Header=BB1_1812 Depth=2
	s_wait_xcnt 0x0
	s_or_b32 exec_lo, exec_lo, s13
	s_and_saveexec_b32 s13, s12
	s_cbranch_execz .LBB1_1816
; %bb.1815:                             ;   in Loop: Header=BB1_1812 Depth=2
	s_wait_loadcnt 0x0
	v_cmp_eq_u32_e64 s0, s14, v5
	v_cmp_eq_u32_e64 s1, s14, v7
	s_and_b32 s0, s0, s1
	s_delay_alu instid0(SALU_CYCLE_1)
	s_or_not1_b32 s1, s0, exec_lo
.LBB1_1816:                             ;   in Loop: Header=BB1_1812 Depth=2
	s_or_b32 exec_lo, exec_lo, s13
	s_delay_alu instid0(SALU_CYCLE_1) | instskip(NEXT) | instid1(SALU_CYCLE_1)
	s_and_b32 s0, exec_lo, s1
	s_or_b32 s7, s0, s7
	s_delay_alu instid0(SALU_CYCLE_1)
	s_and_not1_b32 exec_lo, exec_lo, s7
	s_cbranch_execnz .LBB1_1812
; %bb.1817:                             ;   in Loop: Header=BB1_1812 Depth=2
	s_or_b32 exec_lo, exec_lo, s7
	s_wait_loadcnt 0x0
	v_dual_mov_b32 v5, v6 :: v_dual_mov_b32 v14, 0
	s_mov_b32 s7, 0
	s_delay_alu instid0(VALU_DEP_1) | instskip(SKIP_1) | instid1(SALU_CYCLE_1)
	v_cmp_eq_u64_e64 s0, s[14:15], v[4:5]
	s_or_b32 s16, s0, s16
	s_and_not1_b32 exec_lo, exec_lo, s16
	s_cbranch_execnz .LBB1_1812
; %bb.1818:                             ;   in Loop: Header=BB1_1755 Depth=1
	s_or_b32 exec_lo, exec_lo, s16
	s_add_co_i32 s12, s6, 9
	v_lshl_add_u64 v[4:5], s[4:5], 4, v[12:13]
	s_mul_hi_u32 s0, s12, 0x10624dd3
	s_mov_b32 s16, 0
	s_lshr_b32 s0, s0, 6
	s_mov_b32 s17, s14
	s_mul_i32 s4, s0, 0x3e8
	s_mov_b32 s19, s5
	s_sub_co_i32 s4, s12, s4
	s_or_b64 s[0:1], s[16:17], s[14:15]
	s_lshl_b32 s18, s4, 12
	v_dual_mov_b32 v0, s0 :: v_dual_mov_b32 v1, s1
	v_add_nc_u64_e32 v[8:9], s[18:19], v[10:11]
	v_dual_mov_b32 v3, s14 :: v_dual_mov_b32 v14, 0
	s_lshl_b32 s4, s4, 8
	s_mov_b32 s13, s5
	s_mov_b32 s7, s16
	global_store_b128 v[4:5], v[0:3], off th:TH_STORE_NT
.LBB1_1819:                             ;   Parent Loop BB1_1755 Depth=1
                                        ; =>  This Inner Loop Header: Depth=2
	s_wait_loadcnt 0x0
	global_load_b128 v[4:7], v[8:9], off th:TH_LOAD_NT
	v_add_nc_u32_e32 v14, 1, v14
	s_mov_b32 s1, -1
	s_mov_b32 s14, -1
	s_mov_b32 s15, exec_lo
	s_wait_xcnt 0x0
	v_cmpx_eq_u32_e32 0xf4240, v14
	s_cbranch_execz .LBB1_1821
; %bb.1820:                             ;   in Loop: Header=BB1_1819 Depth=2
	s_wait_loadcnt 0x0
	s_wait_storecnt 0x0
	global_load_b32 v0, v2, s[10:11] scope:SCOPE_SYS
	s_wait_loadcnt 0x0
	global_inv scope:SCOPE_SYS
	v_mov_b32_e32 v14, 0
	v_cmp_eq_u32_e64 s0, 0, v0
	s_or_not1_b32 s14, s0, exec_lo
.LBB1_1821:                             ;   in Loop: Header=BB1_1819 Depth=2
	s_wait_xcnt 0x0
	s_or_b32 exec_lo, exec_lo, s15
	s_and_saveexec_b32 s15, s14
	s_cbranch_execz .LBB1_1823
; %bb.1822:                             ;   in Loop: Header=BB1_1819 Depth=2
	s_wait_loadcnt 0x0
	v_cmp_eq_u32_e64 s0, s12, v5
	v_cmp_eq_u32_e64 s1, s12, v7
	s_and_b32 s0, s0, s1
	s_delay_alu instid0(SALU_CYCLE_1)
	s_or_not1_b32 s1, s0, exec_lo
.LBB1_1823:                             ;   in Loop: Header=BB1_1819 Depth=2
	s_or_b32 exec_lo, exec_lo, s15
	s_delay_alu instid0(SALU_CYCLE_1) | instskip(NEXT) | instid1(SALU_CYCLE_1)
	s_and_b32 s0, exec_lo, s1
	s_or_b32 s7, s0, s7
	s_delay_alu instid0(SALU_CYCLE_1)
	s_and_not1_b32 exec_lo, exec_lo, s7
	s_cbranch_execnz .LBB1_1819
; %bb.1824:                             ;   in Loop: Header=BB1_1819 Depth=2
	s_or_b32 exec_lo, exec_lo, s7
	s_wait_loadcnt 0x0
	v_dual_mov_b32 v5, v6 :: v_dual_mov_b32 v14, 0
	s_mov_b32 s7, 0
	s_delay_alu instid0(VALU_DEP_1) | instskip(SKIP_1) | instid1(SALU_CYCLE_1)
	v_cmp_eq_u64_e64 s0, s[12:13], v[4:5]
	s_or_b32 s16, s0, s16
	s_and_not1_b32 exec_lo, exec_lo, s16
	s_cbranch_execnz .LBB1_1819
; %bb.1825:                             ;   in Loop: Header=BB1_1755 Depth=1
	s_or_b32 exec_lo, exec_lo, s16
	s_add_co_i32 s14, s6, 10
	v_lshl_add_u64 v[4:5], s[4:5], 4, v[12:13]
	s_mul_hi_u32 s0, s14, 0x10624dd3
	s_mov_b32 s16, 0
	s_lshr_b32 s0, s0, 6
	s_mov_b32 s17, s12
	s_mul_i32 s4, s0, 0x3e8
	s_mov_b32 s19, s5
	s_sub_co_i32 s4, s14, s4
	s_or_b64 s[0:1], s[16:17], s[12:13]
	s_lshl_b32 s18, s4, 12
	v_dual_mov_b32 v0, s0 :: v_dual_mov_b32 v1, s1
	v_add_nc_u64_e32 v[8:9], s[18:19], v[10:11]
	v_dual_mov_b32 v3, s12 :: v_dual_mov_b32 v14, 0
	s_lshl_b32 s4, s4, 8
	s_mov_b32 s15, s5
	s_mov_b32 s7, s16
	global_store_b128 v[4:5], v[0:3], off th:TH_STORE_NT
.LBB1_1826:                             ;   Parent Loop BB1_1755 Depth=1
                                        ; =>  This Inner Loop Header: Depth=2
	s_wait_loadcnt 0x0
	global_load_b128 v[4:7], v[8:9], off th:TH_LOAD_NT
	v_add_nc_u32_e32 v14, 1, v14
	s_mov_b32 s1, -1
	s_mov_b32 s12, -1
	s_mov_b32 s13, exec_lo
	s_wait_xcnt 0x0
	v_cmpx_eq_u32_e32 0xf4240, v14
	s_cbranch_execz .LBB1_1828
; %bb.1827:                             ;   in Loop: Header=BB1_1826 Depth=2
	s_wait_loadcnt 0x0
	s_wait_storecnt 0x0
	global_load_b32 v0, v2, s[10:11] scope:SCOPE_SYS
	s_wait_loadcnt 0x0
	global_inv scope:SCOPE_SYS
	v_mov_b32_e32 v14, 0
	v_cmp_eq_u32_e64 s0, 0, v0
	s_or_not1_b32 s12, s0, exec_lo
.LBB1_1828:                             ;   in Loop: Header=BB1_1826 Depth=2
	s_wait_xcnt 0x0
	s_or_b32 exec_lo, exec_lo, s13
	s_and_saveexec_b32 s13, s12
	s_cbranch_execz .LBB1_1830
; %bb.1829:                             ;   in Loop: Header=BB1_1826 Depth=2
	s_wait_loadcnt 0x0
	v_cmp_eq_u32_e64 s0, s14, v5
	v_cmp_eq_u32_e64 s1, s14, v7
	s_and_b32 s0, s0, s1
	s_delay_alu instid0(SALU_CYCLE_1)
	s_or_not1_b32 s1, s0, exec_lo
.LBB1_1830:                             ;   in Loop: Header=BB1_1826 Depth=2
	s_or_b32 exec_lo, exec_lo, s13
	s_delay_alu instid0(SALU_CYCLE_1) | instskip(NEXT) | instid1(SALU_CYCLE_1)
	s_and_b32 s0, exec_lo, s1
	s_or_b32 s7, s0, s7
	s_delay_alu instid0(SALU_CYCLE_1)
	s_and_not1_b32 exec_lo, exec_lo, s7
	s_cbranch_execnz .LBB1_1826
; %bb.1831:                             ;   in Loop: Header=BB1_1826 Depth=2
	s_or_b32 exec_lo, exec_lo, s7
	s_wait_loadcnt 0x0
	v_dual_mov_b32 v5, v6 :: v_dual_mov_b32 v14, 0
	s_mov_b32 s7, 0
	s_delay_alu instid0(VALU_DEP_1) | instskip(SKIP_1) | instid1(SALU_CYCLE_1)
	v_cmp_eq_u64_e64 s0, s[14:15], v[4:5]
	s_or_b32 s16, s0, s16
	s_and_not1_b32 exec_lo, exec_lo, s16
	s_cbranch_execnz .LBB1_1826
; %bb.1832:                             ;   in Loop: Header=BB1_1755 Depth=1
	s_or_b32 exec_lo, exec_lo, s16
	s_add_co_i32 s12, s6, 11
	v_lshl_add_u64 v[4:5], s[4:5], 4, v[12:13]
	s_mul_hi_u32 s0, s12, 0x10624dd3
	s_mov_b32 s16, 0
	s_lshr_b32 s0, s0, 6
	s_mov_b32 s17, s14
	s_mul_i32 s4, s0, 0x3e8
	s_mov_b32 s19, s5
	s_sub_co_i32 s4, s12, s4
	s_or_b64 s[0:1], s[16:17], s[14:15]
	s_lshl_b32 s18, s4, 12
	v_dual_mov_b32 v0, s0 :: v_dual_mov_b32 v1, s1
	v_add_nc_u64_e32 v[8:9], s[18:19], v[10:11]
	v_dual_mov_b32 v3, s14 :: v_dual_mov_b32 v14, 0
	s_lshl_b32 s4, s4, 8
	s_mov_b32 s13, s5
	s_mov_b32 s7, s16
	global_store_b128 v[4:5], v[0:3], off th:TH_STORE_NT
.LBB1_1833:                             ;   Parent Loop BB1_1755 Depth=1
                                        ; =>  This Inner Loop Header: Depth=2
	s_wait_loadcnt 0x0
	global_load_b128 v[4:7], v[8:9], off th:TH_LOAD_NT
	v_add_nc_u32_e32 v14, 1, v14
	s_mov_b32 s1, -1
	s_mov_b32 s14, -1
	s_mov_b32 s15, exec_lo
	s_wait_xcnt 0x0
	v_cmpx_eq_u32_e32 0xf4240, v14
	s_cbranch_execz .LBB1_1835
; %bb.1834:                             ;   in Loop: Header=BB1_1833 Depth=2
	s_wait_loadcnt 0x0
	s_wait_storecnt 0x0
	global_load_b32 v0, v2, s[10:11] scope:SCOPE_SYS
	s_wait_loadcnt 0x0
	global_inv scope:SCOPE_SYS
	v_mov_b32_e32 v14, 0
	v_cmp_eq_u32_e64 s0, 0, v0
	s_or_not1_b32 s14, s0, exec_lo
.LBB1_1835:                             ;   in Loop: Header=BB1_1833 Depth=2
	s_wait_xcnt 0x0
	s_or_b32 exec_lo, exec_lo, s15
	s_and_saveexec_b32 s15, s14
	s_cbranch_execz .LBB1_1837
; %bb.1836:                             ;   in Loop: Header=BB1_1833 Depth=2
	s_wait_loadcnt 0x0
	v_cmp_eq_u32_e64 s0, s12, v5
	v_cmp_eq_u32_e64 s1, s12, v7
	s_and_b32 s0, s0, s1
	s_delay_alu instid0(SALU_CYCLE_1)
	s_or_not1_b32 s1, s0, exec_lo
.LBB1_1837:                             ;   in Loop: Header=BB1_1833 Depth=2
	s_or_b32 exec_lo, exec_lo, s15
	s_delay_alu instid0(SALU_CYCLE_1) | instskip(NEXT) | instid1(SALU_CYCLE_1)
	s_and_b32 s0, exec_lo, s1
	s_or_b32 s7, s0, s7
	s_delay_alu instid0(SALU_CYCLE_1)
	s_and_not1_b32 exec_lo, exec_lo, s7
	s_cbranch_execnz .LBB1_1833
; %bb.1838:                             ;   in Loop: Header=BB1_1833 Depth=2
	s_or_b32 exec_lo, exec_lo, s7
	s_wait_loadcnt 0x0
	v_dual_mov_b32 v5, v6 :: v_dual_mov_b32 v14, 0
	s_mov_b32 s7, 0
	s_delay_alu instid0(VALU_DEP_1) | instskip(SKIP_1) | instid1(SALU_CYCLE_1)
	v_cmp_eq_u64_e64 s0, s[12:13], v[4:5]
	s_or_b32 s16, s0, s16
	s_and_not1_b32 exec_lo, exec_lo, s16
	s_cbranch_execnz .LBB1_1833
; %bb.1839:                             ;   in Loop: Header=BB1_1755 Depth=1
	s_or_b32 exec_lo, exec_lo, s16
	s_add_co_i32 s14, s6, 12
	v_lshl_add_u64 v[4:5], s[4:5], 4, v[12:13]
	s_mul_hi_u32 s0, s14, 0x10624dd3
	s_mov_b32 s16, 0
	s_lshr_b32 s0, s0, 6
	s_mov_b32 s17, s12
	s_mul_i32 s4, s0, 0x3e8
	s_mov_b32 s19, s5
	s_sub_co_i32 s4, s14, s4
	s_or_b64 s[0:1], s[16:17], s[12:13]
	s_lshl_b32 s18, s4, 12
	v_dual_mov_b32 v0, s0 :: v_dual_mov_b32 v1, s1
	v_add_nc_u64_e32 v[8:9], s[18:19], v[10:11]
	v_dual_mov_b32 v3, s12 :: v_dual_mov_b32 v14, 0
	s_lshl_b32 s4, s4, 8
	s_mov_b32 s15, s5
	s_mov_b32 s7, s16
	global_store_b128 v[4:5], v[0:3], off th:TH_STORE_NT
.LBB1_1840:                             ;   Parent Loop BB1_1755 Depth=1
                                        ; =>  This Inner Loop Header: Depth=2
	s_wait_loadcnt 0x0
	global_load_b128 v[4:7], v[8:9], off th:TH_LOAD_NT
	v_add_nc_u32_e32 v14, 1, v14
	s_mov_b32 s1, -1
	s_mov_b32 s12, -1
	s_mov_b32 s13, exec_lo
	s_wait_xcnt 0x0
	v_cmpx_eq_u32_e32 0xf4240, v14
	s_cbranch_execz .LBB1_1842
; %bb.1841:                             ;   in Loop: Header=BB1_1840 Depth=2
	s_wait_loadcnt 0x0
	s_wait_storecnt 0x0
	global_load_b32 v0, v2, s[10:11] scope:SCOPE_SYS
	s_wait_loadcnt 0x0
	global_inv scope:SCOPE_SYS
	v_mov_b32_e32 v14, 0
	v_cmp_eq_u32_e64 s0, 0, v0
	s_or_not1_b32 s12, s0, exec_lo
.LBB1_1842:                             ;   in Loop: Header=BB1_1840 Depth=2
	s_wait_xcnt 0x0
	s_or_b32 exec_lo, exec_lo, s13
	s_and_saveexec_b32 s13, s12
	s_cbranch_execz .LBB1_1844
; %bb.1843:                             ;   in Loop: Header=BB1_1840 Depth=2
	s_wait_loadcnt 0x0
	v_cmp_eq_u32_e64 s0, s14, v5
	v_cmp_eq_u32_e64 s1, s14, v7
	s_and_b32 s0, s0, s1
	s_delay_alu instid0(SALU_CYCLE_1)
	s_or_not1_b32 s1, s0, exec_lo
.LBB1_1844:                             ;   in Loop: Header=BB1_1840 Depth=2
	s_or_b32 exec_lo, exec_lo, s13
	s_delay_alu instid0(SALU_CYCLE_1) | instskip(NEXT) | instid1(SALU_CYCLE_1)
	s_and_b32 s0, exec_lo, s1
	s_or_b32 s7, s0, s7
	s_delay_alu instid0(SALU_CYCLE_1)
	s_and_not1_b32 exec_lo, exec_lo, s7
	s_cbranch_execnz .LBB1_1840
; %bb.1845:                             ;   in Loop: Header=BB1_1840 Depth=2
	s_or_b32 exec_lo, exec_lo, s7
	s_wait_loadcnt 0x0
	v_dual_mov_b32 v5, v6 :: v_dual_mov_b32 v14, 0
	s_mov_b32 s7, 0
	s_delay_alu instid0(VALU_DEP_1) | instskip(SKIP_1) | instid1(SALU_CYCLE_1)
	v_cmp_eq_u64_e64 s0, s[14:15], v[4:5]
	s_or_b32 s16, s0, s16
	s_and_not1_b32 exec_lo, exec_lo, s16
	s_cbranch_execnz .LBB1_1840
; %bb.1846:                             ;   in Loop: Header=BB1_1755 Depth=1
	s_or_b32 exec_lo, exec_lo, s16
	s_add_co_i32 s12, s6, 13
	v_lshl_add_u64 v[4:5], s[4:5], 4, v[12:13]
	s_mul_hi_u32 s0, s12, 0x10624dd3
	s_mov_b32 s16, 0
	s_lshr_b32 s0, s0, 6
	s_mov_b32 s17, s14
	s_mul_i32 s4, s0, 0x3e8
	s_mov_b32 s19, s5
	s_sub_co_i32 s4, s12, s4
	s_or_b64 s[0:1], s[16:17], s[14:15]
	s_lshl_b32 s18, s4, 12
	v_dual_mov_b32 v0, s0 :: v_dual_mov_b32 v1, s1
	v_add_nc_u64_e32 v[8:9], s[18:19], v[10:11]
	v_dual_mov_b32 v3, s14 :: v_dual_mov_b32 v14, 0
	s_lshl_b32 s4, s4, 8
	s_mov_b32 s13, s5
	s_mov_b32 s7, s16
	global_store_b128 v[4:5], v[0:3], off th:TH_STORE_NT
.LBB1_1847:                             ;   Parent Loop BB1_1755 Depth=1
                                        ; =>  This Inner Loop Header: Depth=2
	s_wait_loadcnt 0x0
	global_load_b128 v[4:7], v[8:9], off th:TH_LOAD_NT
	v_add_nc_u32_e32 v14, 1, v14
	s_mov_b32 s1, -1
	s_mov_b32 s14, -1
	s_mov_b32 s15, exec_lo
	s_wait_xcnt 0x0
	v_cmpx_eq_u32_e32 0xf4240, v14
	s_cbranch_execz .LBB1_1849
; %bb.1848:                             ;   in Loop: Header=BB1_1847 Depth=2
	s_wait_loadcnt 0x0
	s_wait_storecnt 0x0
	global_load_b32 v0, v2, s[10:11] scope:SCOPE_SYS
	s_wait_loadcnt 0x0
	global_inv scope:SCOPE_SYS
	v_mov_b32_e32 v14, 0
	v_cmp_eq_u32_e64 s0, 0, v0
	s_or_not1_b32 s14, s0, exec_lo
.LBB1_1849:                             ;   in Loop: Header=BB1_1847 Depth=2
	s_wait_xcnt 0x0
	s_or_b32 exec_lo, exec_lo, s15
	s_and_saveexec_b32 s15, s14
	s_cbranch_execz .LBB1_1851
; %bb.1850:                             ;   in Loop: Header=BB1_1847 Depth=2
	s_wait_loadcnt 0x0
	v_cmp_eq_u32_e64 s0, s12, v5
	v_cmp_eq_u32_e64 s1, s12, v7
	s_and_b32 s0, s0, s1
	s_delay_alu instid0(SALU_CYCLE_1)
	s_or_not1_b32 s1, s0, exec_lo
.LBB1_1851:                             ;   in Loop: Header=BB1_1847 Depth=2
	s_or_b32 exec_lo, exec_lo, s15
	s_delay_alu instid0(SALU_CYCLE_1) | instskip(NEXT) | instid1(SALU_CYCLE_1)
	s_and_b32 s0, exec_lo, s1
	s_or_b32 s7, s0, s7
	s_delay_alu instid0(SALU_CYCLE_1)
	s_and_not1_b32 exec_lo, exec_lo, s7
	s_cbranch_execnz .LBB1_1847
; %bb.1852:                             ;   in Loop: Header=BB1_1847 Depth=2
	s_or_b32 exec_lo, exec_lo, s7
	s_wait_loadcnt 0x0
	v_dual_mov_b32 v5, v6 :: v_dual_mov_b32 v14, 0
	s_mov_b32 s7, 0
	s_delay_alu instid0(VALU_DEP_1) | instskip(SKIP_1) | instid1(SALU_CYCLE_1)
	v_cmp_eq_u64_e64 s0, s[12:13], v[4:5]
	s_or_b32 s16, s0, s16
	s_and_not1_b32 exec_lo, exec_lo, s16
	s_cbranch_execnz .LBB1_1847
; %bb.1853:                             ;   in Loop: Header=BB1_1755 Depth=1
	s_or_b32 exec_lo, exec_lo, s16
	s_add_co_i32 s14, s6, 14
	v_lshl_add_u64 v[4:5], s[4:5], 4, v[12:13]
	s_mul_hi_u32 s0, s14, 0x10624dd3
	s_mov_b32 s16, 0
	s_lshr_b32 s0, s0, 6
	s_mov_b32 s17, s12
	s_mul_i32 s4, s0, 0x3e8
	s_mov_b32 s19, s5
	s_sub_co_i32 s4, s14, s4
	s_or_b64 s[0:1], s[16:17], s[12:13]
	s_lshl_b32 s18, s4, 12
	v_dual_mov_b32 v0, s0 :: v_dual_mov_b32 v1, s1
	v_add_nc_u64_e32 v[8:9], s[18:19], v[10:11]
	v_dual_mov_b32 v3, s12 :: v_dual_mov_b32 v14, 0
	s_lshl_b32 s4, s4, 8
	s_mov_b32 s15, s5
	s_mov_b32 s7, s16
	global_store_b128 v[4:5], v[0:3], off th:TH_STORE_NT
.LBB1_1854:                             ;   Parent Loop BB1_1755 Depth=1
                                        ; =>  This Inner Loop Header: Depth=2
	s_wait_loadcnt 0x0
	global_load_b128 v[4:7], v[8:9], off th:TH_LOAD_NT
	v_add_nc_u32_e32 v14, 1, v14
	s_mov_b32 s1, -1
	s_mov_b32 s12, -1
	s_mov_b32 s13, exec_lo
	s_wait_xcnt 0x0
	v_cmpx_eq_u32_e32 0xf4240, v14
	s_cbranch_execz .LBB1_1856
; %bb.1855:                             ;   in Loop: Header=BB1_1854 Depth=2
	s_wait_loadcnt 0x0
	s_wait_storecnt 0x0
	global_load_b32 v0, v2, s[10:11] scope:SCOPE_SYS
	s_wait_loadcnt 0x0
	global_inv scope:SCOPE_SYS
	v_mov_b32_e32 v14, 0
	v_cmp_eq_u32_e64 s0, 0, v0
	s_or_not1_b32 s12, s0, exec_lo
.LBB1_1856:                             ;   in Loop: Header=BB1_1854 Depth=2
	s_wait_xcnt 0x0
	s_or_b32 exec_lo, exec_lo, s13
	s_and_saveexec_b32 s13, s12
	s_cbranch_execz .LBB1_1858
; %bb.1857:                             ;   in Loop: Header=BB1_1854 Depth=2
	s_wait_loadcnt 0x0
	v_cmp_eq_u32_e64 s0, s14, v5
	v_cmp_eq_u32_e64 s1, s14, v7
	s_and_b32 s0, s0, s1
	s_delay_alu instid0(SALU_CYCLE_1)
	s_or_not1_b32 s1, s0, exec_lo
.LBB1_1858:                             ;   in Loop: Header=BB1_1854 Depth=2
	s_or_b32 exec_lo, exec_lo, s13
	s_delay_alu instid0(SALU_CYCLE_1) | instskip(NEXT) | instid1(SALU_CYCLE_1)
	s_and_b32 s0, exec_lo, s1
	s_or_b32 s7, s0, s7
	s_delay_alu instid0(SALU_CYCLE_1)
	s_and_not1_b32 exec_lo, exec_lo, s7
	s_cbranch_execnz .LBB1_1854
; %bb.1859:                             ;   in Loop: Header=BB1_1854 Depth=2
	s_or_b32 exec_lo, exec_lo, s7
	s_wait_loadcnt 0x0
	v_dual_mov_b32 v5, v6 :: v_dual_mov_b32 v14, 0
	s_mov_b32 s7, 0
	s_delay_alu instid0(VALU_DEP_1) | instskip(SKIP_1) | instid1(SALU_CYCLE_1)
	v_cmp_eq_u64_e64 s0, s[14:15], v[4:5]
	s_or_b32 s16, s0, s16
	s_and_not1_b32 exec_lo, exec_lo, s16
	s_cbranch_execnz .LBB1_1854
; %bb.1860:                             ;   in Loop: Header=BB1_1755 Depth=1
	s_or_b32 exec_lo, exec_lo, s16
	s_add_co_i32 s12, s6, 15
	v_lshl_add_u64 v[4:5], s[4:5], 4, v[12:13]
	s_mul_hi_u32 s0, s12, 0x10624dd3
	s_mov_b32 s16, 0
	s_lshr_b32 s0, s0, 6
	s_mov_b32 s17, s14
	s_mul_i32 s4, s0, 0x3e8
	s_mov_b32 s19, s5
	s_sub_co_i32 s4, s12, s4
	s_or_b64 s[0:1], s[16:17], s[14:15]
	s_lshl_b32 s18, s4, 12
	v_dual_mov_b32 v0, s0 :: v_dual_mov_b32 v1, s1
	v_add_nc_u64_e32 v[8:9], s[18:19], v[10:11]
	v_dual_mov_b32 v3, s14 :: v_dual_mov_b32 v14, 0
	s_lshl_b32 s4, s4, 8
	s_mov_b32 s13, s5
	s_mov_b32 s7, s16
	global_store_b128 v[4:5], v[0:3], off th:TH_STORE_NT
.LBB1_1861:                             ;   Parent Loop BB1_1755 Depth=1
                                        ; =>  This Inner Loop Header: Depth=2
	s_wait_loadcnt 0x0
	global_load_b128 v[4:7], v[8:9], off th:TH_LOAD_NT
	v_add_nc_u32_e32 v14, 1, v14
	s_mov_b32 s1, -1
	s_mov_b32 s14, -1
	s_mov_b32 s15, exec_lo
	s_wait_xcnt 0x0
	v_cmpx_eq_u32_e32 0xf4240, v14
	s_cbranch_execz .LBB1_1863
; %bb.1862:                             ;   in Loop: Header=BB1_1861 Depth=2
	s_wait_loadcnt 0x0
	s_wait_storecnt 0x0
	global_load_b32 v0, v2, s[10:11] scope:SCOPE_SYS
	s_wait_loadcnt 0x0
	global_inv scope:SCOPE_SYS
	v_mov_b32_e32 v14, 0
	v_cmp_eq_u32_e64 s0, 0, v0
	s_or_not1_b32 s14, s0, exec_lo
.LBB1_1863:                             ;   in Loop: Header=BB1_1861 Depth=2
	s_wait_xcnt 0x0
	s_or_b32 exec_lo, exec_lo, s15
	s_and_saveexec_b32 s15, s14
	s_cbranch_execz .LBB1_1865
; %bb.1864:                             ;   in Loop: Header=BB1_1861 Depth=2
	s_wait_loadcnt 0x0
	v_cmp_eq_u32_e64 s0, s12, v5
	v_cmp_eq_u32_e64 s1, s12, v7
	s_and_b32 s0, s0, s1
	s_delay_alu instid0(SALU_CYCLE_1)
	s_or_not1_b32 s1, s0, exec_lo
.LBB1_1865:                             ;   in Loop: Header=BB1_1861 Depth=2
	s_or_b32 exec_lo, exec_lo, s15
	s_delay_alu instid0(SALU_CYCLE_1) | instskip(NEXT) | instid1(SALU_CYCLE_1)
	s_and_b32 s0, exec_lo, s1
	s_or_b32 s7, s0, s7
	s_delay_alu instid0(SALU_CYCLE_1)
	s_and_not1_b32 exec_lo, exec_lo, s7
	s_cbranch_execnz .LBB1_1861
; %bb.1866:                             ;   in Loop: Header=BB1_1861 Depth=2
	s_or_b32 exec_lo, exec_lo, s7
	s_wait_loadcnt 0x0
	v_dual_mov_b32 v5, v6 :: v_dual_mov_b32 v14, 0
	s_mov_b32 s7, 0
	s_delay_alu instid0(VALU_DEP_1) | instskip(SKIP_1) | instid1(SALU_CYCLE_1)
	v_cmp_eq_u64_e64 s0, s[12:13], v[4:5]
	s_or_b32 s16, s0, s16
	s_and_not1_b32 exec_lo, exec_lo, s16
	s_cbranch_execnz .LBB1_1861
; %bb.1867:                             ;   in Loop: Header=BB1_1755 Depth=1
	s_or_b32 exec_lo, exec_lo, s16
	s_add_co_i32 s14, s6, 16
	v_lshl_add_u64 v[4:5], s[4:5], 4, v[12:13]
	s_mul_hi_u32 s0, s14, 0x10624dd3
	s_mov_b32 s16, 0
	s_lshr_b32 s0, s0, 6
	s_mov_b32 s17, s12
	s_mul_i32 s4, s0, 0x3e8
	s_mov_b32 s19, s5
	s_sub_co_i32 s4, s14, s4
	s_or_b64 s[0:1], s[16:17], s[12:13]
	s_lshl_b32 s18, s4, 12
	v_dual_mov_b32 v0, s0 :: v_dual_mov_b32 v1, s1
	v_add_nc_u64_e32 v[8:9], s[18:19], v[10:11]
	v_dual_mov_b32 v3, s12 :: v_dual_mov_b32 v14, 0
	s_lshl_b32 s4, s4, 8
	s_mov_b32 s15, s5
	s_mov_b32 s7, s16
	global_store_b128 v[4:5], v[0:3], off th:TH_STORE_NT
.LBB1_1868:                             ;   Parent Loop BB1_1755 Depth=1
                                        ; =>  This Inner Loop Header: Depth=2
	s_wait_loadcnt 0x0
	global_load_b128 v[4:7], v[8:9], off th:TH_LOAD_NT
	v_add_nc_u32_e32 v14, 1, v14
	s_mov_b32 s1, -1
	s_mov_b32 s12, -1
	s_mov_b32 s13, exec_lo
	s_wait_xcnt 0x0
	v_cmpx_eq_u32_e32 0xf4240, v14
	s_cbranch_execz .LBB1_1870
; %bb.1869:                             ;   in Loop: Header=BB1_1868 Depth=2
	s_wait_loadcnt 0x0
	s_wait_storecnt 0x0
	global_load_b32 v0, v2, s[10:11] scope:SCOPE_SYS
	s_wait_loadcnt 0x0
	global_inv scope:SCOPE_SYS
	v_mov_b32_e32 v14, 0
	v_cmp_eq_u32_e64 s0, 0, v0
	s_or_not1_b32 s12, s0, exec_lo
.LBB1_1870:                             ;   in Loop: Header=BB1_1868 Depth=2
	s_wait_xcnt 0x0
	s_or_b32 exec_lo, exec_lo, s13
	s_and_saveexec_b32 s13, s12
	s_cbranch_execz .LBB1_1872
; %bb.1871:                             ;   in Loop: Header=BB1_1868 Depth=2
	s_wait_loadcnt 0x0
	v_cmp_eq_u32_e64 s0, s14, v5
	v_cmp_eq_u32_e64 s1, s14, v7
	s_and_b32 s0, s0, s1
	s_delay_alu instid0(SALU_CYCLE_1)
	s_or_not1_b32 s1, s0, exec_lo
.LBB1_1872:                             ;   in Loop: Header=BB1_1868 Depth=2
	s_or_b32 exec_lo, exec_lo, s13
	s_delay_alu instid0(SALU_CYCLE_1) | instskip(NEXT) | instid1(SALU_CYCLE_1)
	s_and_b32 s0, exec_lo, s1
	s_or_b32 s7, s0, s7
	s_delay_alu instid0(SALU_CYCLE_1)
	s_and_not1_b32 exec_lo, exec_lo, s7
	s_cbranch_execnz .LBB1_1868
; %bb.1873:                             ;   in Loop: Header=BB1_1868 Depth=2
	s_or_b32 exec_lo, exec_lo, s7
	s_wait_loadcnt 0x0
	v_dual_mov_b32 v5, v6 :: v_dual_mov_b32 v14, 0
	s_mov_b32 s7, 0
	s_delay_alu instid0(VALU_DEP_1) | instskip(SKIP_1) | instid1(SALU_CYCLE_1)
	v_cmp_eq_u64_e64 s0, s[14:15], v[4:5]
	s_or_b32 s16, s0, s16
	s_and_not1_b32 exec_lo, exec_lo, s16
	s_cbranch_execnz .LBB1_1868
; %bb.1874:                             ;   in Loop: Header=BB1_1755 Depth=1
	s_or_b32 exec_lo, exec_lo, s16
	s_add_co_i32 s12, s6, 17
	v_lshl_add_u64 v[4:5], s[4:5], 4, v[12:13]
	s_mul_hi_u32 s0, s12, 0x10624dd3
	s_mov_b32 s16, 0
	s_lshr_b32 s0, s0, 6
	s_mov_b32 s17, s14
	s_mul_i32 s4, s0, 0x3e8
	s_mov_b32 s19, s5
	s_sub_co_i32 s4, s12, s4
	s_or_b64 s[0:1], s[16:17], s[14:15]
	s_lshl_b32 s18, s4, 12
	v_dual_mov_b32 v0, s0 :: v_dual_mov_b32 v1, s1
	v_add_nc_u64_e32 v[8:9], s[18:19], v[10:11]
	v_dual_mov_b32 v3, s14 :: v_dual_mov_b32 v14, 0
	s_lshl_b32 s4, s4, 8
	s_mov_b32 s13, s5
	s_mov_b32 s7, s16
	global_store_b128 v[4:5], v[0:3], off th:TH_STORE_NT
.LBB1_1875:                             ;   Parent Loop BB1_1755 Depth=1
                                        ; =>  This Inner Loop Header: Depth=2
	s_wait_loadcnt 0x0
	global_load_b128 v[4:7], v[8:9], off th:TH_LOAD_NT
	v_add_nc_u32_e32 v14, 1, v14
	s_mov_b32 s1, -1
	s_mov_b32 s14, -1
	s_mov_b32 s15, exec_lo
	s_wait_xcnt 0x0
	v_cmpx_eq_u32_e32 0xf4240, v14
	s_cbranch_execz .LBB1_1877
; %bb.1876:                             ;   in Loop: Header=BB1_1875 Depth=2
	s_wait_loadcnt 0x0
	s_wait_storecnt 0x0
	global_load_b32 v0, v2, s[10:11] scope:SCOPE_SYS
	s_wait_loadcnt 0x0
	global_inv scope:SCOPE_SYS
	v_mov_b32_e32 v14, 0
	v_cmp_eq_u32_e64 s0, 0, v0
	s_or_not1_b32 s14, s0, exec_lo
.LBB1_1877:                             ;   in Loop: Header=BB1_1875 Depth=2
	s_wait_xcnt 0x0
	s_or_b32 exec_lo, exec_lo, s15
	s_and_saveexec_b32 s15, s14
	s_cbranch_execz .LBB1_1879
; %bb.1878:                             ;   in Loop: Header=BB1_1875 Depth=2
	s_wait_loadcnt 0x0
	v_cmp_eq_u32_e64 s0, s12, v5
	v_cmp_eq_u32_e64 s1, s12, v7
	s_and_b32 s0, s0, s1
	s_delay_alu instid0(SALU_CYCLE_1)
	s_or_not1_b32 s1, s0, exec_lo
.LBB1_1879:                             ;   in Loop: Header=BB1_1875 Depth=2
	s_or_b32 exec_lo, exec_lo, s15
	s_delay_alu instid0(SALU_CYCLE_1) | instskip(NEXT) | instid1(SALU_CYCLE_1)
	s_and_b32 s0, exec_lo, s1
	s_or_b32 s7, s0, s7
	s_delay_alu instid0(SALU_CYCLE_1)
	s_and_not1_b32 exec_lo, exec_lo, s7
	s_cbranch_execnz .LBB1_1875
; %bb.1880:                             ;   in Loop: Header=BB1_1875 Depth=2
	s_or_b32 exec_lo, exec_lo, s7
	s_wait_loadcnt 0x0
	v_dual_mov_b32 v5, v6 :: v_dual_mov_b32 v14, 0
	s_mov_b32 s7, 0
	s_delay_alu instid0(VALU_DEP_1) | instskip(SKIP_1) | instid1(SALU_CYCLE_1)
	v_cmp_eq_u64_e64 s0, s[12:13], v[4:5]
	s_or_b32 s16, s0, s16
	s_and_not1_b32 exec_lo, exec_lo, s16
	s_cbranch_execnz .LBB1_1875
; %bb.1881:                             ;   in Loop: Header=BB1_1755 Depth=1
	s_or_b32 exec_lo, exec_lo, s16
	s_add_co_i32 s14, s6, 18
	v_lshl_add_u64 v[4:5], s[4:5], 4, v[12:13]
	s_mul_hi_u32 s0, s14, 0x10624dd3
	s_mov_b32 s16, 0
	s_lshr_b32 s0, s0, 6
	s_mov_b32 s17, s12
	s_mul_i32 s4, s0, 0x3e8
	s_mov_b32 s19, s5
	s_sub_co_i32 s4, s14, s4
	s_or_b64 s[0:1], s[16:17], s[12:13]
	s_lshl_b32 s18, s4, 12
	v_dual_mov_b32 v0, s0 :: v_dual_mov_b32 v1, s1
	v_add_nc_u64_e32 v[8:9], s[18:19], v[10:11]
	v_dual_mov_b32 v3, s12 :: v_dual_mov_b32 v14, 0
	s_lshl_b32 s4, s4, 8
	s_mov_b32 s15, s5
	s_mov_b32 s7, s16
	global_store_b128 v[4:5], v[0:3], off th:TH_STORE_NT
.LBB1_1882:                             ;   Parent Loop BB1_1755 Depth=1
                                        ; =>  This Inner Loop Header: Depth=2
	s_wait_loadcnt 0x0
	global_load_b128 v[4:7], v[8:9], off th:TH_LOAD_NT
	v_add_nc_u32_e32 v14, 1, v14
	s_mov_b32 s1, -1
	s_mov_b32 s12, -1
	s_mov_b32 s13, exec_lo
	s_wait_xcnt 0x0
	v_cmpx_eq_u32_e32 0xf4240, v14
	s_cbranch_execz .LBB1_1884
; %bb.1883:                             ;   in Loop: Header=BB1_1882 Depth=2
	s_wait_loadcnt 0x0
	s_wait_storecnt 0x0
	global_load_b32 v0, v2, s[10:11] scope:SCOPE_SYS
	s_wait_loadcnt 0x0
	global_inv scope:SCOPE_SYS
	v_mov_b32_e32 v14, 0
	v_cmp_eq_u32_e64 s0, 0, v0
	s_or_not1_b32 s12, s0, exec_lo
.LBB1_1884:                             ;   in Loop: Header=BB1_1882 Depth=2
	s_wait_xcnt 0x0
	s_or_b32 exec_lo, exec_lo, s13
	s_and_saveexec_b32 s13, s12
	s_cbranch_execz .LBB1_1886
; %bb.1885:                             ;   in Loop: Header=BB1_1882 Depth=2
	s_wait_loadcnt 0x0
	v_cmp_eq_u32_e64 s0, s14, v5
	v_cmp_eq_u32_e64 s1, s14, v7
	s_and_b32 s0, s0, s1
	s_delay_alu instid0(SALU_CYCLE_1)
	s_or_not1_b32 s1, s0, exec_lo
.LBB1_1886:                             ;   in Loop: Header=BB1_1882 Depth=2
	s_or_b32 exec_lo, exec_lo, s13
	s_delay_alu instid0(SALU_CYCLE_1) | instskip(NEXT) | instid1(SALU_CYCLE_1)
	s_and_b32 s0, exec_lo, s1
	s_or_b32 s7, s0, s7
	s_delay_alu instid0(SALU_CYCLE_1)
	s_and_not1_b32 exec_lo, exec_lo, s7
	s_cbranch_execnz .LBB1_1882
; %bb.1887:                             ;   in Loop: Header=BB1_1882 Depth=2
	s_or_b32 exec_lo, exec_lo, s7
	s_wait_loadcnt 0x0
	v_dual_mov_b32 v5, v6 :: v_dual_mov_b32 v14, 0
	s_mov_b32 s7, 0
	s_delay_alu instid0(VALU_DEP_1) | instskip(SKIP_1) | instid1(SALU_CYCLE_1)
	v_cmp_eq_u64_e64 s0, s[14:15], v[4:5]
	s_or_b32 s16, s0, s16
	s_and_not1_b32 exec_lo, exec_lo, s16
	s_cbranch_execnz .LBB1_1882
; %bb.1888:                             ;   in Loop: Header=BB1_1755 Depth=1
	s_or_b32 exec_lo, exec_lo, s16
	s_add_co_i32 s12, s6, 19
	v_lshl_add_u64 v[4:5], s[4:5], 4, v[12:13]
	s_mul_hi_u32 s0, s12, 0x10624dd3
	s_mov_b32 s16, 0
	s_lshr_b32 s0, s0, 6
	s_mov_b32 s17, s14
	s_mul_i32 s4, s0, 0x3e8
	s_mov_b32 s19, s5
	s_sub_co_i32 s4, s12, s4
	s_or_b64 s[0:1], s[16:17], s[14:15]
	s_lshl_b32 s18, s4, 12
	v_dual_mov_b32 v0, s0 :: v_dual_mov_b32 v1, s1
	v_add_nc_u64_e32 v[8:9], s[18:19], v[10:11]
	v_dual_mov_b32 v3, s14 :: v_dual_mov_b32 v14, 0
	s_lshl_b32 s4, s4, 8
	s_mov_b32 s13, s5
	s_mov_b32 s7, s16
	global_store_b128 v[4:5], v[0:3], off th:TH_STORE_NT
.LBB1_1889:                             ;   Parent Loop BB1_1755 Depth=1
                                        ; =>  This Inner Loop Header: Depth=2
	s_wait_loadcnt 0x0
	global_load_b128 v[4:7], v[8:9], off th:TH_LOAD_NT
	v_add_nc_u32_e32 v14, 1, v14
	s_mov_b32 s1, -1
	s_mov_b32 s14, -1
	s_mov_b32 s15, exec_lo
	s_wait_xcnt 0x0
	v_cmpx_eq_u32_e32 0xf4240, v14
	s_cbranch_execz .LBB1_1891
; %bb.1890:                             ;   in Loop: Header=BB1_1889 Depth=2
	s_wait_loadcnt 0x0
	s_wait_storecnt 0x0
	global_load_b32 v0, v2, s[10:11] scope:SCOPE_SYS
	s_wait_loadcnt 0x0
	global_inv scope:SCOPE_SYS
	v_mov_b32_e32 v14, 0
	v_cmp_eq_u32_e64 s0, 0, v0
	s_or_not1_b32 s14, s0, exec_lo
.LBB1_1891:                             ;   in Loop: Header=BB1_1889 Depth=2
	s_wait_xcnt 0x0
	s_or_b32 exec_lo, exec_lo, s15
	s_and_saveexec_b32 s15, s14
	s_cbranch_execz .LBB1_1893
; %bb.1892:                             ;   in Loop: Header=BB1_1889 Depth=2
	s_wait_loadcnt 0x0
	v_cmp_eq_u32_e64 s0, s12, v5
	v_cmp_eq_u32_e64 s1, s12, v7
	s_and_b32 s0, s0, s1
	s_delay_alu instid0(SALU_CYCLE_1)
	s_or_not1_b32 s1, s0, exec_lo
.LBB1_1893:                             ;   in Loop: Header=BB1_1889 Depth=2
	s_or_b32 exec_lo, exec_lo, s15
	s_delay_alu instid0(SALU_CYCLE_1) | instskip(NEXT) | instid1(SALU_CYCLE_1)
	s_and_b32 s0, exec_lo, s1
	s_or_b32 s7, s0, s7
	s_delay_alu instid0(SALU_CYCLE_1)
	s_and_not1_b32 exec_lo, exec_lo, s7
	s_cbranch_execnz .LBB1_1889
; %bb.1894:                             ;   in Loop: Header=BB1_1889 Depth=2
	s_or_b32 exec_lo, exec_lo, s7
	s_wait_loadcnt 0x0
	v_dual_mov_b32 v5, v6 :: v_dual_mov_b32 v14, 0
	s_mov_b32 s7, 0
	s_delay_alu instid0(VALU_DEP_1) | instskip(SKIP_1) | instid1(SALU_CYCLE_1)
	v_cmp_eq_u64_e64 s0, s[12:13], v[4:5]
	s_or_b32 s16, s0, s16
	s_and_not1_b32 exec_lo, exec_lo, s16
	s_cbranch_execnz .LBB1_1889
; %bb.1895:                             ;   in Loop: Header=BB1_1755 Depth=1
	s_or_b32 exec_lo, exec_lo, s16
	s_add_co_i32 s14, s6, 20
	v_lshl_add_u64 v[4:5], s[4:5], 4, v[12:13]
	s_mul_hi_u32 s0, s14, 0x10624dd3
	s_mov_b32 s16, 0
	s_lshr_b32 s0, s0, 6
	s_mov_b32 s17, s12
	s_mul_i32 s4, s0, 0x3e8
	s_mov_b32 s19, s5
	s_sub_co_i32 s4, s14, s4
	s_or_b64 s[0:1], s[16:17], s[12:13]
	s_lshl_b32 s18, s4, 12
	v_dual_mov_b32 v0, s0 :: v_dual_mov_b32 v1, s1
	v_add_nc_u64_e32 v[8:9], s[18:19], v[10:11]
	v_dual_mov_b32 v3, s12 :: v_dual_mov_b32 v14, 0
	s_lshl_b32 s4, s4, 8
	s_mov_b32 s15, s5
	s_mov_b32 s7, s16
	global_store_b128 v[4:5], v[0:3], off th:TH_STORE_NT
.LBB1_1896:                             ;   Parent Loop BB1_1755 Depth=1
                                        ; =>  This Inner Loop Header: Depth=2
	s_wait_loadcnt 0x0
	global_load_b128 v[4:7], v[8:9], off th:TH_LOAD_NT
	v_add_nc_u32_e32 v14, 1, v14
	s_mov_b32 s1, -1
	s_mov_b32 s12, -1
	s_mov_b32 s13, exec_lo
	s_wait_xcnt 0x0
	v_cmpx_eq_u32_e32 0xf4240, v14
	s_cbranch_execz .LBB1_1898
; %bb.1897:                             ;   in Loop: Header=BB1_1896 Depth=2
	s_wait_loadcnt 0x0
	s_wait_storecnt 0x0
	global_load_b32 v0, v2, s[10:11] scope:SCOPE_SYS
	s_wait_loadcnt 0x0
	global_inv scope:SCOPE_SYS
	v_mov_b32_e32 v14, 0
	v_cmp_eq_u32_e64 s0, 0, v0
	s_or_not1_b32 s12, s0, exec_lo
.LBB1_1898:                             ;   in Loop: Header=BB1_1896 Depth=2
	s_wait_xcnt 0x0
	s_or_b32 exec_lo, exec_lo, s13
	s_and_saveexec_b32 s13, s12
	s_cbranch_execz .LBB1_1900
; %bb.1899:                             ;   in Loop: Header=BB1_1896 Depth=2
	s_wait_loadcnt 0x0
	v_cmp_eq_u32_e64 s0, s14, v5
	v_cmp_eq_u32_e64 s1, s14, v7
	s_and_b32 s0, s0, s1
	s_delay_alu instid0(SALU_CYCLE_1)
	s_or_not1_b32 s1, s0, exec_lo
.LBB1_1900:                             ;   in Loop: Header=BB1_1896 Depth=2
	s_or_b32 exec_lo, exec_lo, s13
	s_delay_alu instid0(SALU_CYCLE_1) | instskip(NEXT) | instid1(SALU_CYCLE_1)
	s_and_b32 s0, exec_lo, s1
	s_or_b32 s7, s0, s7
	s_delay_alu instid0(SALU_CYCLE_1)
	s_and_not1_b32 exec_lo, exec_lo, s7
	s_cbranch_execnz .LBB1_1896
; %bb.1901:                             ;   in Loop: Header=BB1_1896 Depth=2
	s_or_b32 exec_lo, exec_lo, s7
	s_wait_loadcnt 0x0
	v_dual_mov_b32 v5, v6 :: v_dual_mov_b32 v14, 0
	s_mov_b32 s7, 0
	s_delay_alu instid0(VALU_DEP_1) | instskip(SKIP_1) | instid1(SALU_CYCLE_1)
	v_cmp_eq_u64_e64 s0, s[14:15], v[4:5]
	s_or_b32 s16, s0, s16
	s_and_not1_b32 exec_lo, exec_lo, s16
	s_cbranch_execnz .LBB1_1896
; %bb.1902:                             ;   in Loop: Header=BB1_1755 Depth=1
	s_or_b32 exec_lo, exec_lo, s16
	s_add_co_i32 s12, s6, 21
	v_lshl_add_u64 v[4:5], s[4:5], 4, v[12:13]
	s_mul_hi_u32 s0, s12, 0x10624dd3
	s_mov_b32 s16, 0
	s_lshr_b32 s0, s0, 6
	s_mov_b32 s17, s14
	s_mul_i32 s4, s0, 0x3e8
	s_mov_b32 s19, s5
	s_sub_co_i32 s4, s12, s4
	s_or_b64 s[0:1], s[16:17], s[14:15]
	s_lshl_b32 s18, s4, 12
	v_dual_mov_b32 v0, s0 :: v_dual_mov_b32 v1, s1
	v_add_nc_u64_e32 v[8:9], s[18:19], v[10:11]
	v_dual_mov_b32 v3, s14 :: v_dual_mov_b32 v14, 0
	s_lshl_b32 s4, s4, 8
	s_mov_b32 s13, s5
	s_mov_b32 s7, s16
	global_store_b128 v[4:5], v[0:3], off th:TH_STORE_NT
.LBB1_1903:                             ;   Parent Loop BB1_1755 Depth=1
                                        ; =>  This Inner Loop Header: Depth=2
	s_wait_loadcnt 0x0
	global_load_b128 v[4:7], v[8:9], off th:TH_LOAD_NT
	v_add_nc_u32_e32 v14, 1, v14
	s_mov_b32 s1, -1
	s_mov_b32 s14, -1
	s_mov_b32 s15, exec_lo
	s_wait_xcnt 0x0
	v_cmpx_eq_u32_e32 0xf4240, v14
	s_cbranch_execz .LBB1_1905
; %bb.1904:                             ;   in Loop: Header=BB1_1903 Depth=2
	s_wait_loadcnt 0x0
	s_wait_storecnt 0x0
	global_load_b32 v0, v2, s[10:11] scope:SCOPE_SYS
	s_wait_loadcnt 0x0
	global_inv scope:SCOPE_SYS
	v_mov_b32_e32 v14, 0
	v_cmp_eq_u32_e64 s0, 0, v0
	s_or_not1_b32 s14, s0, exec_lo
.LBB1_1905:                             ;   in Loop: Header=BB1_1903 Depth=2
	s_wait_xcnt 0x0
	s_or_b32 exec_lo, exec_lo, s15
	s_and_saveexec_b32 s15, s14
	s_cbranch_execz .LBB1_1907
; %bb.1906:                             ;   in Loop: Header=BB1_1903 Depth=2
	s_wait_loadcnt 0x0
	v_cmp_eq_u32_e64 s0, s12, v5
	v_cmp_eq_u32_e64 s1, s12, v7
	s_and_b32 s0, s0, s1
	s_delay_alu instid0(SALU_CYCLE_1)
	s_or_not1_b32 s1, s0, exec_lo
.LBB1_1907:                             ;   in Loop: Header=BB1_1903 Depth=2
	s_or_b32 exec_lo, exec_lo, s15
	s_delay_alu instid0(SALU_CYCLE_1) | instskip(NEXT) | instid1(SALU_CYCLE_1)
	s_and_b32 s0, exec_lo, s1
	s_or_b32 s7, s0, s7
	s_delay_alu instid0(SALU_CYCLE_1)
	s_and_not1_b32 exec_lo, exec_lo, s7
	s_cbranch_execnz .LBB1_1903
; %bb.1908:                             ;   in Loop: Header=BB1_1903 Depth=2
	s_or_b32 exec_lo, exec_lo, s7
	s_wait_loadcnt 0x0
	v_dual_mov_b32 v5, v6 :: v_dual_mov_b32 v14, 0
	s_mov_b32 s7, 0
	s_delay_alu instid0(VALU_DEP_1) | instskip(SKIP_1) | instid1(SALU_CYCLE_1)
	v_cmp_eq_u64_e64 s0, s[12:13], v[4:5]
	s_or_b32 s16, s0, s16
	s_and_not1_b32 exec_lo, exec_lo, s16
	s_cbranch_execnz .LBB1_1903
; %bb.1909:                             ;   in Loop: Header=BB1_1755 Depth=1
	s_or_b32 exec_lo, exec_lo, s16
	s_add_co_i32 s14, s6, 22
	v_lshl_add_u64 v[4:5], s[4:5], 4, v[12:13]
	s_mul_hi_u32 s0, s14, 0x10624dd3
	s_mov_b32 s16, 0
	s_lshr_b32 s0, s0, 6
	s_mov_b32 s17, s12
	s_mul_i32 s4, s0, 0x3e8
	s_mov_b32 s19, s5
	s_sub_co_i32 s4, s14, s4
	s_or_b64 s[0:1], s[16:17], s[12:13]
	s_lshl_b32 s18, s4, 12
	v_dual_mov_b32 v0, s0 :: v_dual_mov_b32 v1, s1
	v_add_nc_u64_e32 v[8:9], s[18:19], v[10:11]
	v_dual_mov_b32 v3, s12 :: v_dual_mov_b32 v14, 0
	s_lshl_b32 s4, s4, 8
	s_mov_b32 s15, s5
	s_mov_b32 s7, s16
	global_store_b128 v[4:5], v[0:3], off th:TH_STORE_NT
.LBB1_1910:                             ;   Parent Loop BB1_1755 Depth=1
                                        ; =>  This Inner Loop Header: Depth=2
	s_wait_loadcnt 0x0
	global_load_b128 v[4:7], v[8:9], off th:TH_LOAD_NT
	v_add_nc_u32_e32 v14, 1, v14
	s_mov_b32 s1, -1
	s_mov_b32 s12, -1
	s_mov_b32 s13, exec_lo
	s_wait_xcnt 0x0
	v_cmpx_eq_u32_e32 0xf4240, v14
	s_cbranch_execz .LBB1_1912
; %bb.1911:                             ;   in Loop: Header=BB1_1910 Depth=2
	s_wait_loadcnt 0x0
	s_wait_storecnt 0x0
	global_load_b32 v0, v2, s[10:11] scope:SCOPE_SYS
	s_wait_loadcnt 0x0
	global_inv scope:SCOPE_SYS
	v_mov_b32_e32 v14, 0
	v_cmp_eq_u32_e64 s0, 0, v0
	s_or_not1_b32 s12, s0, exec_lo
.LBB1_1912:                             ;   in Loop: Header=BB1_1910 Depth=2
	s_wait_xcnt 0x0
	s_or_b32 exec_lo, exec_lo, s13
	s_and_saveexec_b32 s13, s12
	s_cbranch_execz .LBB1_1914
; %bb.1913:                             ;   in Loop: Header=BB1_1910 Depth=2
	s_wait_loadcnt 0x0
	v_cmp_eq_u32_e64 s0, s14, v5
	v_cmp_eq_u32_e64 s1, s14, v7
	s_and_b32 s0, s0, s1
	s_delay_alu instid0(SALU_CYCLE_1)
	s_or_not1_b32 s1, s0, exec_lo
.LBB1_1914:                             ;   in Loop: Header=BB1_1910 Depth=2
	s_or_b32 exec_lo, exec_lo, s13
	s_delay_alu instid0(SALU_CYCLE_1) | instskip(NEXT) | instid1(SALU_CYCLE_1)
	s_and_b32 s0, exec_lo, s1
	s_or_b32 s7, s0, s7
	s_delay_alu instid0(SALU_CYCLE_1)
	s_and_not1_b32 exec_lo, exec_lo, s7
	s_cbranch_execnz .LBB1_1910
; %bb.1915:                             ;   in Loop: Header=BB1_1910 Depth=2
	s_or_b32 exec_lo, exec_lo, s7
	s_wait_loadcnt 0x0
	v_dual_mov_b32 v5, v6 :: v_dual_mov_b32 v14, 0
	s_mov_b32 s7, 0
	s_delay_alu instid0(VALU_DEP_1) | instskip(SKIP_1) | instid1(SALU_CYCLE_1)
	v_cmp_eq_u64_e64 s0, s[14:15], v[4:5]
	s_or_b32 s16, s0, s16
	s_and_not1_b32 exec_lo, exec_lo, s16
	s_cbranch_execnz .LBB1_1910
; %bb.1916:                             ;   in Loop: Header=BB1_1755 Depth=1
	s_or_b32 exec_lo, exec_lo, s16
	s_add_co_i32 s12, s6, 23
	v_lshl_add_u64 v[4:5], s[4:5], 4, v[12:13]
	s_mul_hi_u32 s0, s12, 0x10624dd3
	s_mov_b32 s16, 0
	s_lshr_b32 s0, s0, 6
	s_mov_b32 s17, s14
	s_mul_i32 s4, s0, 0x3e8
	s_mov_b32 s19, s5
	s_sub_co_i32 s4, s12, s4
	s_or_b64 s[0:1], s[16:17], s[14:15]
	s_lshl_b32 s18, s4, 12
	v_dual_mov_b32 v0, s0 :: v_dual_mov_b32 v1, s1
	v_add_nc_u64_e32 v[8:9], s[18:19], v[10:11]
	v_dual_mov_b32 v3, s14 :: v_dual_mov_b32 v14, 0
	s_lshl_b32 s4, s4, 8
	s_mov_b32 s13, s5
	s_mov_b32 s7, s16
	global_store_b128 v[4:5], v[0:3], off th:TH_STORE_NT
.LBB1_1917:                             ;   Parent Loop BB1_1755 Depth=1
                                        ; =>  This Inner Loop Header: Depth=2
	s_wait_loadcnt 0x0
	global_load_b128 v[4:7], v[8:9], off th:TH_LOAD_NT
	v_add_nc_u32_e32 v14, 1, v14
	s_mov_b32 s1, -1
	s_mov_b32 s14, -1
	s_mov_b32 s15, exec_lo
	s_wait_xcnt 0x0
	v_cmpx_eq_u32_e32 0xf4240, v14
	s_cbranch_execz .LBB1_1919
; %bb.1918:                             ;   in Loop: Header=BB1_1917 Depth=2
	s_wait_loadcnt 0x0
	s_wait_storecnt 0x0
	global_load_b32 v0, v2, s[10:11] scope:SCOPE_SYS
	s_wait_loadcnt 0x0
	global_inv scope:SCOPE_SYS
	v_mov_b32_e32 v14, 0
	v_cmp_eq_u32_e64 s0, 0, v0
	s_or_not1_b32 s14, s0, exec_lo
.LBB1_1919:                             ;   in Loop: Header=BB1_1917 Depth=2
	s_wait_xcnt 0x0
	s_or_b32 exec_lo, exec_lo, s15
	s_and_saveexec_b32 s15, s14
	s_cbranch_execz .LBB1_1921
; %bb.1920:                             ;   in Loop: Header=BB1_1917 Depth=2
	s_wait_loadcnt 0x0
	v_cmp_eq_u32_e64 s0, s12, v5
	v_cmp_eq_u32_e64 s1, s12, v7
	s_and_b32 s0, s0, s1
	s_delay_alu instid0(SALU_CYCLE_1)
	s_or_not1_b32 s1, s0, exec_lo
.LBB1_1921:                             ;   in Loop: Header=BB1_1917 Depth=2
	s_or_b32 exec_lo, exec_lo, s15
	s_delay_alu instid0(SALU_CYCLE_1) | instskip(NEXT) | instid1(SALU_CYCLE_1)
	s_and_b32 s0, exec_lo, s1
	s_or_b32 s7, s0, s7
	s_delay_alu instid0(SALU_CYCLE_1)
	s_and_not1_b32 exec_lo, exec_lo, s7
	s_cbranch_execnz .LBB1_1917
; %bb.1922:                             ;   in Loop: Header=BB1_1917 Depth=2
	s_or_b32 exec_lo, exec_lo, s7
	s_wait_loadcnt 0x0
	v_dual_mov_b32 v5, v6 :: v_dual_mov_b32 v14, 0
	s_mov_b32 s7, 0
	s_delay_alu instid0(VALU_DEP_1) | instskip(SKIP_1) | instid1(SALU_CYCLE_1)
	v_cmp_eq_u64_e64 s0, s[12:13], v[4:5]
	s_or_b32 s16, s0, s16
	s_and_not1_b32 exec_lo, exec_lo, s16
	s_cbranch_execnz .LBB1_1917
; %bb.1923:                             ;   in Loop: Header=BB1_1755 Depth=1
	s_or_b32 exec_lo, exec_lo, s16
	s_add_co_i32 s14, s6, 24
	v_lshl_add_u64 v[4:5], s[4:5], 4, v[12:13]
	s_mul_hi_u32 s0, s14, 0x10624dd3
	s_mov_b32 s16, 0
	s_lshr_b32 s0, s0, 6
	s_mov_b32 s17, s12
	s_mul_i32 s4, s0, 0x3e8
	s_mov_b32 s19, s5
	s_sub_co_i32 s4, s14, s4
	s_or_b64 s[0:1], s[16:17], s[12:13]
	s_lshl_b32 s18, s4, 12
	v_dual_mov_b32 v0, s0 :: v_dual_mov_b32 v1, s1
	v_add_nc_u64_e32 v[8:9], s[18:19], v[10:11]
	v_dual_mov_b32 v3, s12 :: v_dual_mov_b32 v14, 0
	s_lshl_b32 s4, s4, 8
	s_mov_b32 s15, s5
	s_mov_b32 s7, s16
	global_store_b128 v[4:5], v[0:3], off th:TH_STORE_NT
.LBB1_1924:                             ;   Parent Loop BB1_1755 Depth=1
                                        ; =>  This Inner Loop Header: Depth=2
	s_wait_loadcnt 0x0
	global_load_b128 v[4:7], v[8:9], off th:TH_LOAD_NT
	v_add_nc_u32_e32 v14, 1, v14
	s_mov_b32 s1, -1
	s_mov_b32 s12, -1
	s_mov_b32 s13, exec_lo
	s_wait_xcnt 0x0
	v_cmpx_eq_u32_e32 0xf4240, v14
	s_cbranch_execz .LBB1_1926
; %bb.1925:                             ;   in Loop: Header=BB1_1924 Depth=2
	s_wait_loadcnt 0x0
	s_wait_storecnt 0x0
	global_load_b32 v0, v2, s[10:11] scope:SCOPE_SYS
	s_wait_loadcnt 0x0
	global_inv scope:SCOPE_SYS
	v_mov_b32_e32 v14, 0
	v_cmp_eq_u32_e64 s0, 0, v0
	s_or_not1_b32 s12, s0, exec_lo
.LBB1_1926:                             ;   in Loop: Header=BB1_1924 Depth=2
	s_wait_xcnt 0x0
	s_or_b32 exec_lo, exec_lo, s13
	s_and_saveexec_b32 s13, s12
	s_cbranch_execz .LBB1_1928
; %bb.1927:                             ;   in Loop: Header=BB1_1924 Depth=2
	s_wait_loadcnt 0x0
	v_cmp_eq_u32_e64 s0, s14, v5
	v_cmp_eq_u32_e64 s1, s14, v7
	s_and_b32 s0, s0, s1
	s_delay_alu instid0(SALU_CYCLE_1)
	s_or_not1_b32 s1, s0, exec_lo
.LBB1_1928:                             ;   in Loop: Header=BB1_1924 Depth=2
	s_or_b32 exec_lo, exec_lo, s13
	s_delay_alu instid0(SALU_CYCLE_1) | instskip(NEXT) | instid1(SALU_CYCLE_1)
	s_and_b32 s0, exec_lo, s1
	s_or_b32 s7, s0, s7
	s_delay_alu instid0(SALU_CYCLE_1)
	s_and_not1_b32 exec_lo, exec_lo, s7
	s_cbranch_execnz .LBB1_1924
; %bb.1929:                             ;   in Loop: Header=BB1_1924 Depth=2
	s_or_b32 exec_lo, exec_lo, s7
	s_wait_loadcnt 0x0
	v_dual_mov_b32 v5, v6 :: v_dual_mov_b32 v14, 0
	s_mov_b32 s7, 0
	s_delay_alu instid0(VALU_DEP_1) | instskip(SKIP_1) | instid1(SALU_CYCLE_1)
	v_cmp_eq_u64_e64 s0, s[14:15], v[4:5]
	s_or_b32 s16, s0, s16
	s_and_not1_b32 exec_lo, exec_lo, s16
	s_cbranch_execnz .LBB1_1924
; %bb.1930:                             ;   in Loop: Header=BB1_1755 Depth=1
	s_or_b32 exec_lo, exec_lo, s16
	s_add_co_i32 s12, s6, 25
	v_lshl_add_u64 v[4:5], s[4:5], 4, v[12:13]
	s_mul_hi_u32 s0, s12, 0x10624dd3
	s_mov_b32 s16, 0
	s_lshr_b32 s0, s0, 6
	s_mov_b32 s17, s14
	s_mul_i32 s4, s0, 0x3e8
	s_mov_b32 s19, s5
	s_sub_co_i32 s4, s12, s4
	s_or_b64 s[0:1], s[16:17], s[14:15]
	s_lshl_b32 s18, s4, 12
	v_dual_mov_b32 v0, s0 :: v_dual_mov_b32 v1, s1
	v_add_nc_u64_e32 v[8:9], s[18:19], v[10:11]
	v_dual_mov_b32 v3, s14 :: v_dual_mov_b32 v14, 0
	s_lshl_b32 s4, s4, 8
	s_mov_b32 s13, s5
	s_mov_b32 s7, s16
	global_store_b128 v[4:5], v[0:3], off th:TH_STORE_NT
.LBB1_1931:                             ;   Parent Loop BB1_1755 Depth=1
                                        ; =>  This Inner Loop Header: Depth=2
	s_wait_loadcnt 0x0
	global_load_b128 v[4:7], v[8:9], off th:TH_LOAD_NT
	v_add_nc_u32_e32 v14, 1, v14
	s_mov_b32 s1, -1
	s_mov_b32 s14, -1
	s_mov_b32 s15, exec_lo
	s_wait_xcnt 0x0
	v_cmpx_eq_u32_e32 0xf4240, v14
	s_cbranch_execz .LBB1_1933
; %bb.1932:                             ;   in Loop: Header=BB1_1931 Depth=2
	s_wait_loadcnt 0x0
	s_wait_storecnt 0x0
	global_load_b32 v0, v2, s[10:11] scope:SCOPE_SYS
	s_wait_loadcnt 0x0
	global_inv scope:SCOPE_SYS
	v_mov_b32_e32 v14, 0
	v_cmp_eq_u32_e64 s0, 0, v0
	s_or_not1_b32 s14, s0, exec_lo
.LBB1_1933:                             ;   in Loop: Header=BB1_1931 Depth=2
	s_wait_xcnt 0x0
	s_or_b32 exec_lo, exec_lo, s15
	s_and_saveexec_b32 s15, s14
	s_cbranch_execz .LBB1_1935
; %bb.1934:                             ;   in Loop: Header=BB1_1931 Depth=2
	s_wait_loadcnt 0x0
	v_cmp_eq_u32_e64 s0, s12, v5
	v_cmp_eq_u32_e64 s1, s12, v7
	s_and_b32 s0, s0, s1
	s_delay_alu instid0(SALU_CYCLE_1)
	s_or_not1_b32 s1, s0, exec_lo
.LBB1_1935:                             ;   in Loop: Header=BB1_1931 Depth=2
	s_or_b32 exec_lo, exec_lo, s15
	s_delay_alu instid0(SALU_CYCLE_1) | instskip(NEXT) | instid1(SALU_CYCLE_1)
	s_and_b32 s0, exec_lo, s1
	s_or_b32 s7, s0, s7
	s_delay_alu instid0(SALU_CYCLE_1)
	s_and_not1_b32 exec_lo, exec_lo, s7
	s_cbranch_execnz .LBB1_1931
; %bb.1936:                             ;   in Loop: Header=BB1_1931 Depth=2
	s_or_b32 exec_lo, exec_lo, s7
	s_wait_loadcnt 0x0
	v_dual_mov_b32 v5, v6 :: v_dual_mov_b32 v14, 0
	s_mov_b32 s7, 0
	s_delay_alu instid0(VALU_DEP_1) | instskip(SKIP_1) | instid1(SALU_CYCLE_1)
	v_cmp_eq_u64_e64 s0, s[12:13], v[4:5]
	s_or_b32 s16, s0, s16
	s_and_not1_b32 exec_lo, exec_lo, s16
	s_cbranch_execnz .LBB1_1931
; %bb.1937:                             ;   in Loop: Header=BB1_1755 Depth=1
	s_or_b32 exec_lo, exec_lo, s16
	s_add_co_i32 s14, s6, 26
	v_lshl_add_u64 v[4:5], s[4:5], 4, v[12:13]
	s_mul_hi_u32 s0, s14, 0x10624dd3
	s_mov_b32 s16, 0
	s_lshr_b32 s0, s0, 6
	s_mov_b32 s17, s12
	s_mul_i32 s4, s0, 0x3e8
	s_mov_b32 s19, s5
	s_sub_co_i32 s4, s14, s4
	s_or_b64 s[0:1], s[16:17], s[12:13]
	s_lshl_b32 s18, s4, 12
	v_dual_mov_b32 v0, s0 :: v_dual_mov_b32 v1, s1
	v_add_nc_u64_e32 v[8:9], s[18:19], v[10:11]
	v_dual_mov_b32 v3, s12 :: v_dual_mov_b32 v14, 0
	s_lshl_b32 s4, s4, 8
	s_mov_b32 s15, s5
	s_mov_b32 s7, s16
	global_store_b128 v[4:5], v[0:3], off th:TH_STORE_NT
.LBB1_1938:                             ;   Parent Loop BB1_1755 Depth=1
                                        ; =>  This Inner Loop Header: Depth=2
	s_wait_loadcnt 0x0
	global_load_b128 v[4:7], v[8:9], off th:TH_LOAD_NT
	v_add_nc_u32_e32 v14, 1, v14
	s_mov_b32 s1, -1
	s_mov_b32 s12, -1
	s_mov_b32 s13, exec_lo
	s_wait_xcnt 0x0
	v_cmpx_eq_u32_e32 0xf4240, v14
	s_cbranch_execz .LBB1_1940
; %bb.1939:                             ;   in Loop: Header=BB1_1938 Depth=2
	s_wait_loadcnt 0x0
	s_wait_storecnt 0x0
	global_load_b32 v0, v2, s[10:11] scope:SCOPE_SYS
	s_wait_loadcnt 0x0
	global_inv scope:SCOPE_SYS
	v_mov_b32_e32 v14, 0
	v_cmp_eq_u32_e64 s0, 0, v0
	s_or_not1_b32 s12, s0, exec_lo
.LBB1_1940:                             ;   in Loop: Header=BB1_1938 Depth=2
	s_wait_xcnt 0x0
	s_or_b32 exec_lo, exec_lo, s13
	s_and_saveexec_b32 s13, s12
	s_cbranch_execz .LBB1_1942
; %bb.1941:                             ;   in Loop: Header=BB1_1938 Depth=2
	s_wait_loadcnt 0x0
	v_cmp_eq_u32_e64 s0, s14, v5
	v_cmp_eq_u32_e64 s1, s14, v7
	s_and_b32 s0, s0, s1
	s_delay_alu instid0(SALU_CYCLE_1)
	s_or_not1_b32 s1, s0, exec_lo
.LBB1_1942:                             ;   in Loop: Header=BB1_1938 Depth=2
	s_or_b32 exec_lo, exec_lo, s13
	s_delay_alu instid0(SALU_CYCLE_1) | instskip(NEXT) | instid1(SALU_CYCLE_1)
	s_and_b32 s0, exec_lo, s1
	s_or_b32 s7, s0, s7
	s_delay_alu instid0(SALU_CYCLE_1)
	s_and_not1_b32 exec_lo, exec_lo, s7
	s_cbranch_execnz .LBB1_1938
; %bb.1943:                             ;   in Loop: Header=BB1_1938 Depth=2
	s_or_b32 exec_lo, exec_lo, s7
	s_wait_loadcnt 0x0
	v_dual_mov_b32 v5, v6 :: v_dual_mov_b32 v14, 0
	s_mov_b32 s7, 0
	s_delay_alu instid0(VALU_DEP_1) | instskip(SKIP_1) | instid1(SALU_CYCLE_1)
	v_cmp_eq_u64_e64 s0, s[14:15], v[4:5]
	s_or_b32 s16, s0, s16
	s_and_not1_b32 exec_lo, exec_lo, s16
	s_cbranch_execnz .LBB1_1938
; %bb.1944:                             ;   in Loop: Header=BB1_1755 Depth=1
	s_or_b32 exec_lo, exec_lo, s16
	s_add_co_i32 s12, s6, 27
	v_lshl_add_u64 v[4:5], s[4:5], 4, v[12:13]
	s_mul_hi_u32 s0, s12, 0x10624dd3
	s_mov_b32 s16, 0
	s_lshr_b32 s0, s0, 6
	s_mov_b32 s17, s14
	s_mul_i32 s4, s0, 0x3e8
	s_mov_b32 s19, s5
	s_sub_co_i32 s4, s12, s4
	s_or_b64 s[0:1], s[16:17], s[14:15]
	s_lshl_b32 s18, s4, 12
	v_dual_mov_b32 v0, s0 :: v_dual_mov_b32 v1, s1
	v_add_nc_u64_e32 v[8:9], s[18:19], v[10:11]
	v_dual_mov_b32 v3, s14 :: v_dual_mov_b32 v14, 0
	s_lshl_b32 s4, s4, 8
	s_mov_b32 s13, s5
	s_mov_b32 s7, s16
	global_store_b128 v[4:5], v[0:3], off th:TH_STORE_NT
.LBB1_1945:                             ;   Parent Loop BB1_1755 Depth=1
                                        ; =>  This Inner Loop Header: Depth=2
	s_wait_loadcnt 0x0
	global_load_b128 v[4:7], v[8:9], off th:TH_LOAD_NT
	v_add_nc_u32_e32 v14, 1, v14
	s_mov_b32 s1, -1
	s_mov_b32 s14, -1
	s_mov_b32 s15, exec_lo
	s_wait_xcnt 0x0
	v_cmpx_eq_u32_e32 0xf4240, v14
	s_cbranch_execz .LBB1_1947
; %bb.1946:                             ;   in Loop: Header=BB1_1945 Depth=2
	s_wait_loadcnt 0x0
	s_wait_storecnt 0x0
	global_load_b32 v0, v2, s[10:11] scope:SCOPE_SYS
	s_wait_loadcnt 0x0
	global_inv scope:SCOPE_SYS
	v_mov_b32_e32 v14, 0
	v_cmp_eq_u32_e64 s0, 0, v0
	s_or_not1_b32 s14, s0, exec_lo
.LBB1_1947:                             ;   in Loop: Header=BB1_1945 Depth=2
	s_wait_xcnt 0x0
	s_or_b32 exec_lo, exec_lo, s15
	s_and_saveexec_b32 s15, s14
	s_cbranch_execz .LBB1_1949
; %bb.1948:                             ;   in Loop: Header=BB1_1945 Depth=2
	s_wait_loadcnt 0x0
	v_cmp_eq_u32_e64 s0, s12, v5
	v_cmp_eq_u32_e64 s1, s12, v7
	s_and_b32 s0, s0, s1
	s_delay_alu instid0(SALU_CYCLE_1)
	s_or_not1_b32 s1, s0, exec_lo
.LBB1_1949:                             ;   in Loop: Header=BB1_1945 Depth=2
	s_or_b32 exec_lo, exec_lo, s15
	s_delay_alu instid0(SALU_CYCLE_1) | instskip(NEXT) | instid1(SALU_CYCLE_1)
	s_and_b32 s0, exec_lo, s1
	s_or_b32 s7, s0, s7
	s_delay_alu instid0(SALU_CYCLE_1)
	s_and_not1_b32 exec_lo, exec_lo, s7
	s_cbranch_execnz .LBB1_1945
; %bb.1950:                             ;   in Loop: Header=BB1_1945 Depth=2
	s_or_b32 exec_lo, exec_lo, s7
	s_wait_loadcnt 0x0
	v_dual_mov_b32 v5, v6 :: v_dual_mov_b32 v14, 0
	s_mov_b32 s7, 0
	s_delay_alu instid0(VALU_DEP_1) | instskip(SKIP_1) | instid1(SALU_CYCLE_1)
	v_cmp_eq_u64_e64 s0, s[12:13], v[4:5]
	s_or_b32 s16, s0, s16
	s_and_not1_b32 exec_lo, exec_lo, s16
	s_cbranch_execnz .LBB1_1945
; %bb.1951:                             ;   in Loop: Header=BB1_1755 Depth=1
	s_or_b32 exec_lo, exec_lo, s16
	s_add_co_i32 s14, s6, 28
	v_lshl_add_u64 v[4:5], s[4:5], 4, v[12:13]
	s_mul_hi_u32 s0, s14, 0x10624dd3
	s_mov_b32 s16, 0
	s_lshr_b32 s0, s0, 6
	s_mov_b32 s17, s12
	s_mul_i32 s4, s0, 0x3e8
	s_mov_b32 s19, s5
	s_sub_co_i32 s4, s14, s4
	s_or_b64 s[0:1], s[16:17], s[12:13]
	s_lshl_b32 s18, s4, 12
	v_dual_mov_b32 v0, s0 :: v_dual_mov_b32 v1, s1
	v_add_nc_u64_e32 v[8:9], s[18:19], v[10:11]
	v_dual_mov_b32 v3, s12 :: v_dual_mov_b32 v14, 0
	s_lshl_b32 s4, s4, 8
	s_mov_b32 s15, s5
	s_mov_b32 s7, s16
	global_store_b128 v[4:5], v[0:3], off th:TH_STORE_NT
.LBB1_1952:                             ;   Parent Loop BB1_1755 Depth=1
                                        ; =>  This Inner Loop Header: Depth=2
	s_wait_loadcnt 0x0
	global_load_b128 v[4:7], v[8:9], off th:TH_LOAD_NT
	v_add_nc_u32_e32 v14, 1, v14
	s_mov_b32 s1, -1
	s_mov_b32 s12, -1
	s_mov_b32 s13, exec_lo
	s_wait_xcnt 0x0
	v_cmpx_eq_u32_e32 0xf4240, v14
	s_cbranch_execz .LBB1_1954
; %bb.1953:                             ;   in Loop: Header=BB1_1952 Depth=2
	s_wait_loadcnt 0x0
	s_wait_storecnt 0x0
	global_load_b32 v0, v2, s[10:11] scope:SCOPE_SYS
	s_wait_loadcnt 0x0
	global_inv scope:SCOPE_SYS
	v_mov_b32_e32 v14, 0
	v_cmp_eq_u32_e64 s0, 0, v0
	s_or_not1_b32 s12, s0, exec_lo
.LBB1_1954:                             ;   in Loop: Header=BB1_1952 Depth=2
	s_wait_xcnt 0x0
	s_or_b32 exec_lo, exec_lo, s13
	s_and_saveexec_b32 s13, s12
	s_cbranch_execz .LBB1_1956
; %bb.1955:                             ;   in Loop: Header=BB1_1952 Depth=2
	s_wait_loadcnt 0x0
	v_cmp_eq_u32_e64 s0, s14, v5
	v_cmp_eq_u32_e64 s1, s14, v7
	s_and_b32 s0, s0, s1
	s_delay_alu instid0(SALU_CYCLE_1)
	s_or_not1_b32 s1, s0, exec_lo
.LBB1_1956:                             ;   in Loop: Header=BB1_1952 Depth=2
	s_or_b32 exec_lo, exec_lo, s13
	s_delay_alu instid0(SALU_CYCLE_1) | instskip(NEXT) | instid1(SALU_CYCLE_1)
	s_and_b32 s0, exec_lo, s1
	s_or_b32 s7, s0, s7
	s_delay_alu instid0(SALU_CYCLE_1)
	s_and_not1_b32 exec_lo, exec_lo, s7
	s_cbranch_execnz .LBB1_1952
; %bb.1957:                             ;   in Loop: Header=BB1_1952 Depth=2
	s_or_b32 exec_lo, exec_lo, s7
	s_wait_loadcnt 0x0
	v_dual_mov_b32 v5, v6 :: v_dual_mov_b32 v14, 0
	s_mov_b32 s7, 0
	s_delay_alu instid0(VALU_DEP_1) | instskip(SKIP_1) | instid1(SALU_CYCLE_1)
	v_cmp_eq_u64_e64 s0, s[14:15], v[4:5]
	s_or_b32 s16, s0, s16
	s_and_not1_b32 exec_lo, exec_lo, s16
	s_cbranch_execnz .LBB1_1952
; %bb.1958:                             ;   in Loop: Header=BB1_1755 Depth=1
	s_or_b32 exec_lo, exec_lo, s16
	s_add_co_i32 s12, s6, 29
	v_lshl_add_u64 v[4:5], s[4:5], 4, v[12:13]
	s_mul_hi_u32 s0, s12, 0x10624dd3
	s_mov_b32 s16, 0
	s_lshr_b32 s0, s0, 6
	s_mov_b32 s17, s14
	s_mul_i32 s4, s0, 0x3e8
	s_mov_b32 s19, s5
	s_sub_co_i32 s4, s12, s4
	s_or_b64 s[0:1], s[16:17], s[14:15]
	s_lshl_b32 s18, s4, 12
	v_dual_mov_b32 v0, s0 :: v_dual_mov_b32 v1, s1
	v_add_nc_u64_e32 v[8:9], s[18:19], v[10:11]
	v_dual_mov_b32 v3, s14 :: v_dual_mov_b32 v14, 0
	s_lshl_b32 s4, s4, 8
	s_mov_b32 s13, s5
	s_mov_b32 s7, s16
	global_store_b128 v[4:5], v[0:3], off th:TH_STORE_NT
.LBB1_1959:                             ;   Parent Loop BB1_1755 Depth=1
                                        ; =>  This Inner Loop Header: Depth=2
	s_wait_loadcnt 0x0
	global_load_b128 v[4:7], v[8:9], off th:TH_LOAD_NT
	v_add_nc_u32_e32 v14, 1, v14
	s_mov_b32 s1, -1
	s_mov_b32 s14, -1
	s_mov_b32 s15, exec_lo
	s_wait_xcnt 0x0
	v_cmpx_eq_u32_e32 0xf4240, v14
	s_cbranch_execz .LBB1_1961
; %bb.1960:                             ;   in Loop: Header=BB1_1959 Depth=2
	s_wait_loadcnt 0x0
	s_wait_storecnt 0x0
	global_load_b32 v0, v2, s[10:11] scope:SCOPE_SYS
	s_wait_loadcnt 0x0
	global_inv scope:SCOPE_SYS
	v_mov_b32_e32 v14, 0
	v_cmp_eq_u32_e64 s0, 0, v0
	s_or_not1_b32 s14, s0, exec_lo
.LBB1_1961:                             ;   in Loop: Header=BB1_1959 Depth=2
	s_wait_xcnt 0x0
	s_or_b32 exec_lo, exec_lo, s15
	s_and_saveexec_b32 s15, s14
	s_cbranch_execz .LBB1_1963
; %bb.1962:                             ;   in Loop: Header=BB1_1959 Depth=2
	s_wait_loadcnt 0x0
	v_cmp_eq_u32_e64 s0, s12, v5
	v_cmp_eq_u32_e64 s1, s12, v7
	s_and_b32 s0, s0, s1
	s_delay_alu instid0(SALU_CYCLE_1)
	s_or_not1_b32 s1, s0, exec_lo
.LBB1_1963:                             ;   in Loop: Header=BB1_1959 Depth=2
	s_or_b32 exec_lo, exec_lo, s15
	s_delay_alu instid0(SALU_CYCLE_1) | instskip(NEXT) | instid1(SALU_CYCLE_1)
	s_and_b32 s0, exec_lo, s1
	s_or_b32 s7, s0, s7
	s_delay_alu instid0(SALU_CYCLE_1)
	s_and_not1_b32 exec_lo, exec_lo, s7
	s_cbranch_execnz .LBB1_1959
; %bb.1964:                             ;   in Loop: Header=BB1_1959 Depth=2
	s_or_b32 exec_lo, exec_lo, s7
	s_wait_loadcnt 0x0
	v_dual_mov_b32 v5, v6 :: v_dual_mov_b32 v14, 0
	s_mov_b32 s7, 0
	s_delay_alu instid0(VALU_DEP_1) | instskip(SKIP_1) | instid1(SALU_CYCLE_1)
	v_cmp_eq_u64_e64 s0, s[12:13], v[4:5]
	s_or_b32 s16, s0, s16
	s_and_not1_b32 exec_lo, exec_lo, s16
	s_cbranch_execnz .LBB1_1959
; %bb.1965:                             ;   in Loop: Header=BB1_1755 Depth=1
	s_or_b32 exec_lo, exec_lo, s16
	s_add_co_i32 s14, s6, 30
	v_lshl_add_u64 v[4:5], s[4:5], 4, v[12:13]
	s_mul_hi_u32 s0, s14, 0x10624dd3
	s_mov_b32 s16, 0
	s_lshr_b32 s0, s0, 6
	s_mov_b32 s17, s12
	s_mul_i32 s4, s0, 0x3e8
	s_mov_b32 s19, s5
	s_sub_co_i32 s4, s14, s4
	s_or_b64 s[0:1], s[16:17], s[12:13]
	s_lshl_b32 s18, s4, 12
	v_dual_mov_b32 v0, s0 :: v_dual_mov_b32 v1, s1
	v_add_nc_u64_e32 v[8:9], s[18:19], v[10:11]
	v_dual_mov_b32 v3, s12 :: v_dual_mov_b32 v14, 0
	s_lshl_b32 s4, s4, 8
	s_mov_b32 s15, s5
	s_mov_b32 s7, s16
	global_store_b128 v[4:5], v[0:3], off th:TH_STORE_NT
.LBB1_1966:                             ;   Parent Loop BB1_1755 Depth=1
                                        ; =>  This Inner Loop Header: Depth=2
	s_wait_loadcnt 0x0
	global_load_b128 v[4:7], v[8:9], off th:TH_LOAD_NT
	v_add_nc_u32_e32 v14, 1, v14
	s_mov_b32 s1, -1
	s_mov_b32 s12, -1
	s_mov_b32 s13, exec_lo
	s_wait_xcnt 0x0
	v_cmpx_eq_u32_e32 0xf4240, v14
	s_cbranch_execz .LBB1_1968
; %bb.1967:                             ;   in Loop: Header=BB1_1966 Depth=2
	s_wait_loadcnt 0x0
	s_wait_storecnt 0x0
	global_load_b32 v0, v2, s[10:11] scope:SCOPE_SYS
	s_wait_loadcnt 0x0
	global_inv scope:SCOPE_SYS
	v_mov_b32_e32 v14, 0
	v_cmp_eq_u32_e64 s0, 0, v0
	s_or_not1_b32 s12, s0, exec_lo
.LBB1_1968:                             ;   in Loop: Header=BB1_1966 Depth=2
	s_wait_xcnt 0x0
	s_or_b32 exec_lo, exec_lo, s13
	s_and_saveexec_b32 s13, s12
	s_cbranch_execz .LBB1_1970
; %bb.1969:                             ;   in Loop: Header=BB1_1966 Depth=2
	s_wait_loadcnt 0x0
	v_cmp_eq_u32_e64 s0, s14, v5
	v_cmp_eq_u32_e64 s1, s14, v7
	s_and_b32 s0, s0, s1
	s_delay_alu instid0(SALU_CYCLE_1)
	s_or_not1_b32 s1, s0, exec_lo
.LBB1_1970:                             ;   in Loop: Header=BB1_1966 Depth=2
	s_or_b32 exec_lo, exec_lo, s13
	s_delay_alu instid0(SALU_CYCLE_1) | instskip(NEXT) | instid1(SALU_CYCLE_1)
	s_and_b32 s0, exec_lo, s1
	s_or_b32 s7, s0, s7
	s_delay_alu instid0(SALU_CYCLE_1)
	s_and_not1_b32 exec_lo, exec_lo, s7
	s_cbranch_execnz .LBB1_1966
; %bb.1971:                             ;   in Loop: Header=BB1_1966 Depth=2
	s_or_b32 exec_lo, exec_lo, s7
	s_wait_loadcnt 0x0
	v_dual_mov_b32 v5, v6 :: v_dual_mov_b32 v14, 0
	s_mov_b32 s7, 0
	s_delay_alu instid0(VALU_DEP_1) | instskip(SKIP_1) | instid1(SALU_CYCLE_1)
	v_cmp_eq_u64_e64 s0, s[14:15], v[4:5]
	s_or_b32 s16, s0, s16
	s_and_not1_b32 exec_lo, exec_lo, s16
	s_cbranch_execnz .LBB1_1966
; %bb.1972:                             ;   in Loop: Header=BB1_1755 Depth=1
	s_or_b32 exec_lo, exec_lo, s16
	s_add_co_i32 s12, s6, 31
	v_lshl_add_u64 v[4:5], s[4:5], 4, v[12:13]
	s_mul_hi_u32 s0, s12, 0x10624dd3
	s_mov_b32 s16, 0
	s_lshr_b32 s0, s0, 6
	s_mov_b32 s17, s14
	s_mul_i32 s4, s0, 0x3e8
	s_mov_b32 s19, s5
	s_sub_co_i32 s4, s12, s4
	s_or_b64 s[0:1], s[16:17], s[14:15]
	s_lshl_b32 s18, s4, 12
	v_dual_mov_b32 v0, s0 :: v_dual_mov_b32 v1, s1
	v_add_nc_u64_e32 v[8:9], s[18:19], v[10:11]
	v_dual_mov_b32 v3, s14 :: v_dual_mov_b32 v14, 0
	s_lshl_b32 s4, s4, 8
	s_mov_b32 s13, s5
	s_mov_b32 s7, s16
	global_store_b128 v[4:5], v[0:3], off th:TH_STORE_NT
.LBB1_1973:                             ;   Parent Loop BB1_1755 Depth=1
                                        ; =>  This Inner Loop Header: Depth=2
	s_wait_loadcnt 0x0
	global_load_b128 v[4:7], v[8:9], off th:TH_LOAD_NT
	v_add_nc_u32_e32 v14, 1, v14
	s_mov_b32 s1, -1
	s_mov_b32 s14, -1
	s_mov_b32 s15, exec_lo
	s_wait_xcnt 0x0
	v_cmpx_eq_u32_e32 0xf4240, v14
	s_cbranch_execz .LBB1_1975
; %bb.1974:                             ;   in Loop: Header=BB1_1973 Depth=2
	s_wait_loadcnt 0x0
	s_wait_storecnt 0x0
	global_load_b32 v0, v2, s[10:11] scope:SCOPE_SYS
	s_wait_loadcnt 0x0
	global_inv scope:SCOPE_SYS
	v_mov_b32_e32 v14, 0
	v_cmp_eq_u32_e64 s0, 0, v0
	s_or_not1_b32 s14, s0, exec_lo
.LBB1_1975:                             ;   in Loop: Header=BB1_1973 Depth=2
	s_wait_xcnt 0x0
	s_or_b32 exec_lo, exec_lo, s15
	s_and_saveexec_b32 s15, s14
	s_cbranch_execz .LBB1_1977
; %bb.1976:                             ;   in Loop: Header=BB1_1973 Depth=2
	s_wait_loadcnt 0x0
	v_cmp_eq_u32_e64 s0, s12, v5
	v_cmp_eq_u32_e64 s1, s12, v7
	s_and_b32 s0, s0, s1
	s_delay_alu instid0(SALU_CYCLE_1)
	s_or_not1_b32 s1, s0, exec_lo
.LBB1_1977:                             ;   in Loop: Header=BB1_1973 Depth=2
	s_or_b32 exec_lo, exec_lo, s15
	s_delay_alu instid0(SALU_CYCLE_1) | instskip(NEXT) | instid1(SALU_CYCLE_1)
	s_and_b32 s0, exec_lo, s1
	s_or_b32 s7, s0, s7
	s_delay_alu instid0(SALU_CYCLE_1)
	s_and_not1_b32 exec_lo, exec_lo, s7
	s_cbranch_execnz .LBB1_1973
; %bb.1978:                             ;   in Loop: Header=BB1_1973 Depth=2
	s_or_b32 exec_lo, exec_lo, s7
	s_wait_loadcnt 0x0
	v_dual_mov_b32 v5, v6 :: v_dual_mov_b32 v14, 0
	s_mov_b32 s7, 0
	s_delay_alu instid0(VALU_DEP_1) | instskip(SKIP_1) | instid1(SALU_CYCLE_1)
	v_cmp_eq_u64_e64 s0, s[12:13], v[4:5]
	s_or_b32 s16, s0, s16
	s_and_not1_b32 exec_lo, exec_lo, s16
	s_cbranch_execnz .LBB1_1973
; %bb.1979:                             ;   in Loop: Header=BB1_1755 Depth=1
	s_or_b32 exec_lo, exec_lo, s16
	s_add_co_i32 s14, s6, 32
	v_lshl_add_u64 v[4:5], s[4:5], 4, v[12:13]
	s_mul_hi_u32 s0, s14, 0x10624dd3
	s_mov_b32 s16, 0
	s_lshr_b32 s0, s0, 6
	s_mov_b32 s17, s12
	s_mul_i32 s4, s0, 0x3e8
	s_mov_b32 s19, s5
	s_sub_co_i32 s4, s14, s4
	s_or_b64 s[0:1], s[16:17], s[12:13]
	s_lshl_b32 s18, s4, 12
	v_dual_mov_b32 v0, s0 :: v_dual_mov_b32 v1, s1
	v_add_nc_u64_e32 v[8:9], s[18:19], v[10:11]
	v_dual_mov_b32 v3, s12 :: v_dual_mov_b32 v14, 0
	s_lshl_b32 s4, s4, 8
	s_mov_b32 s15, s5
	s_mov_b32 s7, s16
	global_store_b128 v[4:5], v[0:3], off th:TH_STORE_NT
.LBB1_1980:                             ;   Parent Loop BB1_1755 Depth=1
                                        ; =>  This Inner Loop Header: Depth=2
	s_wait_loadcnt 0x0
	global_load_b128 v[4:7], v[8:9], off th:TH_LOAD_NT
	v_add_nc_u32_e32 v14, 1, v14
	s_mov_b32 s1, -1
	s_mov_b32 s12, -1
	s_mov_b32 s13, exec_lo
	s_wait_xcnt 0x0
	v_cmpx_eq_u32_e32 0xf4240, v14
	s_cbranch_execz .LBB1_1982
; %bb.1981:                             ;   in Loop: Header=BB1_1980 Depth=2
	s_wait_loadcnt 0x0
	s_wait_storecnt 0x0
	global_load_b32 v0, v2, s[10:11] scope:SCOPE_SYS
	s_wait_loadcnt 0x0
	global_inv scope:SCOPE_SYS
	v_mov_b32_e32 v14, 0
	v_cmp_eq_u32_e64 s0, 0, v0
	s_or_not1_b32 s12, s0, exec_lo
.LBB1_1982:                             ;   in Loop: Header=BB1_1980 Depth=2
	s_wait_xcnt 0x0
	s_or_b32 exec_lo, exec_lo, s13
	s_and_saveexec_b32 s13, s12
	s_cbranch_execz .LBB1_1984
; %bb.1983:                             ;   in Loop: Header=BB1_1980 Depth=2
	s_wait_loadcnt 0x0
	v_cmp_eq_u32_e64 s0, s14, v5
	v_cmp_eq_u32_e64 s1, s14, v7
	s_and_b32 s0, s0, s1
	s_delay_alu instid0(SALU_CYCLE_1)
	s_or_not1_b32 s1, s0, exec_lo
.LBB1_1984:                             ;   in Loop: Header=BB1_1980 Depth=2
	s_or_b32 exec_lo, exec_lo, s13
	s_delay_alu instid0(SALU_CYCLE_1) | instskip(NEXT) | instid1(SALU_CYCLE_1)
	s_and_b32 s0, exec_lo, s1
	s_or_b32 s7, s0, s7
	s_delay_alu instid0(SALU_CYCLE_1)
	s_and_not1_b32 exec_lo, exec_lo, s7
	s_cbranch_execnz .LBB1_1980
; %bb.1985:                             ;   in Loop: Header=BB1_1980 Depth=2
	s_or_b32 exec_lo, exec_lo, s7
	s_wait_loadcnt 0x0
	v_dual_mov_b32 v5, v6 :: v_dual_mov_b32 v14, 0
	s_mov_b32 s7, 0
	s_delay_alu instid0(VALU_DEP_1) | instskip(SKIP_1) | instid1(SALU_CYCLE_1)
	v_cmp_eq_u64_e64 s0, s[14:15], v[4:5]
	s_or_b32 s16, s0, s16
	s_and_not1_b32 exec_lo, exec_lo, s16
	s_cbranch_execnz .LBB1_1980
; %bb.1986:                             ;   in Loop: Header=BB1_1755 Depth=1
	s_or_b32 exec_lo, exec_lo, s16
	s_add_co_i32 s12, s6, 33
	v_lshl_add_u64 v[4:5], s[4:5], 4, v[12:13]
	s_mul_hi_u32 s0, s12, 0x10624dd3
	s_mov_b32 s16, 0
	s_lshr_b32 s0, s0, 6
	s_mov_b32 s17, s14
	s_mul_i32 s4, s0, 0x3e8
	s_mov_b32 s19, s5
	s_sub_co_i32 s4, s12, s4
	s_or_b64 s[0:1], s[16:17], s[14:15]
	s_lshl_b32 s18, s4, 12
	v_dual_mov_b32 v0, s0 :: v_dual_mov_b32 v1, s1
	v_add_nc_u64_e32 v[8:9], s[18:19], v[10:11]
	v_dual_mov_b32 v3, s14 :: v_dual_mov_b32 v14, 0
	s_lshl_b32 s4, s4, 8
	s_mov_b32 s13, s5
	s_mov_b32 s7, s16
	global_store_b128 v[4:5], v[0:3], off th:TH_STORE_NT
.LBB1_1987:                             ;   Parent Loop BB1_1755 Depth=1
                                        ; =>  This Inner Loop Header: Depth=2
	s_wait_loadcnt 0x0
	global_load_b128 v[4:7], v[8:9], off th:TH_LOAD_NT
	v_add_nc_u32_e32 v14, 1, v14
	s_mov_b32 s1, -1
	s_mov_b32 s14, -1
	s_mov_b32 s15, exec_lo
	s_wait_xcnt 0x0
	v_cmpx_eq_u32_e32 0xf4240, v14
	s_cbranch_execz .LBB1_1989
; %bb.1988:                             ;   in Loop: Header=BB1_1987 Depth=2
	s_wait_loadcnt 0x0
	s_wait_storecnt 0x0
	global_load_b32 v0, v2, s[10:11] scope:SCOPE_SYS
	s_wait_loadcnt 0x0
	global_inv scope:SCOPE_SYS
	v_mov_b32_e32 v14, 0
	v_cmp_eq_u32_e64 s0, 0, v0
	s_or_not1_b32 s14, s0, exec_lo
.LBB1_1989:                             ;   in Loop: Header=BB1_1987 Depth=2
	s_wait_xcnt 0x0
	s_or_b32 exec_lo, exec_lo, s15
	s_and_saveexec_b32 s15, s14
	s_cbranch_execz .LBB1_1991
; %bb.1990:                             ;   in Loop: Header=BB1_1987 Depth=2
	s_wait_loadcnt 0x0
	v_cmp_eq_u32_e64 s0, s12, v5
	v_cmp_eq_u32_e64 s1, s12, v7
	s_and_b32 s0, s0, s1
	s_delay_alu instid0(SALU_CYCLE_1)
	s_or_not1_b32 s1, s0, exec_lo
.LBB1_1991:                             ;   in Loop: Header=BB1_1987 Depth=2
	s_or_b32 exec_lo, exec_lo, s15
	s_delay_alu instid0(SALU_CYCLE_1) | instskip(NEXT) | instid1(SALU_CYCLE_1)
	s_and_b32 s0, exec_lo, s1
	s_or_b32 s7, s0, s7
	s_delay_alu instid0(SALU_CYCLE_1)
	s_and_not1_b32 exec_lo, exec_lo, s7
	s_cbranch_execnz .LBB1_1987
; %bb.1992:                             ;   in Loop: Header=BB1_1987 Depth=2
	s_or_b32 exec_lo, exec_lo, s7
	s_wait_loadcnt 0x0
	v_dual_mov_b32 v5, v6 :: v_dual_mov_b32 v14, 0
	s_mov_b32 s7, 0
	s_delay_alu instid0(VALU_DEP_1) | instskip(SKIP_1) | instid1(SALU_CYCLE_1)
	v_cmp_eq_u64_e64 s0, s[12:13], v[4:5]
	s_or_b32 s16, s0, s16
	s_and_not1_b32 exec_lo, exec_lo, s16
	s_cbranch_execnz .LBB1_1987
; %bb.1993:                             ;   in Loop: Header=BB1_1755 Depth=1
	s_or_b32 exec_lo, exec_lo, s16
	s_add_co_i32 s14, s6, 34
	v_lshl_add_u64 v[4:5], s[4:5], 4, v[12:13]
	s_mul_hi_u32 s0, s14, 0x10624dd3
	s_mov_b32 s16, 0
	s_lshr_b32 s0, s0, 6
	s_mov_b32 s17, s12
	s_mul_i32 s4, s0, 0x3e8
	s_mov_b32 s19, s5
	s_sub_co_i32 s4, s14, s4
	s_or_b64 s[0:1], s[16:17], s[12:13]
	s_lshl_b32 s18, s4, 12
	v_dual_mov_b32 v0, s0 :: v_dual_mov_b32 v1, s1
	v_add_nc_u64_e32 v[8:9], s[18:19], v[10:11]
	v_dual_mov_b32 v3, s12 :: v_dual_mov_b32 v14, 0
	s_lshl_b32 s4, s4, 8
	s_mov_b32 s15, s5
	s_mov_b32 s7, s16
	global_store_b128 v[4:5], v[0:3], off th:TH_STORE_NT
.LBB1_1994:                             ;   Parent Loop BB1_1755 Depth=1
                                        ; =>  This Inner Loop Header: Depth=2
	s_wait_loadcnt 0x0
	global_load_b128 v[4:7], v[8:9], off th:TH_LOAD_NT
	v_add_nc_u32_e32 v14, 1, v14
	s_mov_b32 s1, -1
	s_mov_b32 s12, -1
	s_mov_b32 s13, exec_lo
	s_wait_xcnt 0x0
	v_cmpx_eq_u32_e32 0xf4240, v14
	s_cbranch_execz .LBB1_1996
; %bb.1995:                             ;   in Loop: Header=BB1_1994 Depth=2
	s_wait_loadcnt 0x0
	s_wait_storecnt 0x0
	global_load_b32 v0, v2, s[10:11] scope:SCOPE_SYS
	s_wait_loadcnt 0x0
	global_inv scope:SCOPE_SYS
	v_mov_b32_e32 v14, 0
	v_cmp_eq_u32_e64 s0, 0, v0
	s_or_not1_b32 s12, s0, exec_lo
.LBB1_1996:                             ;   in Loop: Header=BB1_1994 Depth=2
	s_wait_xcnt 0x0
	s_or_b32 exec_lo, exec_lo, s13
	s_and_saveexec_b32 s13, s12
	s_cbranch_execz .LBB1_1998
; %bb.1997:                             ;   in Loop: Header=BB1_1994 Depth=2
	s_wait_loadcnt 0x0
	v_cmp_eq_u32_e64 s0, s14, v5
	v_cmp_eq_u32_e64 s1, s14, v7
	s_and_b32 s0, s0, s1
	s_delay_alu instid0(SALU_CYCLE_1)
	s_or_not1_b32 s1, s0, exec_lo
.LBB1_1998:                             ;   in Loop: Header=BB1_1994 Depth=2
	s_or_b32 exec_lo, exec_lo, s13
	s_delay_alu instid0(SALU_CYCLE_1) | instskip(NEXT) | instid1(SALU_CYCLE_1)
	s_and_b32 s0, exec_lo, s1
	s_or_b32 s7, s0, s7
	s_delay_alu instid0(SALU_CYCLE_1)
	s_and_not1_b32 exec_lo, exec_lo, s7
	s_cbranch_execnz .LBB1_1994
; %bb.1999:                             ;   in Loop: Header=BB1_1994 Depth=2
	s_or_b32 exec_lo, exec_lo, s7
	s_wait_loadcnt 0x0
	v_dual_mov_b32 v5, v6 :: v_dual_mov_b32 v14, 0
	s_mov_b32 s7, 0
	s_delay_alu instid0(VALU_DEP_1) | instskip(SKIP_1) | instid1(SALU_CYCLE_1)
	v_cmp_eq_u64_e64 s0, s[14:15], v[4:5]
	s_or_b32 s16, s0, s16
	s_and_not1_b32 exec_lo, exec_lo, s16
	s_cbranch_execnz .LBB1_1994
; %bb.2000:                             ;   in Loop: Header=BB1_1755 Depth=1
	s_or_b32 exec_lo, exec_lo, s16
	s_add_co_i32 s12, s6, 35
	v_lshl_add_u64 v[4:5], s[4:5], 4, v[12:13]
	s_mul_hi_u32 s0, s12, 0x10624dd3
	s_mov_b32 s16, 0
	s_lshr_b32 s0, s0, 6
	s_mov_b32 s17, s14
	s_mul_i32 s4, s0, 0x3e8
	s_mov_b32 s19, s5
	s_sub_co_i32 s4, s12, s4
	s_or_b64 s[0:1], s[16:17], s[14:15]
	s_lshl_b32 s18, s4, 12
	v_dual_mov_b32 v0, s0 :: v_dual_mov_b32 v1, s1
	v_add_nc_u64_e32 v[8:9], s[18:19], v[10:11]
	v_dual_mov_b32 v3, s14 :: v_dual_mov_b32 v14, 0
	s_lshl_b32 s4, s4, 8
	s_mov_b32 s13, s5
	s_mov_b32 s7, s16
	global_store_b128 v[4:5], v[0:3], off th:TH_STORE_NT
.LBB1_2001:                             ;   Parent Loop BB1_1755 Depth=1
                                        ; =>  This Inner Loop Header: Depth=2
	s_wait_loadcnt 0x0
	global_load_b128 v[4:7], v[8:9], off th:TH_LOAD_NT
	v_add_nc_u32_e32 v14, 1, v14
	s_mov_b32 s1, -1
	s_mov_b32 s14, -1
	s_mov_b32 s15, exec_lo
	s_wait_xcnt 0x0
	v_cmpx_eq_u32_e32 0xf4240, v14
	s_cbranch_execz .LBB1_2003
; %bb.2002:                             ;   in Loop: Header=BB1_2001 Depth=2
	s_wait_loadcnt 0x0
	s_wait_storecnt 0x0
	global_load_b32 v0, v2, s[10:11] scope:SCOPE_SYS
	s_wait_loadcnt 0x0
	global_inv scope:SCOPE_SYS
	v_mov_b32_e32 v14, 0
	v_cmp_eq_u32_e64 s0, 0, v0
	s_or_not1_b32 s14, s0, exec_lo
.LBB1_2003:                             ;   in Loop: Header=BB1_2001 Depth=2
	s_wait_xcnt 0x0
	s_or_b32 exec_lo, exec_lo, s15
	s_and_saveexec_b32 s15, s14
	s_cbranch_execz .LBB1_2005
; %bb.2004:                             ;   in Loop: Header=BB1_2001 Depth=2
	s_wait_loadcnt 0x0
	v_cmp_eq_u32_e64 s0, s12, v5
	v_cmp_eq_u32_e64 s1, s12, v7
	s_and_b32 s0, s0, s1
	s_delay_alu instid0(SALU_CYCLE_1)
	s_or_not1_b32 s1, s0, exec_lo
.LBB1_2005:                             ;   in Loop: Header=BB1_2001 Depth=2
	s_or_b32 exec_lo, exec_lo, s15
	s_delay_alu instid0(SALU_CYCLE_1) | instskip(NEXT) | instid1(SALU_CYCLE_1)
	s_and_b32 s0, exec_lo, s1
	s_or_b32 s7, s0, s7
	s_delay_alu instid0(SALU_CYCLE_1)
	s_and_not1_b32 exec_lo, exec_lo, s7
	s_cbranch_execnz .LBB1_2001
; %bb.2006:                             ;   in Loop: Header=BB1_2001 Depth=2
	s_or_b32 exec_lo, exec_lo, s7
	s_wait_loadcnt 0x0
	v_dual_mov_b32 v5, v6 :: v_dual_mov_b32 v14, 0
	s_mov_b32 s7, 0
	s_delay_alu instid0(VALU_DEP_1) | instskip(SKIP_1) | instid1(SALU_CYCLE_1)
	v_cmp_eq_u64_e64 s0, s[12:13], v[4:5]
	s_or_b32 s16, s0, s16
	s_and_not1_b32 exec_lo, exec_lo, s16
	s_cbranch_execnz .LBB1_2001
; %bb.2007:                             ;   in Loop: Header=BB1_1755 Depth=1
	s_or_b32 exec_lo, exec_lo, s16
	s_add_co_i32 s14, s6, 36
	v_lshl_add_u64 v[4:5], s[4:5], 4, v[12:13]
	s_mul_hi_u32 s0, s14, 0x10624dd3
	s_mov_b32 s16, 0
	s_lshr_b32 s0, s0, 6
	s_mov_b32 s17, s12
	s_mul_i32 s4, s0, 0x3e8
	s_mov_b32 s19, s5
	s_sub_co_i32 s4, s14, s4
	s_or_b64 s[0:1], s[16:17], s[12:13]
	s_lshl_b32 s18, s4, 12
	v_dual_mov_b32 v0, s0 :: v_dual_mov_b32 v1, s1
	v_add_nc_u64_e32 v[8:9], s[18:19], v[10:11]
	v_dual_mov_b32 v3, s12 :: v_dual_mov_b32 v14, 0
	s_lshl_b32 s4, s4, 8
	s_mov_b32 s15, s5
	s_mov_b32 s7, s16
	global_store_b128 v[4:5], v[0:3], off th:TH_STORE_NT
.LBB1_2008:                             ;   Parent Loop BB1_1755 Depth=1
                                        ; =>  This Inner Loop Header: Depth=2
	s_wait_loadcnt 0x0
	global_load_b128 v[4:7], v[8:9], off th:TH_LOAD_NT
	v_add_nc_u32_e32 v14, 1, v14
	s_mov_b32 s1, -1
	s_mov_b32 s12, -1
	s_mov_b32 s13, exec_lo
	s_wait_xcnt 0x0
	v_cmpx_eq_u32_e32 0xf4240, v14
	s_cbranch_execz .LBB1_2010
; %bb.2009:                             ;   in Loop: Header=BB1_2008 Depth=2
	s_wait_loadcnt 0x0
	s_wait_storecnt 0x0
	global_load_b32 v0, v2, s[10:11] scope:SCOPE_SYS
	s_wait_loadcnt 0x0
	global_inv scope:SCOPE_SYS
	v_mov_b32_e32 v14, 0
	v_cmp_eq_u32_e64 s0, 0, v0
	s_or_not1_b32 s12, s0, exec_lo
.LBB1_2010:                             ;   in Loop: Header=BB1_2008 Depth=2
	s_wait_xcnt 0x0
	s_or_b32 exec_lo, exec_lo, s13
	s_and_saveexec_b32 s13, s12
	s_cbranch_execz .LBB1_2012
; %bb.2011:                             ;   in Loop: Header=BB1_2008 Depth=2
	s_wait_loadcnt 0x0
	v_cmp_eq_u32_e64 s0, s14, v5
	v_cmp_eq_u32_e64 s1, s14, v7
	s_and_b32 s0, s0, s1
	s_delay_alu instid0(SALU_CYCLE_1)
	s_or_not1_b32 s1, s0, exec_lo
.LBB1_2012:                             ;   in Loop: Header=BB1_2008 Depth=2
	s_or_b32 exec_lo, exec_lo, s13
	s_delay_alu instid0(SALU_CYCLE_1) | instskip(NEXT) | instid1(SALU_CYCLE_1)
	s_and_b32 s0, exec_lo, s1
	s_or_b32 s7, s0, s7
	s_delay_alu instid0(SALU_CYCLE_1)
	s_and_not1_b32 exec_lo, exec_lo, s7
	s_cbranch_execnz .LBB1_2008
; %bb.2013:                             ;   in Loop: Header=BB1_2008 Depth=2
	s_or_b32 exec_lo, exec_lo, s7
	s_wait_loadcnt 0x0
	v_dual_mov_b32 v5, v6 :: v_dual_mov_b32 v14, 0
	s_mov_b32 s7, 0
	s_delay_alu instid0(VALU_DEP_1) | instskip(SKIP_1) | instid1(SALU_CYCLE_1)
	v_cmp_eq_u64_e64 s0, s[14:15], v[4:5]
	s_or_b32 s16, s0, s16
	s_and_not1_b32 exec_lo, exec_lo, s16
	s_cbranch_execnz .LBB1_2008
; %bb.2014:                             ;   in Loop: Header=BB1_1755 Depth=1
	s_or_b32 exec_lo, exec_lo, s16
	s_add_co_i32 s12, s6, 37
	v_lshl_add_u64 v[4:5], s[4:5], 4, v[12:13]
	s_mul_hi_u32 s0, s12, 0x10624dd3
	s_mov_b32 s16, 0
	s_lshr_b32 s0, s0, 6
	s_mov_b32 s17, s14
	s_mul_i32 s4, s0, 0x3e8
	s_mov_b32 s19, s5
	s_sub_co_i32 s4, s12, s4
	s_or_b64 s[0:1], s[16:17], s[14:15]
	s_lshl_b32 s18, s4, 12
	v_dual_mov_b32 v0, s0 :: v_dual_mov_b32 v1, s1
	v_add_nc_u64_e32 v[8:9], s[18:19], v[10:11]
	v_dual_mov_b32 v3, s14 :: v_dual_mov_b32 v14, 0
	s_lshl_b32 s4, s4, 8
	s_mov_b32 s13, s5
	s_mov_b32 s7, s16
	global_store_b128 v[4:5], v[0:3], off th:TH_STORE_NT
.LBB1_2015:                             ;   Parent Loop BB1_1755 Depth=1
                                        ; =>  This Inner Loop Header: Depth=2
	s_wait_loadcnt 0x0
	global_load_b128 v[4:7], v[8:9], off th:TH_LOAD_NT
	v_add_nc_u32_e32 v14, 1, v14
	s_mov_b32 s1, -1
	s_mov_b32 s14, -1
	s_mov_b32 s15, exec_lo
	s_wait_xcnt 0x0
	v_cmpx_eq_u32_e32 0xf4240, v14
	s_cbranch_execz .LBB1_2017
; %bb.2016:                             ;   in Loop: Header=BB1_2015 Depth=2
	s_wait_loadcnt 0x0
	s_wait_storecnt 0x0
	global_load_b32 v0, v2, s[10:11] scope:SCOPE_SYS
	s_wait_loadcnt 0x0
	global_inv scope:SCOPE_SYS
	v_mov_b32_e32 v14, 0
	v_cmp_eq_u32_e64 s0, 0, v0
	s_or_not1_b32 s14, s0, exec_lo
.LBB1_2017:                             ;   in Loop: Header=BB1_2015 Depth=2
	s_wait_xcnt 0x0
	s_or_b32 exec_lo, exec_lo, s15
	s_and_saveexec_b32 s15, s14
	s_cbranch_execz .LBB1_2019
; %bb.2018:                             ;   in Loop: Header=BB1_2015 Depth=2
	s_wait_loadcnt 0x0
	v_cmp_eq_u32_e64 s0, s12, v5
	v_cmp_eq_u32_e64 s1, s12, v7
	s_and_b32 s0, s0, s1
	s_delay_alu instid0(SALU_CYCLE_1)
	s_or_not1_b32 s1, s0, exec_lo
.LBB1_2019:                             ;   in Loop: Header=BB1_2015 Depth=2
	s_or_b32 exec_lo, exec_lo, s15
	s_delay_alu instid0(SALU_CYCLE_1) | instskip(NEXT) | instid1(SALU_CYCLE_1)
	s_and_b32 s0, exec_lo, s1
	s_or_b32 s7, s0, s7
	s_delay_alu instid0(SALU_CYCLE_1)
	s_and_not1_b32 exec_lo, exec_lo, s7
	s_cbranch_execnz .LBB1_2015
; %bb.2020:                             ;   in Loop: Header=BB1_2015 Depth=2
	s_or_b32 exec_lo, exec_lo, s7
	s_wait_loadcnt 0x0
	v_dual_mov_b32 v5, v6 :: v_dual_mov_b32 v14, 0
	s_mov_b32 s7, 0
	s_delay_alu instid0(VALU_DEP_1) | instskip(SKIP_1) | instid1(SALU_CYCLE_1)
	v_cmp_eq_u64_e64 s0, s[12:13], v[4:5]
	s_or_b32 s16, s0, s16
	s_and_not1_b32 exec_lo, exec_lo, s16
	s_cbranch_execnz .LBB1_2015
; %bb.2021:                             ;   in Loop: Header=BB1_1755 Depth=1
	s_or_b32 exec_lo, exec_lo, s16
	s_add_co_i32 s14, s6, 38
	v_lshl_add_u64 v[4:5], s[4:5], 4, v[12:13]
	s_mul_hi_u32 s0, s14, 0x10624dd3
	s_mov_b32 s16, 0
	s_lshr_b32 s0, s0, 6
	s_mov_b32 s17, s12
	s_mul_i32 s4, s0, 0x3e8
	s_mov_b32 s19, s5
	s_sub_co_i32 s4, s14, s4
	s_or_b64 s[0:1], s[16:17], s[12:13]
	s_lshl_b32 s18, s4, 12
	v_dual_mov_b32 v0, s0 :: v_dual_mov_b32 v1, s1
	v_add_nc_u64_e32 v[8:9], s[18:19], v[10:11]
	v_dual_mov_b32 v3, s12 :: v_dual_mov_b32 v14, 0
	s_lshl_b32 s4, s4, 8
	s_mov_b32 s15, s5
	s_mov_b32 s7, s16
	global_store_b128 v[4:5], v[0:3], off th:TH_STORE_NT
.LBB1_2022:                             ;   Parent Loop BB1_1755 Depth=1
                                        ; =>  This Inner Loop Header: Depth=2
	s_wait_loadcnt 0x0
	global_load_b128 v[4:7], v[8:9], off th:TH_LOAD_NT
	v_add_nc_u32_e32 v14, 1, v14
	s_mov_b32 s1, -1
	s_mov_b32 s12, -1
	s_mov_b32 s13, exec_lo
	s_wait_xcnt 0x0
	v_cmpx_eq_u32_e32 0xf4240, v14
	s_cbranch_execz .LBB1_2024
; %bb.2023:                             ;   in Loop: Header=BB1_2022 Depth=2
	s_wait_loadcnt 0x0
	s_wait_storecnt 0x0
	global_load_b32 v0, v2, s[10:11] scope:SCOPE_SYS
	s_wait_loadcnt 0x0
	global_inv scope:SCOPE_SYS
	v_mov_b32_e32 v14, 0
	v_cmp_eq_u32_e64 s0, 0, v0
	s_or_not1_b32 s12, s0, exec_lo
.LBB1_2024:                             ;   in Loop: Header=BB1_2022 Depth=2
	s_wait_xcnt 0x0
	s_or_b32 exec_lo, exec_lo, s13
	s_and_saveexec_b32 s13, s12
	s_cbranch_execz .LBB1_2026
; %bb.2025:                             ;   in Loop: Header=BB1_2022 Depth=2
	s_wait_loadcnt 0x0
	v_cmp_eq_u32_e64 s0, s14, v5
	v_cmp_eq_u32_e64 s1, s14, v7
	s_and_b32 s0, s0, s1
	s_delay_alu instid0(SALU_CYCLE_1)
	s_or_not1_b32 s1, s0, exec_lo
.LBB1_2026:                             ;   in Loop: Header=BB1_2022 Depth=2
	s_or_b32 exec_lo, exec_lo, s13
	s_delay_alu instid0(SALU_CYCLE_1) | instskip(NEXT) | instid1(SALU_CYCLE_1)
	s_and_b32 s0, exec_lo, s1
	s_or_b32 s7, s0, s7
	s_delay_alu instid0(SALU_CYCLE_1)
	s_and_not1_b32 exec_lo, exec_lo, s7
	s_cbranch_execnz .LBB1_2022
; %bb.2027:                             ;   in Loop: Header=BB1_2022 Depth=2
	s_or_b32 exec_lo, exec_lo, s7
	s_wait_loadcnt 0x0
	v_dual_mov_b32 v5, v6 :: v_dual_mov_b32 v14, 0
	s_mov_b32 s7, 0
	s_delay_alu instid0(VALU_DEP_1) | instskip(SKIP_1) | instid1(SALU_CYCLE_1)
	v_cmp_eq_u64_e64 s0, s[14:15], v[4:5]
	s_or_b32 s16, s0, s16
	s_and_not1_b32 exec_lo, exec_lo, s16
	s_cbranch_execnz .LBB1_2022
; %bb.2028:                             ;   in Loop: Header=BB1_1755 Depth=1
	s_or_b32 exec_lo, exec_lo, s16
	s_add_co_i32 s12, s6, 39
	v_lshl_add_u64 v[4:5], s[4:5], 4, v[12:13]
	s_mul_hi_u32 s0, s12, 0x10624dd3
	s_mov_b32 s16, 0
	s_lshr_b32 s0, s0, 6
	s_mov_b32 s17, s14
	s_mul_i32 s4, s0, 0x3e8
	s_mov_b32 s19, s5
	s_sub_co_i32 s4, s12, s4
	s_or_b64 s[0:1], s[16:17], s[14:15]
	s_lshl_b32 s18, s4, 12
	v_dual_mov_b32 v0, s0 :: v_dual_mov_b32 v1, s1
	v_add_nc_u64_e32 v[8:9], s[18:19], v[10:11]
	v_dual_mov_b32 v3, s14 :: v_dual_mov_b32 v14, 0
	s_lshl_b32 s4, s4, 8
	s_mov_b32 s13, s5
	s_mov_b32 s7, s16
	global_store_b128 v[4:5], v[0:3], off th:TH_STORE_NT
.LBB1_2029:                             ;   Parent Loop BB1_1755 Depth=1
                                        ; =>  This Inner Loop Header: Depth=2
	s_wait_loadcnt 0x0
	global_load_b128 v[4:7], v[8:9], off th:TH_LOAD_NT
	v_add_nc_u32_e32 v14, 1, v14
	s_mov_b32 s1, -1
	s_mov_b32 s14, -1
	s_mov_b32 s15, exec_lo
	s_wait_xcnt 0x0
	v_cmpx_eq_u32_e32 0xf4240, v14
	s_cbranch_execz .LBB1_2031
; %bb.2030:                             ;   in Loop: Header=BB1_2029 Depth=2
	s_wait_loadcnt 0x0
	s_wait_storecnt 0x0
	global_load_b32 v0, v2, s[10:11] scope:SCOPE_SYS
	s_wait_loadcnt 0x0
	global_inv scope:SCOPE_SYS
	v_mov_b32_e32 v14, 0
	v_cmp_eq_u32_e64 s0, 0, v0
	s_or_not1_b32 s14, s0, exec_lo
.LBB1_2031:                             ;   in Loop: Header=BB1_2029 Depth=2
	s_wait_xcnt 0x0
	s_or_b32 exec_lo, exec_lo, s15
	s_and_saveexec_b32 s15, s14
	s_cbranch_execz .LBB1_2033
; %bb.2032:                             ;   in Loop: Header=BB1_2029 Depth=2
	s_wait_loadcnt 0x0
	v_cmp_eq_u32_e64 s0, s12, v5
	v_cmp_eq_u32_e64 s1, s12, v7
	s_and_b32 s0, s0, s1
	s_delay_alu instid0(SALU_CYCLE_1)
	s_or_not1_b32 s1, s0, exec_lo
.LBB1_2033:                             ;   in Loop: Header=BB1_2029 Depth=2
	s_or_b32 exec_lo, exec_lo, s15
	s_delay_alu instid0(SALU_CYCLE_1) | instskip(NEXT) | instid1(SALU_CYCLE_1)
	s_and_b32 s0, exec_lo, s1
	s_or_b32 s7, s0, s7
	s_delay_alu instid0(SALU_CYCLE_1)
	s_and_not1_b32 exec_lo, exec_lo, s7
	s_cbranch_execnz .LBB1_2029
; %bb.2034:                             ;   in Loop: Header=BB1_2029 Depth=2
	s_or_b32 exec_lo, exec_lo, s7
	s_wait_loadcnt 0x0
	v_dual_mov_b32 v5, v6 :: v_dual_mov_b32 v14, 0
	s_mov_b32 s7, 0
	s_delay_alu instid0(VALU_DEP_1) | instskip(SKIP_1) | instid1(SALU_CYCLE_1)
	v_cmp_eq_u64_e64 s0, s[12:13], v[4:5]
	s_or_b32 s16, s0, s16
	s_and_not1_b32 exec_lo, exec_lo, s16
	s_cbranch_execnz .LBB1_2029
; %bb.2035:                             ;   in Loop: Header=BB1_1755 Depth=1
	s_or_b32 exec_lo, exec_lo, s16
	s_add_co_i32 s14, s6, 40
	v_lshl_add_u64 v[4:5], s[4:5], 4, v[12:13]
	s_mul_hi_u32 s0, s14, 0x10624dd3
	s_mov_b32 s16, 0
	s_lshr_b32 s0, s0, 6
	s_mov_b32 s17, s12
	s_mul_i32 s4, s0, 0x3e8
	s_mov_b32 s19, s5
	s_sub_co_i32 s4, s14, s4
	s_or_b64 s[0:1], s[16:17], s[12:13]
	s_lshl_b32 s18, s4, 12
	v_dual_mov_b32 v0, s0 :: v_dual_mov_b32 v1, s1
	v_add_nc_u64_e32 v[8:9], s[18:19], v[10:11]
	v_dual_mov_b32 v3, s12 :: v_dual_mov_b32 v14, 0
	s_lshl_b32 s4, s4, 8
	s_mov_b32 s15, s5
	s_mov_b32 s7, s16
	global_store_b128 v[4:5], v[0:3], off th:TH_STORE_NT
.LBB1_2036:                             ;   Parent Loop BB1_1755 Depth=1
                                        ; =>  This Inner Loop Header: Depth=2
	s_wait_loadcnt 0x0
	global_load_b128 v[4:7], v[8:9], off th:TH_LOAD_NT
	v_add_nc_u32_e32 v14, 1, v14
	s_mov_b32 s1, -1
	s_mov_b32 s12, -1
	s_mov_b32 s13, exec_lo
	s_wait_xcnt 0x0
	v_cmpx_eq_u32_e32 0xf4240, v14
	s_cbranch_execz .LBB1_2038
; %bb.2037:                             ;   in Loop: Header=BB1_2036 Depth=2
	s_wait_loadcnt 0x0
	s_wait_storecnt 0x0
	global_load_b32 v0, v2, s[10:11] scope:SCOPE_SYS
	s_wait_loadcnt 0x0
	global_inv scope:SCOPE_SYS
	v_mov_b32_e32 v14, 0
	v_cmp_eq_u32_e64 s0, 0, v0
	s_or_not1_b32 s12, s0, exec_lo
.LBB1_2038:                             ;   in Loop: Header=BB1_2036 Depth=2
	s_wait_xcnt 0x0
	s_or_b32 exec_lo, exec_lo, s13
	s_and_saveexec_b32 s13, s12
	s_cbranch_execz .LBB1_2040
; %bb.2039:                             ;   in Loop: Header=BB1_2036 Depth=2
	s_wait_loadcnt 0x0
	v_cmp_eq_u32_e64 s0, s14, v5
	v_cmp_eq_u32_e64 s1, s14, v7
	s_and_b32 s0, s0, s1
	s_delay_alu instid0(SALU_CYCLE_1)
	s_or_not1_b32 s1, s0, exec_lo
.LBB1_2040:                             ;   in Loop: Header=BB1_2036 Depth=2
	s_or_b32 exec_lo, exec_lo, s13
	s_delay_alu instid0(SALU_CYCLE_1) | instskip(NEXT) | instid1(SALU_CYCLE_1)
	s_and_b32 s0, exec_lo, s1
	s_or_b32 s7, s0, s7
	s_delay_alu instid0(SALU_CYCLE_1)
	s_and_not1_b32 exec_lo, exec_lo, s7
	s_cbranch_execnz .LBB1_2036
; %bb.2041:                             ;   in Loop: Header=BB1_2036 Depth=2
	s_or_b32 exec_lo, exec_lo, s7
	s_wait_loadcnt 0x0
	v_dual_mov_b32 v5, v6 :: v_dual_mov_b32 v14, 0
	s_mov_b32 s7, 0
	s_delay_alu instid0(VALU_DEP_1) | instskip(SKIP_1) | instid1(SALU_CYCLE_1)
	v_cmp_eq_u64_e64 s0, s[14:15], v[4:5]
	s_or_b32 s16, s0, s16
	s_and_not1_b32 exec_lo, exec_lo, s16
	s_cbranch_execnz .LBB1_2036
; %bb.2042:                             ;   in Loop: Header=BB1_1755 Depth=1
	s_or_b32 exec_lo, exec_lo, s16
	s_add_co_i32 s12, s6, 41
	v_lshl_add_u64 v[4:5], s[4:5], 4, v[12:13]
	s_mul_hi_u32 s0, s12, 0x10624dd3
	s_mov_b32 s16, 0
	s_lshr_b32 s0, s0, 6
	s_mov_b32 s17, s14
	s_mul_i32 s4, s0, 0x3e8
	s_mov_b32 s19, s5
	s_sub_co_i32 s4, s12, s4
	s_or_b64 s[0:1], s[16:17], s[14:15]
	s_lshl_b32 s18, s4, 12
	v_dual_mov_b32 v0, s0 :: v_dual_mov_b32 v1, s1
	v_add_nc_u64_e32 v[8:9], s[18:19], v[10:11]
	v_dual_mov_b32 v3, s14 :: v_dual_mov_b32 v14, 0
	s_lshl_b32 s4, s4, 8
	s_mov_b32 s13, s5
	s_mov_b32 s7, s16
	global_store_b128 v[4:5], v[0:3], off th:TH_STORE_NT
.LBB1_2043:                             ;   Parent Loop BB1_1755 Depth=1
                                        ; =>  This Inner Loop Header: Depth=2
	s_wait_loadcnt 0x0
	global_load_b128 v[4:7], v[8:9], off th:TH_LOAD_NT
	v_add_nc_u32_e32 v14, 1, v14
	s_mov_b32 s1, -1
	s_mov_b32 s14, -1
	s_mov_b32 s15, exec_lo
	s_wait_xcnt 0x0
	v_cmpx_eq_u32_e32 0xf4240, v14
	s_cbranch_execz .LBB1_2045
; %bb.2044:                             ;   in Loop: Header=BB1_2043 Depth=2
	s_wait_loadcnt 0x0
	s_wait_storecnt 0x0
	global_load_b32 v0, v2, s[10:11] scope:SCOPE_SYS
	s_wait_loadcnt 0x0
	global_inv scope:SCOPE_SYS
	v_mov_b32_e32 v14, 0
	v_cmp_eq_u32_e64 s0, 0, v0
	s_or_not1_b32 s14, s0, exec_lo
.LBB1_2045:                             ;   in Loop: Header=BB1_2043 Depth=2
	s_wait_xcnt 0x0
	s_or_b32 exec_lo, exec_lo, s15
	s_and_saveexec_b32 s15, s14
	s_cbranch_execz .LBB1_2047
; %bb.2046:                             ;   in Loop: Header=BB1_2043 Depth=2
	s_wait_loadcnt 0x0
	v_cmp_eq_u32_e64 s0, s12, v5
	v_cmp_eq_u32_e64 s1, s12, v7
	s_and_b32 s0, s0, s1
	s_delay_alu instid0(SALU_CYCLE_1)
	s_or_not1_b32 s1, s0, exec_lo
.LBB1_2047:                             ;   in Loop: Header=BB1_2043 Depth=2
	s_or_b32 exec_lo, exec_lo, s15
	s_delay_alu instid0(SALU_CYCLE_1) | instskip(NEXT) | instid1(SALU_CYCLE_1)
	s_and_b32 s0, exec_lo, s1
	s_or_b32 s7, s0, s7
	s_delay_alu instid0(SALU_CYCLE_1)
	s_and_not1_b32 exec_lo, exec_lo, s7
	s_cbranch_execnz .LBB1_2043
; %bb.2048:                             ;   in Loop: Header=BB1_2043 Depth=2
	s_or_b32 exec_lo, exec_lo, s7
	s_wait_loadcnt 0x0
	v_dual_mov_b32 v5, v6 :: v_dual_mov_b32 v14, 0
	s_mov_b32 s7, 0
	s_delay_alu instid0(VALU_DEP_1) | instskip(SKIP_1) | instid1(SALU_CYCLE_1)
	v_cmp_eq_u64_e64 s0, s[12:13], v[4:5]
	s_or_b32 s16, s0, s16
	s_and_not1_b32 exec_lo, exec_lo, s16
	s_cbranch_execnz .LBB1_2043
; %bb.2049:                             ;   in Loop: Header=BB1_1755 Depth=1
	s_or_b32 exec_lo, exec_lo, s16
	s_add_co_i32 s14, s6, 42
	v_lshl_add_u64 v[4:5], s[4:5], 4, v[12:13]
	s_mul_hi_u32 s0, s14, 0x10624dd3
	s_mov_b32 s16, 0
	s_lshr_b32 s0, s0, 6
	s_mov_b32 s17, s12
	s_mul_i32 s4, s0, 0x3e8
	s_mov_b32 s19, s5
	s_sub_co_i32 s4, s14, s4
	s_or_b64 s[0:1], s[16:17], s[12:13]
	s_lshl_b32 s18, s4, 12
	v_dual_mov_b32 v0, s0 :: v_dual_mov_b32 v1, s1
	v_add_nc_u64_e32 v[8:9], s[18:19], v[10:11]
	v_dual_mov_b32 v3, s12 :: v_dual_mov_b32 v14, 0
	s_lshl_b32 s4, s4, 8
	s_mov_b32 s15, s5
	s_mov_b32 s7, s16
	global_store_b128 v[4:5], v[0:3], off th:TH_STORE_NT
.LBB1_2050:                             ;   Parent Loop BB1_1755 Depth=1
                                        ; =>  This Inner Loop Header: Depth=2
	s_wait_loadcnt 0x0
	global_load_b128 v[4:7], v[8:9], off th:TH_LOAD_NT
	v_add_nc_u32_e32 v14, 1, v14
	s_mov_b32 s1, -1
	s_mov_b32 s12, -1
	s_mov_b32 s13, exec_lo
	s_wait_xcnt 0x0
	v_cmpx_eq_u32_e32 0xf4240, v14
	s_cbranch_execz .LBB1_2052
; %bb.2051:                             ;   in Loop: Header=BB1_2050 Depth=2
	s_wait_loadcnt 0x0
	s_wait_storecnt 0x0
	global_load_b32 v0, v2, s[10:11] scope:SCOPE_SYS
	s_wait_loadcnt 0x0
	global_inv scope:SCOPE_SYS
	v_mov_b32_e32 v14, 0
	v_cmp_eq_u32_e64 s0, 0, v0
	s_or_not1_b32 s12, s0, exec_lo
.LBB1_2052:                             ;   in Loop: Header=BB1_2050 Depth=2
	s_wait_xcnt 0x0
	s_or_b32 exec_lo, exec_lo, s13
	s_and_saveexec_b32 s13, s12
	s_cbranch_execz .LBB1_2054
; %bb.2053:                             ;   in Loop: Header=BB1_2050 Depth=2
	s_wait_loadcnt 0x0
	v_cmp_eq_u32_e64 s0, s14, v5
	v_cmp_eq_u32_e64 s1, s14, v7
	s_and_b32 s0, s0, s1
	s_delay_alu instid0(SALU_CYCLE_1)
	s_or_not1_b32 s1, s0, exec_lo
.LBB1_2054:                             ;   in Loop: Header=BB1_2050 Depth=2
	s_or_b32 exec_lo, exec_lo, s13
	s_delay_alu instid0(SALU_CYCLE_1) | instskip(NEXT) | instid1(SALU_CYCLE_1)
	s_and_b32 s0, exec_lo, s1
	s_or_b32 s7, s0, s7
	s_delay_alu instid0(SALU_CYCLE_1)
	s_and_not1_b32 exec_lo, exec_lo, s7
	s_cbranch_execnz .LBB1_2050
; %bb.2055:                             ;   in Loop: Header=BB1_2050 Depth=2
	s_or_b32 exec_lo, exec_lo, s7
	s_wait_loadcnt 0x0
	v_dual_mov_b32 v5, v6 :: v_dual_mov_b32 v14, 0
	s_mov_b32 s7, 0
	s_delay_alu instid0(VALU_DEP_1) | instskip(SKIP_1) | instid1(SALU_CYCLE_1)
	v_cmp_eq_u64_e64 s0, s[14:15], v[4:5]
	s_or_b32 s16, s0, s16
	s_and_not1_b32 exec_lo, exec_lo, s16
	s_cbranch_execnz .LBB1_2050
; %bb.2056:                             ;   in Loop: Header=BB1_1755 Depth=1
	s_or_b32 exec_lo, exec_lo, s16
	s_add_co_i32 s12, s6, 43
	v_lshl_add_u64 v[4:5], s[4:5], 4, v[12:13]
	s_mul_hi_u32 s0, s12, 0x10624dd3
	s_mov_b32 s16, 0
	s_lshr_b32 s0, s0, 6
	s_mov_b32 s17, s14
	s_mul_i32 s4, s0, 0x3e8
	s_mov_b32 s19, s5
	s_sub_co_i32 s4, s12, s4
	s_or_b64 s[0:1], s[16:17], s[14:15]
	s_lshl_b32 s18, s4, 12
	v_dual_mov_b32 v0, s0 :: v_dual_mov_b32 v1, s1
	v_add_nc_u64_e32 v[8:9], s[18:19], v[10:11]
	v_dual_mov_b32 v3, s14 :: v_dual_mov_b32 v14, 0
	s_lshl_b32 s4, s4, 8
	s_mov_b32 s13, s5
	s_mov_b32 s7, s16
	global_store_b128 v[4:5], v[0:3], off th:TH_STORE_NT
.LBB1_2057:                             ;   Parent Loop BB1_1755 Depth=1
                                        ; =>  This Inner Loop Header: Depth=2
	s_wait_loadcnt 0x0
	global_load_b128 v[4:7], v[8:9], off th:TH_LOAD_NT
	v_add_nc_u32_e32 v14, 1, v14
	s_mov_b32 s1, -1
	s_mov_b32 s14, -1
	s_mov_b32 s15, exec_lo
	s_wait_xcnt 0x0
	v_cmpx_eq_u32_e32 0xf4240, v14
	s_cbranch_execz .LBB1_2059
; %bb.2058:                             ;   in Loop: Header=BB1_2057 Depth=2
	s_wait_loadcnt 0x0
	s_wait_storecnt 0x0
	global_load_b32 v0, v2, s[10:11] scope:SCOPE_SYS
	s_wait_loadcnt 0x0
	global_inv scope:SCOPE_SYS
	v_mov_b32_e32 v14, 0
	v_cmp_eq_u32_e64 s0, 0, v0
	s_or_not1_b32 s14, s0, exec_lo
.LBB1_2059:                             ;   in Loop: Header=BB1_2057 Depth=2
	s_wait_xcnt 0x0
	s_or_b32 exec_lo, exec_lo, s15
	s_and_saveexec_b32 s15, s14
	s_cbranch_execz .LBB1_2061
; %bb.2060:                             ;   in Loop: Header=BB1_2057 Depth=2
	s_wait_loadcnt 0x0
	v_cmp_eq_u32_e64 s0, s12, v5
	v_cmp_eq_u32_e64 s1, s12, v7
	s_and_b32 s0, s0, s1
	s_delay_alu instid0(SALU_CYCLE_1)
	s_or_not1_b32 s1, s0, exec_lo
.LBB1_2061:                             ;   in Loop: Header=BB1_2057 Depth=2
	s_or_b32 exec_lo, exec_lo, s15
	s_delay_alu instid0(SALU_CYCLE_1) | instskip(NEXT) | instid1(SALU_CYCLE_1)
	s_and_b32 s0, exec_lo, s1
	s_or_b32 s7, s0, s7
	s_delay_alu instid0(SALU_CYCLE_1)
	s_and_not1_b32 exec_lo, exec_lo, s7
	s_cbranch_execnz .LBB1_2057
; %bb.2062:                             ;   in Loop: Header=BB1_2057 Depth=2
	s_or_b32 exec_lo, exec_lo, s7
	s_wait_loadcnt 0x0
	v_dual_mov_b32 v5, v6 :: v_dual_mov_b32 v14, 0
	s_mov_b32 s7, 0
	s_delay_alu instid0(VALU_DEP_1) | instskip(SKIP_1) | instid1(SALU_CYCLE_1)
	v_cmp_eq_u64_e64 s0, s[12:13], v[4:5]
	s_or_b32 s16, s0, s16
	s_and_not1_b32 exec_lo, exec_lo, s16
	s_cbranch_execnz .LBB1_2057
; %bb.2063:                             ;   in Loop: Header=BB1_1755 Depth=1
	s_or_b32 exec_lo, exec_lo, s16
	s_add_co_i32 s14, s6, 44
	v_lshl_add_u64 v[4:5], s[4:5], 4, v[12:13]
	s_mul_hi_u32 s0, s14, 0x10624dd3
	s_mov_b32 s16, 0
	s_lshr_b32 s0, s0, 6
	s_mov_b32 s17, s12
	s_mul_i32 s4, s0, 0x3e8
	s_mov_b32 s19, s5
	s_sub_co_i32 s4, s14, s4
	s_or_b64 s[0:1], s[16:17], s[12:13]
	s_lshl_b32 s18, s4, 12
	v_dual_mov_b32 v0, s0 :: v_dual_mov_b32 v1, s1
	v_add_nc_u64_e32 v[8:9], s[18:19], v[10:11]
	v_dual_mov_b32 v3, s12 :: v_dual_mov_b32 v14, 0
	s_lshl_b32 s4, s4, 8
	s_mov_b32 s15, s5
	s_mov_b32 s7, s16
	global_store_b128 v[4:5], v[0:3], off th:TH_STORE_NT
.LBB1_2064:                             ;   Parent Loop BB1_1755 Depth=1
                                        ; =>  This Inner Loop Header: Depth=2
	s_wait_loadcnt 0x0
	global_load_b128 v[4:7], v[8:9], off th:TH_LOAD_NT
	v_add_nc_u32_e32 v14, 1, v14
	s_mov_b32 s1, -1
	s_mov_b32 s12, -1
	s_mov_b32 s13, exec_lo
	s_wait_xcnt 0x0
	v_cmpx_eq_u32_e32 0xf4240, v14
	s_cbranch_execz .LBB1_2066
; %bb.2065:                             ;   in Loop: Header=BB1_2064 Depth=2
	s_wait_loadcnt 0x0
	s_wait_storecnt 0x0
	global_load_b32 v0, v2, s[10:11] scope:SCOPE_SYS
	s_wait_loadcnt 0x0
	global_inv scope:SCOPE_SYS
	v_mov_b32_e32 v14, 0
	v_cmp_eq_u32_e64 s0, 0, v0
	s_or_not1_b32 s12, s0, exec_lo
.LBB1_2066:                             ;   in Loop: Header=BB1_2064 Depth=2
	s_wait_xcnt 0x0
	s_or_b32 exec_lo, exec_lo, s13
	s_and_saveexec_b32 s13, s12
	s_cbranch_execz .LBB1_2068
; %bb.2067:                             ;   in Loop: Header=BB1_2064 Depth=2
	s_wait_loadcnt 0x0
	v_cmp_eq_u32_e64 s0, s14, v5
	v_cmp_eq_u32_e64 s1, s14, v7
	s_and_b32 s0, s0, s1
	s_delay_alu instid0(SALU_CYCLE_1)
	s_or_not1_b32 s1, s0, exec_lo
.LBB1_2068:                             ;   in Loop: Header=BB1_2064 Depth=2
	s_or_b32 exec_lo, exec_lo, s13
	s_delay_alu instid0(SALU_CYCLE_1) | instskip(NEXT) | instid1(SALU_CYCLE_1)
	s_and_b32 s0, exec_lo, s1
	s_or_b32 s7, s0, s7
	s_delay_alu instid0(SALU_CYCLE_1)
	s_and_not1_b32 exec_lo, exec_lo, s7
	s_cbranch_execnz .LBB1_2064
; %bb.2069:                             ;   in Loop: Header=BB1_2064 Depth=2
	s_or_b32 exec_lo, exec_lo, s7
	s_wait_loadcnt 0x0
	v_dual_mov_b32 v5, v6 :: v_dual_mov_b32 v14, 0
	s_mov_b32 s7, 0
	s_delay_alu instid0(VALU_DEP_1) | instskip(SKIP_1) | instid1(SALU_CYCLE_1)
	v_cmp_eq_u64_e64 s0, s[14:15], v[4:5]
	s_or_b32 s16, s0, s16
	s_and_not1_b32 exec_lo, exec_lo, s16
	s_cbranch_execnz .LBB1_2064
; %bb.2070:                             ;   in Loop: Header=BB1_1755 Depth=1
	s_or_b32 exec_lo, exec_lo, s16
	s_add_co_i32 s12, s6, 45
	v_lshl_add_u64 v[4:5], s[4:5], 4, v[12:13]
	s_mul_hi_u32 s0, s12, 0x10624dd3
	s_mov_b32 s16, 0
	s_lshr_b32 s0, s0, 6
	s_mov_b32 s17, s14
	s_mul_i32 s4, s0, 0x3e8
	s_mov_b32 s19, s5
	s_sub_co_i32 s4, s12, s4
	s_or_b64 s[0:1], s[16:17], s[14:15]
	s_lshl_b32 s18, s4, 12
	v_dual_mov_b32 v0, s0 :: v_dual_mov_b32 v1, s1
	v_add_nc_u64_e32 v[8:9], s[18:19], v[10:11]
	v_dual_mov_b32 v3, s14 :: v_dual_mov_b32 v14, 0
	s_lshl_b32 s4, s4, 8
	s_mov_b32 s13, s5
	s_mov_b32 s7, s16
	global_store_b128 v[4:5], v[0:3], off th:TH_STORE_NT
.LBB1_2071:                             ;   Parent Loop BB1_1755 Depth=1
                                        ; =>  This Inner Loop Header: Depth=2
	s_wait_loadcnt 0x0
	global_load_b128 v[4:7], v[8:9], off th:TH_LOAD_NT
	v_add_nc_u32_e32 v14, 1, v14
	s_mov_b32 s1, -1
	s_mov_b32 s14, -1
	s_mov_b32 s15, exec_lo
	s_wait_xcnt 0x0
	v_cmpx_eq_u32_e32 0xf4240, v14
	s_cbranch_execz .LBB1_2073
; %bb.2072:                             ;   in Loop: Header=BB1_2071 Depth=2
	s_wait_loadcnt 0x0
	s_wait_storecnt 0x0
	global_load_b32 v0, v2, s[10:11] scope:SCOPE_SYS
	s_wait_loadcnt 0x0
	global_inv scope:SCOPE_SYS
	v_mov_b32_e32 v14, 0
	v_cmp_eq_u32_e64 s0, 0, v0
	s_or_not1_b32 s14, s0, exec_lo
.LBB1_2073:                             ;   in Loop: Header=BB1_2071 Depth=2
	s_wait_xcnt 0x0
	s_or_b32 exec_lo, exec_lo, s15
	s_and_saveexec_b32 s15, s14
	s_cbranch_execz .LBB1_2075
; %bb.2074:                             ;   in Loop: Header=BB1_2071 Depth=2
	s_wait_loadcnt 0x0
	v_cmp_eq_u32_e64 s0, s12, v5
	v_cmp_eq_u32_e64 s1, s12, v7
	s_and_b32 s0, s0, s1
	s_delay_alu instid0(SALU_CYCLE_1)
	s_or_not1_b32 s1, s0, exec_lo
.LBB1_2075:                             ;   in Loop: Header=BB1_2071 Depth=2
	s_or_b32 exec_lo, exec_lo, s15
	s_delay_alu instid0(SALU_CYCLE_1) | instskip(NEXT) | instid1(SALU_CYCLE_1)
	s_and_b32 s0, exec_lo, s1
	s_or_b32 s7, s0, s7
	s_delay_alu instid0(SALU_CYCLE_1)
	s_and_not1_b32 exec_lo, exec_lo, s7
	s_cbranch_execnz .LBB1_2071
; %bb.2076:                             ;   in Loop: Header=BB1_2071 Depth=2
	s_or_b32 exec_lo, exec_lo, s7
	s_wait_loadcnt 0x0
	v_dual_mov_b32 v5, v6 :: v_dual_mov_b32 v14, 0
	s_mov_b32 s7, 0
	s_delay_alu instid0(VALU_DEP_1) | instskip(SKIP_1) | instid1(SALU_CYCLE_1)
	v_cmp_eq_u64_e64 s0, s[12:13], v[4:5]
	s_or_b32 s16, s0, s16
	s_and_not1_b32 exec_lo, exec_lo, s16
	s_cbranch_execnz .LBB1_2071
; %bb.2077:                             ;   in Loop: Header=BB1_1755 Depth=1
	s_or_b32 exec_lo, exec_lo, s16
	s_add_co_i32 s14, s6, 46
	v_lshl_add_u64 v[4:5], s[4:5], 4, v[12:13]
	s_mul_hi_u32 s0, s14, 0x10624dd3
	s_mov_b32 s16, 0
	s_lshr_b32 s0, s0, 6
	s_mov_b32 s17, s12
	s_mul_i32 s4, s0, 0x3e8
	s_mov_b32 s19, s5
	s_sub_co_i32 s4, s14, s4
	s_or_b64 s[0:1], s[16:17], s[12:13]
	s_lshl_b32 s18, s4, 12
	v_dual_mov_b32 v0, s0 :: v_dual_mov_b32 v1, s1
	v_add_nc_u64_e32 v[8:9], s[18:19], v[10:11]
	v_dual_mov_b32 v3, s12 :: v_dual_mov_b32 v14, 0
	s_lshl_b32 s4, s4, 8
	s_mov_b32 s15, s5
	s_mov_b32 s7, s16
	global_store_b128 v[4:5], v[0:3], off th:TH_STORE_NT
.LBB1_2078:                             ;   Parent Loop BB1_1755 Depth=1
                                        ; =>  This Inner Loop Header: Depth=2
	s_wait_loadcnt 0x0
	global_load_b128 v[4:7], v[8:9], off th:TH_LOAD_NT
	v_add_nc_u32_e32 v14, 1, v14
	s_mov_b32 s1, -1
	s_mov_b32 s12, -1
	s_mov_b32 s13, exec_lo
	s_wait_xcnt 0x0
	v_cmpx_eq_u32_e32 0xf4240, v14
	s_cbranch_execz .LBB1_2080
; %bb.2079:                             ;   in Loop: Header=BB1_2078 Depth=2
	s_wait_loadcnt 0x0
	s_wait_storecnt 0x0
	global_load_b32 v0, v2, s[10:11] scope:SCOPE_SYS
	s_wait_loadcnt 0x0
	global_inv scope:SCOPE_SYS
	v_mov_b32_e32 v14, 0
	v_cmp_eq_u32_e64 s0, 0, v0
	s_or_not1_b32 s12, s0, exec_lo
.LBB1_2080:                             ;   in Loop: Header=BB1_2078 Depth=2
	s_wait_xcnt 0x0
	s_or_b32 exec_lo, exec_lo, s13
	s_and_saveexec_b32 s13, s12
	s_cbranch_execz .LBB1_2082
; %bb.2081:                             ;   in Loop: Header=BB1_2078 Depth=2
	s_wait_loadcnt 0x0
	v_cmp_eq_u32_e64 s0, s14, v5
	v_cmp_eq_u32_e64 s1, s14, v7
	s_and_b32 s0, s0, s1
	s_delay_alu instid0(SALU_CYCLE_1)
	s_or_not1_b32 s1, s0, exec_lo
.LBB1_2082:                             ;   in Loop: Header=BB1_2078 Depth=2
	s_or_b32 exec_lo, exec_lo, s13
	s_delay_alu instid0(SALU_CYCLE_1) | instskip(NEXT) | instid1(SALU_CYCLE_1)
	s_and_b32 s0, exec_lo, s1
	s_or_b32 s7, s0, s7
	s_delay_alu instid0(SALU_CYCLE_1)
	s_and_not1_b32 exec_lo, exec_lo, s7
	s_cbranch_execnz .LBB1_2078
; %bb.2083:                             ;   in Loop: Header=BB1_2078 Depth=2
	s_or_b32 exec_lo, exec_lo, s7
	s_wait_loadcnt 0x0
	v_dual_mov_b32 v5, v6 :: v_dual_mov_b32 v14, 0
	s_mov_b32 s7, 0
	s_delay_alu instid0(VALU_DEP_1) | instskip(SKIP_1) | instid1(SALU_CYCLE_1)
	v_cmp_eq_u64_e64 s0, s[14:15], v[4:5]
	s_or_b32 s16, s0, s16
	s_and_not1_b32 exec_lo, exec_lo, s16
	s_cbranch_execnz .LBB1_2078
; %bb.2084:                             ;   in Loop: Header=BB1_1755 Depth=1
	s_or_b32 exec_lo, exec_lo, s16
	s_add_co_i32 s12, s6, 47
	v_lshl_add_u64 v[4:5], s[4:5], 4, v[12:13]
	s_mul_hi_u32 s0, s12, 0x10624dd3
	s_mov_b32 s16, 0
	s_lshr_b32 s0, s0, 6
	s_mov_b32 s17, s14
	s_mul_i32 s4, s0, 0x3e8
	s_mov_b32 s19, s5
	s_sub_co_i32 s4, s12, s4
	s_or_b64 s[0:1], s[16:17], s[14:15]
	s_lshl_b32 s18, s4, 12
	v_dual_mov_b32 v0, s0 :: v_dual_mov_b32 v1, s1
	v_add_nc_u64_e32 v[8:9], s[18:19], v[10:11]
	v_dual_mov_b32 v3, s14 :: v_dual_mov_b32 v14, 0
	s_lshl_b32 s4, s4, 8
	s_mov_b32 s13, s5
	s_mov_b32 s7, s16
	global_store_b128 v[4:5], v[0:3], off th:TH_STORE_NT
.LBB1_2085:                             ;   Parent Loop BB1_1755 Depth=1
                                        ; =>  This Inner Loop Header: Depth=2
	s_wait_loadcnt 0x0
	global_load_b128 v[4:7], v[8:9], off th:TH_LOAD_NT
	v_add_nc_u32_e32 v14, 1, v14
	s_mov_b32 s1, -1
	s_mov_b32 s14, -1
	s_mov_b32 s15, exec_lo
	s_wait_xcnt 0x0
	v_cmpx_eq_u32_e32 0xf4240, v14
	s_cbranch_execz .LBB1_2087
; %bb.2086:                             ;   in Loop: Header=BB1_2085 Depth=2
	s_wait_loadcnt 0x0
	s_wait_storecnt 0x0
	global_load_b32 v0, v2, s[10:11] scope:SCOPE_SYS
	s_wait_loadcnt 0x0
	global_inv scope:SCOPE_SYS
	v_mov_b32_e32 v14, 0
	v_cmp_eq_u32_e64 s0, 0, v0
	s_or_not1_b32 s14, s0, exec_lo
.LBB1_2087:                             ;   in Loop: Header=BB1_2085 Depth=2
	s_wait_xcnt 0x0
	s_or_b32 exec_lo, exec_lo, s15
	s_and_saveexec_b32 s15, s14
	s_cbranch_execz .LBB1_2089
; %bb.2088:                             ;   in Loop: Header=BB1_2085 Depth=2
	s_wait_loadcnt 0x0
	v_cmp_eq_u32_e64 s0, s12, v5
	v_cmp_eq_u32_e64 s1, s12, v7
	s_and_b32 s0, s0, s1
	s_delay_alu instid0(SALU_CYCLE_1)
	s_or_not1_b32 s1, s0, exec_lo
.LBB1_2089:                             ;   in Loop: Header=BB1_2085 Depth=2
	s_or_b32 exec_lo, exec_lo, s15
	s_delay_alu instid0(SALU_CYCLE_1) | instskip(NEXT) | instid1(SALU_CYCLE_1)
	s_and_b32 s0, exec_lo, s1
	s_or_b32 s7, s0, s7
	s_delay_alu instid0(SALU_CYCLE_1)
	s_and_not1_b32 exec_lo, exec_lo, s7
	s_cbranch_execnz .LBB1_2085
; %bb.2090:                             ;   in Loop: Header=BB1_2085 Depth=2
	s_or_b32 exec_lo, exec_lo, s7
	s_wait_loadcnt 0x0
	v_dual_mov_b32 v5, v6 :: v_dual_mov_b32 v14, 0
	s_mov_b32 s7, 0
	s_delay_alu instid0(VALU_DEP_1) | instskip(SKIP_1) | instid1(SALU_CYCLE_1)
	v_cmp_eq_u64_e64 s0, s[12:13], v[4:5]
	s_or_b32 s16, s0, s16
	s_and_not1_b32 exec_lo, exec_lo, s16
	s_cbranch_execnz .LBB1_2085
; %bb.2091:                             ;   in Loop: Header=BB1_1755 Depth=1
	s_or_b32 exec_lo, exec_lo, s16
	s_add_co_i32 s14, s6, 48
	v_lshl_add_u64 v[4:5], s[4:5], 4, v[12:13]
	s_mul_hi_u32 s0, s14, 0x10624dd3
	s_mov_b32 s16, 0
	s_lshr_b32 s0, s0, 6
	s_mov_b32 s17, s12
	s_mul_i32 s4, s0, 0x3e8
	s_mov_b32 s19, s5
	s_sub_co_i32 s4, s14, s4
	s_or_b64 s[0:1], s[16:17], s[12:13]
	s_lshl_b32 s18, s4, 12
	v_dual_mov_b32 v0, s0 :: v_dual_mov_b32 v1, s1
	v_add_nc_u64_e32 v[8:9], s[18:19], v[10:11]
	v_dual_mov_b32 v3, s12 :: v_dual_mov_b32 v14, 0
	s_lshl_b32 s4, s4, 8
	s_mov_b32 s15, s5
	s_mov_b32 s7, s16
	global_store_b128 v[4:5], v[0:3], off th:TH_STORE_NT
.LBB1_2092:                             ;   Parent Loop BB1_1755 Depth=1
                                        ; =>  This Inner Loop Header: Depth=2
	s_wait_loadcnt 0x0
	global_load_b128 v[4:7], v[8:9], off th:TH_LOAD_NT
	v_add_nc_u32_e32 v14, 1, v14
	s_mov_b32 s1, -1
	s_mov_b32 s12, -1
	s_mov_b32 s13, exec_lo
	s_wait_xcnt 0x0
	v_cmpx_eq_u32_e32 0xf4240, v14
	s_cbranch_execz .LBB1_2094
; %bb.2093:                             ;   in Loop: Header=BB1_2092 Depth=2
	s_wait_loadcnt 0x0
	s_wait_storecnt 0x0
	global_load_b32 v0, v2, s[10:11] scope:SCOPE_SYS
	s_wait_loadcnt 0x0
	global_inv scope:SCOPE_SYS
	v_mov_b32_e32 v14, 0
	v_cmp_eq_u32_e64 s0, 0, v0
	s_or_not1_b32 s12, s0, exec_lo
.LBB1_2094:                             ;   in Loop: Header=BB1_2092 Depth=2
	s_wait_xcnt 0x0
	s_or_b32 exec_lo, exec_lo, s13
	s_and_saveexec_b32 s13, s12
	s_cbranch_execz .LBB1_2096
; %bb.2095:                             ;   in Loop: Header=BB1_2092 Depth=2
	s_wait_loadcnt 0x0
	v_cmp_eq_u32_e64 s0, s14, v5
	v_cmp_eq_u32_e64 s1, s14, v7
	s_and_b32 s0, s0, s1
	s_delay_alu instid0(SALU_CYCLE_1)
	s_or_not1_b32 s1, s0, exec_lo
.LBB1_2096:                             ;   in Loop: Header=BB1_2092 Depth=2
	s_or_b32 exec_lo, exec_lo, s13
	s_delay_alu instid0(SALU_CYCLE_1) | instskip(NEXT) | instid1(SALU_CYCLE_1)
	s_and_b32 s0, exec_lo, s1
	s_or_b32 s7, s0, s7
	s_delay_alu instid0(SALU_CYCLE_1)
	s_and_not1_b32 exec_lo, exec_lo, s7
	s_cbranch_execnz .LBB1_2092
; %bb.2097:                             ;   in Loop: Header=BB1_2092 Depth=2
	s_or_b32 exec_lo, exec_lo, s7
	s_wait_loadcnt 0x0
	v_dual_mov_b32 v5, v6 :: v_dual_mov_b32 v14, 0
	s_mov_b32 s7, 0
	s_delay_alu instid0(VALU_DEP_1) | instskip(SKIP_1) | instid1(SALU_CYCLE_1)
	v_cmp_eq_u64_e64 s0, s[14:15], v[4:5]
	s_or_b32 s16, s0, s16
	s_and_not1_b32 exec_lo, exec_lo, s16
	s_cbranch_execnz .LBB1_2092
; %bb.2098:                             ;   in Loop: Header=BB1_1755 Depth=1
	s_or_b32 exec_lo, exec_lo, s16
	s_add_co_i32 s12, s6, 49
	v_lshl_add_u64 v[4:5], s[4:5], 4, v[12:13]
	s_mul_hi_u32 s0, s12, 0x10624dd3
	s_mov_b32 s16, 0
	s_lshr_b32 s0, s0, 6
	s_mov_b32 s17, s14
	s_mul_i32 s4, s0, 0x3e8
	s_mov_b32 s19, s5
	s_sub_co_i32 s4, s12, s4
	s_or_b64 s[0:1], s[16:17], s[14:15]
	s_lshl_b32 s18, s4, 12
	v_dual_mov_b32 v0, s0 :: v_dual_mov_b32 v1, s1
	v_add_nc_u64_e32 v[8:9], s[18:19], v[10:11]
	v_dual_mov_b32 v3, s14 :: v_dual_mov_b32 v14, 0
	s_lshl_b32 s4, s4, 8
	s_mov_b32 s13, s5
	s_mov_b32 s7, s16
	global_store_b128 v[4:5], v[0:3], off th:TH_STORE_NT
.LBB1_2099:                             ;   Parent Loop BB1_1755 Depth=1
                                        ; =>  This Inner Loop Header: Depth=2
	s_wait_loadcnt 0x0
	global_load_b128 v[4:7], v[8:9], off th:TH_LOAD_NT
	v_add_nc_u32_e32 v14, 1, v14
	s_mov_b32 s1, -1
	s_mov_b32 s14, -1
	s_mov_b32 s15, exec_lo
	s_wait_xcnt 0x0
	v_cmpx_eq_u32_e32 0xf4240, v14
	s_cbranch_execz .LBB1_2101
; %bb.2100:                             ;   in Loop: Header=BB1_2099 Depth=2
	s_wait_loadcnt 0x0
	s_wait_storecnt 0x0
	global_load_b32 v0, v2, s[10:11] scope:SCOPE_SYS
	s_wait_loadcnt 0x0
	global_inv scope:SCOPE_SYS
	v_mov_b32_e32 v14, 0
	v_cmp_eq_u32_e64 s0, 0, v0
	s_or_not1_b32 s14, s0, exec_lo
.LBB1_2101:                             ;   in Loop: Header=BB1_2099 Depth=2
	s_wait_xcnt 0x0
	s_or_b32 exec_lo, exec_lo, s15
	s_and_saveexec_b32 s15, s14
	s_cbranch_execz .LBB1_2103
; %bb.2102:                             ;   in Loop: Header=BB1_2099 Depth=2
	s_wait_loadcnt 0x0
	v_cmp_eq_u32_e64 s0, s12, v5
	v_cmp_eq_u32_e64 s1, s12, v7
	s_and_b32 s0, s0, s1
	s_delay_alu instid0(SALU_CYCLE_1)
	s_or_not1_b32 s1, s0, exec_lo
.LBB1_2103:                             ;   in Loop: Header=BB1_2099 Depth=2
	s_or_b32 exec_lo, exec_lo, s15
	s_delay_alu instid0(SALU_CYCLE_1) | instskip(NEXT) | instid1(SALU_CYCLE_1)
	s_and_b32 s0, exec_lo, s1
	s_or_b32 s7, s0, s7
	s_delay_alu instid0(SALU_CYCLE_1)
	s_and_not1_b32 exec_lo, exec_lo, s7
	s_cbranch_execnz .LBB1_2099
; %bb.2104:                             ;   in Loop: Header=BB1_2099 Depth=2
	s_or_b32 exec_lo, exec_lo, s7
	s_wait_loadcnt 0x0
	v_dual_mov_b32 v5, v6 :: v_dual_mov_b32 v14, 0
	s_mov_b32 s7, 0
	s_delay_alu instid0(VALU_DEP_1) | instskip(SKIP_1) | instid1(SALU_CYCLE_1)
	v_cmp_eq_u64_e64 s0, s[12:13], v[4:5]
	s_or_b32 s16, s0, s16
	s_and_not1_b32 exec_lo, exec_lo, s16
	s_cbranch_execnz .LBB1_2099
; %bb.2105:                             ;   in Loop: Header=BB1_1755 Depth=1
	s_or_b32 exec_lo, exec_lo, s16
	s_add_co_i32 s14, s6, 50
	v_lshl_add_u64 v[4:5], s[4:5], 4, v[12:13]
	s_mul_hi_u32 s0, s14, 0x10624dd3
	s_mov_b32 s16, 0
	s_lshr_b32 s0, s0, 6
	s_mov_b32 s17, s12
	s_mul_i32 s4, s0, 0x3e8
	s_mov_b32 s19, s5
	s_sub_co_i32 s4, s14, s4
	s_or_b64 s[0:1], s[16:17], s[12:13]
	s_lshl_b32 s18, s4, 12
	v_dual_mov_b32 v0, s0 :: v_dual_mov_b32 v1, s1
	v_add_nc_u64_e32 v[8:9], s[18:19], v[10:11]
	v_dual_mov_b32 v3, s12 :: v_dual_mov_b32 v14, 0
	s_lshl_b32 s4, s4, 8
	s_mov_b32 s15, s5
	s_mov_b32 s7, s16
	global_store_b128 v[4:5], v[0:3], off th:TH_STORE_NT
.LBB1_2106:                             ;   Parent Loop BB1_1755 Depth=1
                                        ; =>  This Inner Loop Header: Depth=2
	s_wait_loadcnt 0x0
	global_load_b128 v[4:7], v[8:9], off th:TH_LOAD_NT
	v_add_nc_u32_e32 v14, 1, v14
	s_mov_b32 s1, -1
	s_mov_b32 s12, -1
	s_mov_b32 s13, exec_lo
	s_wait_xcnt 0x0
	v_cmpx_eq_u32_e32 0xf4240, v14
	s_cbranch_execz .LBB1_2108
; %bb.2107:                             ;   in Loop: Header=BB1_2106 Depth=2
	s_wait_loadcnt 0x0
	s_wait_storecnt 0x0
	global_load_b32 v0, v2, s[10:11] scope:SCOPE_SYS
	s_wait_loadcnt 0x0
	global_inv scope:SCOPE_SYS
	v_mov_b32_e32 v14, 0
	v_cmp_eq_u32_e64 s0, 0, v0
	s_or_not1_b32 s12, s0, exec_lo
.LBB1_2108:                             ;   in Loop: Header=BB1_2106 Depth=2
	s_wait_xcnt 0x0
	s_or_b32 exec_lo, exec_lo, s13
	s_and_saveexec_b32 s13, s12
	s_cbranch_execz .LBB1_2110
; %bb.2109:                             ;   in Loop: Header=BB1_2106 Depth=2
	s_wait_loadcnt 0x0
	v_cmp_eq_u32_e64 s0, s14, v5
	v_cmp_eq_u32_e64 s1, s14, v7
	s_and_b32 s0, s0, s1
	s_delay_alu instid0(SALU_CYCLE_1)
	s_or_not1_b32 s1, s0, exec_lo
.LBB1_2110:                             ;   in Loop: Header=BB1_2106 Depth=2
	s_or_b32 exec_lo, exec_lo, s13
	s_delay_alu instid0(SALU_CYCLE_1) | instskip(NEXT) | instid1(SALU_CYCLE_1)
	s_and_b32 s0, exec_lo, s1
	s_or_b32 s7, s0, s7
	s_delay_alu instid0(SALU_CYCLE_1)
	s_and_not1_b32 exec_lo, exec_lo, s7
	s_cbranch_execnz .LBB1_2106
; %bb.2111:                             ;   in Loop: Header=BB1_2106 Depth=2
	s_or_b32 exec_lo, exec_lo, s7
	s_wait_loadcnt 0x0
	v_dual_mov_b32 v5, v6 :: v_dual_mov_b32 v14, 0
	s_mov_b32 s7, 0
	s_delay_alu instid0(VALU_DEP_1) | instskip(SKIP_1) | instid1(SALU_CYCLE_1)
	v_cmp_eq_u64_e64 s0, s[14:15], v[4:5]
	s_or_b32 s16, s0, s16
	s_and_not1_b32 exec_lo, exec_lo, s16
	s_cbranch_execnz .LBB1_2106
; %bb.2112:                             ;   in Loop: Header=BB1_1755 Depth=1
	s_or_b32 exec_lo, exec_lo, s16
	s_add_co_i32 s12, s6, 51
	v_lshl_add_u64 v[4:5], s[4:5], 4, v[12:13]
	s_mul_hi_u32 s0, s12, 0x10624dd3
	s_mov_b32 s16, 0
	s_lshr_b32 s0, s0, 6
	s_mov_b32 s17, s14
	s_mul_i32 s4, s0, 0x3e8
	s_mov_b32 s19, s5
	s_sub_co_i32 s4, s12, s4
	s_or_b64 s[0:1], s[16:17], s[14:15]
	s_lshl_b32 s18, s4, 12
	v_dual_mov_b32 v0, s0 :: v_dual_mov_b32 v1, s1
	v_add_nc_u64_e32 v[8:9], s[18:19], v[10:11]
	v_dual_mov_b32 v3, s14 :: v_dual_mov_b32 v14, 0
	s_lshl_b32 s4, s4, 8
	s_mov_b32 s13, s5
	s_mov_b32 s7, s16
	global_store_b128 v[4:5], v[0:3], off th:TH_STORE_NT
.LBB1_2113:                             ;   Parent Loop BB1_1755 Depth=1
                                        ; =>  This Inner Loop Header: Depth=2
	s_wait_loadcnt 0x0
	global_load_b128 v[4:7], v[8:9], off th:TH_LOAD_NT
	v_add_nc_u32_e32 v14, 1, v14
	s_mov_b32 s1, -1
	s_mov_b32 s14, -1
	s_mov_b32 s15, exec_lo
	s_wait_xcnt 0x0
	v_cmpx_eq_u32_e32 0xf4240, v14
	s_cbranch_execz .LBB1_2115
; %bb.2114:                             ;   in Loop: Header=BB1_2113 Depth=2
	s_wait_loadcnt 0x0
	s_wait_storecnt 0x0
	global_load_b32 v0, v2, s[10:11] scope:SCOPE_SYS
	s_wait_loadcnt 0x0
	global_inv scope:SCOPE_SYS
	v_mov_b32_e32 v14, 0
	v_cmp_eq_u32_e64 s0, 0, v0
	s_or_not1_b32 s14, s0, exec_lo
.LBB1_2115:                             ;   in Loop: Header=BB1_2113 Depth=2
	s_wait_xcnt 0x0
	s_or_b32 exec_lo, exec_lo, s15
	s_and_saveexec_b32 s15, s14
	s_cbranch_execz .LBB1_2117
; %bb.2116:                             ;   in Loop: Header=BB1_2113 Depth=2
	s_wait_loadcnt 0x0
	v_cmp_eq_u32_e64 s0, s12, v5
	v_cmp_eq_u32_e64 s1, s12, v7
	s_and_b32 s0, s0, s1
	s_delay_alu instid0(SALU_CYCLE_1)
	s_or_not1_b32 s1, s0, exec_lo
.LBB1_2117:                             ;   in Loop: Header=BB1_2113 Depth=2
	s_or_b32 exec_lo, exec_lo, s15
	s_delay_alu instid0(SALU_CYCLE_1) | instskip(NEXT) | instid1(SALU_CYCLE_1)
	s_and_b32 s0, exec_lo, s1
	s_or_b32 s7, s0, s7
	s_delay_alu instid0(SALU_CYCLE_1)
	s_and_not1_b32 exec_lo, exec_lo, s7
	s_cbranch_execnz .LBB1_2113
; %bb.2118:                             ;   in Loop: Header=BB1_2113 Depth=2
	s_or_b32 exec_lo, exec_lo, s7
	s_wait_loadcnt 0x0
	v_dual_mov_b32 v5, v6 :: v_dual_mov_b32 v14, 0
	s_mov_b32 s7, 0
	s_delay_alu instid0(VALU_DEP_1) | instskip(SKIP_1) | instid1(SALU_CYCLE_1)
	v_cmp_eq_u64_e64 s0, s[12:13], v[4:5]
	s_or_b32 s16, s0, s16
	s_and_not1_b32 exec_lo, exec_lo, s16
	s_cbranch_execnz .LBB1_2113
; %bb.2119:                             ;   in Loop: Header=BB1_1755 Depth=1
	s_or_b32 exec_lo, exec_lo, s16
	s_add_co_i32 s14, s6, 52
	v_lshl_add_u64 v[4:5], s[4:5], 4, v[12:13]
	s_mul_hi_u32 s0, s14, 0x10624dd3
	s_mov_b32 s16, 0
	s_lshr_b32 s0, s0, 6
	s_mov_b32 s17, s12
	s_mul_i32 s4, s0, 0x3e8
	s_mov_b32 s19, s5
	s_sub_co_i32 s4, s14, s4
	s_or_b64 s[0:1], s[16:17], s[12:13]
	s_lshl_b32 s18, s4, 12
	v_dual_mov_b32 v0, s0 :: v_dual_mov_b32 v1, s1
	v_add_nc_u64_e32 v[8:9], s[18:19], v[10:11]
	v_dual_mov_b32 v3, s12 :: v_dual_mov_b32 v14, 0
	s_lshl_b32 s4, s4, 8
	s_mov_b32 s15, s5
	s_mov_b32 s7, s16
	global_store_b128 v[4:5], v[0:3], off th:TH_STORE_NT
.LBB1_2120:                             ;   Parent Loop BB1_1755 Depth=1
                                        ; =>  This Inner Loop Header: Depth=2
	s_wait_loadcnt 0x0
	global_load_b128 v[4:7], v[8:9], off th:TH_LOAD_NT
	v_add_nc_u32_e32 v14, 1, v14
	s_mov_b32 s1, -1
	s_mov_b32 s12, -1
	s_mov_b32 s13, exec_lo
	s_wait_xcnt 0x0
	v_cmpx_eq_u32_e32 0xf4240, v14
	s_cbranch_execz .LBB1_2122
; %bb.2121:                             ;   in Loop: Header=BB1_2120 Depth=2
	s_wait_loadcnt 0x0
	s_wait_storecnt 0x0
	global_load_b32 v0, v2, s[10:11] scope:SCOPE_SYS
	s_wait_loadcnt 0x0
	global_inv scope:SCOPE_SYS
	v_mov_b32_e32 v14, 0
	v_cmp_eq_u32_e64 s0, 0, v0
	s_or_not1_b32 s12, s0, exec_lo
.LBB1_2122:                             ;   in Loop: Header=BB1_2120 Depth=2
	s_wait_xcnt 0x0
	s_or_b32 exec_lo, exec_lo, s13
	s_and_saveexec_b32 s13, s12
	s_cbranch_execz .LBB1_2124
; %bb.2123:                             ;   in Loop: Header=BB1_2120 Depth=2
	s_wait_loadcnt 0x0
	v_cmp_eq_u32_e64 s0, s14, v5
	v_cmp_eq_u32_e64 s1, s14, v7
	s_and_b32 s0, s0, s1
	s_delay_alu instid0(SALU_CYCLE_1)
	s_or_not1_b32 s1, s0, exec_lo
.LBB1_2124:                             ;   in Loop: Header=BB1_2120 Depth=2
	s_or_b32 exec_lo, exec_lo, s13
	s_delay_alu instid0(SALU_CYCLE_1) | instskip(NEXT) | instid1(SALU_CYCLE_1)
	s_and_b32 s0, exec_lo, s1
	s_or_b32 s7, s0, s7
	s_delay_alu instid0(SALU_CYCLE_1)
	s_and_not1_b32 exec_lo, exec_lo, s7
	s_cbranch_execnz .LBB1_2120
; %bb.2125:                             ;   in Loop: Header=BB1_2120 Depth=2
	s_or_b32 exec_lo, exec_lo, s7
	s_wait_loadcnt 0x0
	v_dual_mov_b32 v5, v6 :: v_dual_mov_b32 v14, 0
	s_mov_b32 s7, 0
	s_delay_alu instid0(VALU_DEP_1) | instskip(SKIP_1) | instid1(SALU_CYCLE_1)
	v_cmp_eq_u64_e64 s0, s[14:15], v[4:5]
	s_or_b32 s16, s0, s16
	s_and_not1_b32 exec_lo, exec_lo, s16
	s_cbranch_execnz .LBB1_2120
; %bb.2126:                             ;   in Loop: Header=BB1_1755 Depth=1
	s_or_b32 exec_lo, exec_lo, s16
	s_add_co_i32 s12, s6, 53
	v_lshl_add_u64 v[4:5], s[4:5], 4, v[12:13]
	s_mul_hi_u32 s0, s12, 0x10624dd3
	s_mov_b32 s16, 0
	s_lshr_b32 s0, s0, 6
	s_mov_b32 s17, s14
	s_mul_i32 s4, s0, 0x3e8
	s_mov_b32 s19, s5
	s_sub_co_i32 s4, s12, s4
	s_or_b64 s[0:1], s[16:17], s[14:15]
	s_lshl_b32 s18, s4, 12
	v_dual_mov_b32 v0, s0 :: v_dual_mov_b32 v1, s1
	v_add_nc_u64_e32 v[8:9], s[18:19], v[10:11]
	v_dual_mov_b32 v3, s14 :: v_dual_mov_b32 v14, 0
	s_lshl_b32 s4, s4, 8
	s_mov_b32 s13, s5
	s_mov_b32 s7, s16
	global_store_b128 v[4:5], v[0:3], off th:TH_STORE_NT
.LBB1_2127:                             ;   Parent Loop BB1_1755 Depth=1
                                        ; =>  This Inner Loop Header: Depth=2
	s_wait_loadcnt 0x0
	global_load_b128 v[4:7], v[8:9], off th:TH_LOAD_NT
	v_add_nc_u32_e32 v14, 1, v14
	s_mov_b32 s1, -1
	s_mov_b32 s14, -1
	s_mov_b32 s15, exec_lo
	s_wait_xcnt 0x0
	v_cmpx_eq_u32_e32 0xf4240, v14
	s_cbranch_execz .LBB1_2129
; %bb.2128:                             ;   in Loop: Header=BB1_2127 Depth=2
	s_wait_loadcnt 0x0
	s_wait_storecnt 0x0
	global_load_b32 v0, v2, s[10:11] scope:SCOPE_SYS
	s_wait_loadcnt 0x0
	global_inv scope:SCOPE_SYS
	v_mov_b32_e32 v14, 0
	v_cmp_eq_u32_e64 s0, 0, v0
	s_or_not1_b32 s14, s0, exec_lo
.LBB1_2129:                             ;   in Loop: Header=BB1_2127 Depth=2
	s_wait_xcnt 0x0
	s_or_b32 exec_lo, exec_lo, s15
	s_and_saveexec_b32 s15, s14
	s_cbranch_execz .LBB1_2131
; %bb.2130:                             ;   in Loop: Header=BB1_2127 Depth=2
	s_wait_loadcnt 0x0
	v_cmp_eq_u32_e64 s0, s12, v5
	v_cmp_eq_u32_e64 s1, s12, v7
	s_and_b32 s0, s0, s1
	s_delay_alu instid0(SALU_CYCLE_1)
	s_or_not1_b32 s1, s0, exec_lo
.LBB1_2131:                             ;   in Loop: Header=BB1_2127 Depth=2
	s_or_b32 exec_lo, exec_lo, s15
	s_delay_alu instid0(SALU_CYCLE_1) | instskip(NEXT) | instid1(SALU_CYCLE_1)
	s_and_b32 s0, exec_lo, s1
	s_or_b32 s7, s0, s7
	s_delay_alu instid0(SALU_CYCLE_1)
	s_and_not1_b32 exec_lo, exec_lo, s7
	s_cbranch_execnz .LBB1_2127
; %bb.2132:                             ;   in Loop: Header=BB1_2127 Depth=2
	s_or_b32 exec_lo, exec_lo, s7
	s_wait_loadcnt 0x0
	v_dual_mov_b32 v5, v6 :: v_dual_mov_b32 v14, 0
	s_mov_b32 s7, 0
	s_delay_alu instid0(VALU_DEP_1) | instskip(SKIP_1) | instid1(SALU_CYCLE_1)
	v_cmp_eq_u64_e64 s0, s[12:13], v[4:5]
	s_or_b32 s16, s0, s16
	s_and_not1_b32 exec_lo, exec_lo, s16
	s_cbranch_execnz .LBB1_2127
; %bb.2133:                             ;   in Loop: Header=BB1_1755 Depth=1
	s_or_b32 exec_lo, exec_lo, s16
	s_add_co_i32 s14, s6, 54
	v_lshl_add_u64 v[4:5], s[4:5], 4, v[12:13]
	s_mul_hi_u32 s0, s14, 0x10624dd3
	s_mov_b32 s16, 0
	s_lshr_b32 s0, s0, 6
	s_mov_b32 s17, s12
	s_mul_i32 s4, s0, 0x3e8
	s_mov_b32 s19, s5
	s_sub_co_i32 s4, s14, s4
	s_or_b64 s[0:1], s[16:17], s[12:13]
	s_lshl_b32 s18, s4, 12
	v_dual_mov_b32 v0, s0 :: v_dual_mov_b32 v1, s1
	v_add_nc_u64_e32 v[8:9], s[18:19], v[10:11]
	v_dual_mov_b32 v3, s12 :: v_dual_mov_b32 v14, 0
	s_lshl_b32 s4, s4, 8
	s_mov_b32 s15, s5
	s_mov_b32 s7, s16
	global_store_b128 v[4:5], v[0:3], off th:TH_STORE_NT
.LBB1_2134:                             ;   Parent Loop BB1_1755 Depth=1
                                        ; =>  This Inner Loop Header: Depth=2
	s_wait_loadcnt 0x0
	global_load_b128 v[4:7], v[8:9], off th:TH_LOAD_NT
	v_add_nc_u32_e32 v14, 1, v14
	s_mov_b32 s1, -1
	s_mov_b32 s12, -1
	s_mov_b32 s13, exec_lo
	s_wait_xcnt 0x0
	v_cmpx_eq_u32_e32 0xf4240, v14
	s_cbranch_execz .LBB1_2136
; %bb.2135:                             ;   in Loop: Header=BB1_2134 Depth=2
	s_wait_loadcnt 0x0
	s_wait_storecnt 0x0
	global_load_b32 v0, v2, s[10:11] scope:SCOPE_SYS
	s_wait_loadcnt 0x0
	global_inv scope:SCOPE_SYS
	v_mov_b32_e32 v14, 0
	v_cmp_eq_u32_e64 s0, 0, v0
	s_or_not1_b32 s12, s0, exec_lo
.LBB1_2136:                             ;   in Loop: Header=BB1_2134 Depth=2
	s_wait_xcnt 0x0
	s_or_b32 exec_lo, exec_lo, s13
	s_and_saveexec_b32 s13, s12
	s_cbranch_execz .LBB1_2138
; %bb.2137:                             ;   in Loop: Header=BB1_2134 Depth=2
	s_wait_loadcnt 0x0
	v_cmp_eq_u32_e64 s0, s14, v5
	v_cmp_eq_u32_e64 s1, s14, v7
	s_and_b32 s0, s0, s1
	s_delay_alu instid0(SALU_CYCLE_1)
	s_or_not1_b32 s1, s0, exec_lo
.LBB1_2138:                             ;   in Loop: Header=BB1_2134 Depth=2
	s_or_b32 exec_lo, exec_lo, s13
	s_delay_alu instid0(SALU_CYCLE_1) | instskip(NEXT) | instid1(SALU_CYCLE_1)
	s_and_b32 s0, exec_lo, s1
	s_or_b32 s7, s0, s7
	s_delay_alu instid0(SALU_CYCLE_1)
	s_and_not1_b32 exec_lo, exec_lo, s7
	s_cbranch_execnz .LBB1_2134
; %bb.2139:                             ;   in Loop: Header=BB1_2134 Depth=2
	s_or_b32 exec_lo, exec_lo, s7
	s_wait_loadcnt 0x0
	v_dual_mov_b32 v5, v6 :: v_dual_mov_b32 v14, 0
	s_mov_b32 s7, 0
	s_delay_alu instid0(VALU_DEP_1) | instskip(SKIP_1) | instid1(SALU_CYCLE_1)
	v_cmp_eq_u64_e64 s0, s[14:15], v[4:5]
	s_or_b32 s16, s0, s16
	s_and_not1_b32 exec_lo, exec_lo, s16
	s_cbranch_execnz .LBB1_2134
; %bb.2140:                             ;   in Loop: Header=BB1_1755 Depth=1
	s_or_b32 exec_lo, exec_lo, s16
	s_add_co_i32 s12, s6, 55
	v_lshl_add_u64 v[4:5], s[4:5], 4, v[12:13]
	s_mul_hi_u32 s0, s12, 0x10624dd3
	s_mov_b32 s16, 0
	s_lshr_b32 s0, s0, 6
	s_mov_b32 s17, s14
	s_mul_i32 s4, s0, 0x3e8
	s_mov_b32 s19, s5
	s_sub_co_i32 s4, s12, s4
	s_or_b64 s[0:1], s[16:17], s[14:15]
	s_lshl_b32 s18, s4, 12
	v_dual_mov_b32 v0, s0 :: v_dual_mov_b32 v1, s1
	v_add_nc_u64_e32 v[8:9], s[18:19], v[10:11]
	v_dual_mov_b32 v3, s14 :: v_dual_mov_b32 v14, 0
	s_lshl_b32 s4, s4, 8
	s_mov_b32 s13, s5
	s_mov_b32 s7, s16
	global_store_b128 v[4:5], v[0:3], off th:TH_STORE_NT
.LBB1_2141:                             ;   Parent Loop BB1_1755 Depth=1
                                        ; =>  This Inner Loop Header: Depth=2
	s_wait_loadcnt 0x0
	global_load_b128 v[4:7], v[8:9], off th:TH_LOAD_NT
	v_add_nc_u32_e32 v14, 1, v14
	s_mov_b32 s1, -1
	s_mov_b32 s14, -1
	s_mov_b32 s15, exec_lo
	s_wait_xcnt 0x0
	v_cmpx_eq_u32_e32 0xf4240, v14
	s_cbranch_execz .LBB1_2143
; %bb.2142:                             ;   in Loop: Header=BB1_2141 Depth=2
	s_wait_loadcnt 0x0
	s_wait_storecnt 0x0
	global_load_b32 v0, v2, s[10:11] scope:SCOPE_SYS
	s_wait_loadcnt 0x0
	global_inv scope:SCOPE_SYS
	v_mov_b32_e32 v14, 0
	v_cmp_eq_u32_e64 s0, 0, v0
	s_or_not1_b32 s14, s0, exec_lo
.LBB1_2143:                             ;   in Loop: Header=BB1_2141 Depth=2
	s_wait_xcnt 0x0
	s_or_b32 exec_lo, exec_lo, s15
	s_and_saveexec_b32 s15, s14
	s_cbranch_execz .LBB1_2145
; %bb.2144:                             ;   in Loop: Header=BB1_2141 Depth=2
	s_wait_loadcnt 0x0
	v_cmp_eq_u32_e64 s0, s12, v5
	v_cmp_eq_u32_e64 s1, s12, v7
	s_and_b32 s0, s0, s1
	s_delay_alu instid0(SALU_CYCLE_1)
	s_or_not1_b32 s1, s0, exec_lo
.LBB1_2145:                             ;   in Loop: Header=BB1_2141 Depth=2
	s_or_b32 exec_lo, exec_lo, s15
	s_delay_alu instid0(SALU_CYCLE_1) | instskip(NEXT) | instid1(SALU_CYCLE_1)
	s_and_b32 s0, exec_lo, s1
	s_or_b32 s7, s0, s7
	s_delay_alu instid0(SALU_CYCLE_1)
	s_and_not1_b32 exec_lo, exec_lo, s7
	s_cbranch_execnz .LBB1_2141
; %bb.2146:                             ;   in Loop: Header=BB1_2141 Depth=2
	s_or_b32 exec_lo, exec_lo, s7
	s_wait_loadcnt 0x0
	v_dual_mov_b32 v5, v6 :: v_dual_mov_b32 v14, 0
	s_mov_b32 s7, 0
	s_delay_alu instid0(VALU_DEP_1) | instskip(SKIP_1) | instid1(SALU_CYCLE_1)
	v_cmp_eq_u64_e64 s0, s[12:13], v[4:5]
	s_or_b32 s16, s0, s16
	s_and_not1_b32 exec_lo, exec_lo, s16
	s_cbranch_execnz .LBB1_2141
; %bb.2147:                             ;   in Loop: Header=BB1_1755 Depth=1
	s_or_b32 exec_lo, exec_lo, s16
	s_add_co_i32 s14, s6, 56
	v_lshl_add_u64 v[4:5], s[4:5], 4, v[12:13]
	s_mul_hi_u32 s0, s14, 0x10624dd3
	s_mov_b32 s16, 0
	s_lshr_b32 s0, s0, 6
	s_mov_b32 s17, s12
	s_mul_i32 s4, s0, 0x3e8
	s_mov_b32 s19, s5
	s_sub_co_i32 s4, s14, s4
	s_or_b64 s[0:1], s[16:17], s[12:13]
	s_lshl_b32 s18, s4, 12
	v_dual_mov_b32 v0, s0 :: v_dual_mov_b32 v1, s1
	v_add_nc_u64_e32 v[8:9], s[18:19], v[10:11]
	v_dual_mov_b32 v3, s12 :: v_dual_mov_b32 v14, 0
	s_lshl_b32 s4, s4, 8
	s_mov_b32 s15, s5
	s_mov_b32 s7, s16
	global_store_b128 v[4:5], v[0:3], off th:TH_STORE_NT
.LBB1_2148:                             ;   Parent Loop BB1_1755 Depth=1
                                        ; =>  This Inner Loop Header: Depth=2
	s_wait_loadcnt 0x0
	global_load_b128 v[4:7], v[8:9], off th:TH_LOAD_NT
	v_add_nc_u32_e32 v14, 1, v14
	s_mov_b32 s1, -1
	s_mov_b32 s12, -1
	s_mov_b32 s13, exec_lo
	s_wait_xcnt 0x0
	v_cmpx_eq_u32_e32 0xf4240, v14
	s_cbranch_execz .LBB1_2150
; %bb.2149:                             ;   in Loop: Header=BB1_2148 Depth=2
	s_wait_loadcnt 0x0
	s_wait_storecnt 0x0
	global_load_b32 v0, v2, s[10:11] scope:SCOPE_SYS
	s_wait_loadcnt 0x0
	global_inv scope:SCOPE_SYS
	v_mov_b32_e32 v14, 0
	v_cmp_eq_u32_e64 s0, 0, v0
	s_or_not1_b32 s12, s0, exec_lo
.LBB1_2150:                             ;   in Loop: Header=BB1_2148 Depth=2
	s_wait_xcnt 0x0
	s_or_b32 exec_lo, exec_lo, s13
	s_and_saveexec_b32 s13, s12
	s_cbranch_execz .LBB1_2152
; %bb.2151:                             ;   in Loop: Header=BB1_2148 Depth=2
	s_wait_loadcnt 0x0
	v_cmp_eq_u32_e64 s0, s14, v5
	v_cmp_eq_u32_e64 s1, s14, v7
	s_and_b32 s0, s0, s1
	s_delay_alu instid0(SALU_CYCLE_1)
	s_or_not1_b32 s1, s0, exec_lo
.LBB1_2152:                             ;   in Loop: Header=BB1_2148 Depth=2
	s_or_b32 exec_lo, exec_lo, s13
	s_delay_alu instid0(SALU_CYCLE_1) | instskip(NEXT) | instid1(SALU_CYCLE_1)
	s_and_b32 s0, exec_lo, s1
	s_or_b32 s7, s0, s7
	s_delay_alu instid0(SALU_CYCLE_1)
	s_and_not1_b32 exec_lo, exec_lo, s7
	s_cbranch_execnz .LBB1_2148
; %bb.2153:                             ;   in Loop: Header=BB1_2148 Depth=2
	s_or_b32 exec_lo, exec_lo, s7
	s_wait_loadcnt 0x0
	v_dual_mov_b32 v5, v6 :: v_dual_mov_b32 v14, 0
	s_mov_b32 s7, 0
	s_delay_alu instid0(VALU_DEP_1) | instskip(SKIP_1) | instid1(SALU_CYCLE_1)
	v_cmp_eq_u64_e64 s0, s[14:15], v[4:5]
	s_or_b32 s16, s0, s16
	s_and_not1_b32 exec_lo, exec_lo, s16
	s_cbranch_execnz .LBB1_2148
; %bb.2154:                             ;   in Loop: Header=BB1_1755 Depth=1
	s_or_b32 exec_lo, exec_lo, s16
	s_add_co_i32 s12, s6, 57
	v_lshl_add_u64 v[4:5], s[4:5], 4, v[12:13]
	s_mul_hi_u32 s0, s12, 0x10624dd3
	s_mov_b32 s16, 0
	s_lshr_b32 s0, s0, 6
	s_mov_b32 s17, s14
	s_mul_i32 s4, s0, 0x3e8
	s_mov_b32 s19, s5
	s_sub_co_i32 s4, s12, s4
	s_or_b64 s[0:1], s[16:17], s[14:15]
	s_lshl_b32 s18, s4, 12
	v_dual_mov_b32 v0, s0 :: v_dual_mov_b32 v1, s1
	v_add_nc_u64_e32 v[8:9], s[18:19], v[10:11]
	v_dual_mov_b32 v3, s14 :: v_dual_mov_b32 v14, 0
	s_lshl_b32 s4, s4, 8
	s_mov_b32 s13, s5
	s_mov_b32 s7, s16
	global_store_b128 v[4:5], v[0:3], off th:TH_STORE_NT
.LBB1_2155:                             ;   Parent Loop BB1_1755 Depth=1
                                        ; =>  This Inner Loop Header: Depth=2
	s_wait_loadcnt 0x0
	global_load_b128 v[4:7], v[8:9], off th:TH_LOAD_NT
	v_add_nc_u32_e32 v14, 1, v14
	s_mov_b32 s1, -1
	s_mov_b32 s14, -1
	s_mov_b32 s15, exec_lo
	s_wait_xcnt 0x0
	v_cmpx_eq_u32_e32 0xf4240, v14
	s_cbranch_execz .LBB1_2157
; %bb.2156:                             ;   in Loop: Header=BB1_2155 Depth=2
	s_wait_loadcnt 0x0
	s_wait_storecnt 0x0
	global_load_b32 v0, v2, s[10:11] scope:SCOPE_SYS
	s_wait_loadcnt 0x0
	global_inv scope:SCOPE_SYS
	v_mov_b32_e32 v14, 0
	v_cmp_eq_u32_e64 s0, 0, v0
	s_or_not1_b32 s14, s0, exec_lo
.LBB1_2157:                             ;   in Loop: Header=BB1_2155 Depth=2
	s_wait_xcnt 0x0
	s_or_b32 exec_lo, exec_lo, s15
	s_and_saveexec_b32 s15, s14
	s_cbranch_execz .LBB1_2159
; %bb.2158:                             ;   in Loop: Header=BB1_2155 Depth=2
	s_wait_loadcnt 0x0
	v_cmp_eq_u32_e64 s0, s12, v5
	v_cmp_eq_u32_e64 s1, s12, v7
	s_and_b32 s0, s0, s1
	s_delay_alu instid0(SALU_CYCLE_1)
	s_or_not1_b32 s1, s0, exec_lo
.LBB1_2159:                             ;   in Loop: Header=BB1_2155 Depth=2
	s_or_b32 exec_lo, exec_lo, s15
	s_delay_alu instid0(SALU_CYCLE_1) | instskip(NEXT) | instid1(SALU_CYCLE_1)
	s_and_b32 s0, exec_lo, s1
	s_or_b32 s7, s0, s7
	s_delay_alu instid0(SALU_CYCLE_1)
	s_and_not1_b32 exec_lo, exec_lo, s7
	s_cbranch_execnz .LBB1_2155
; %bb.2160:                             ;   in Loop: Header=BB1_2155 Depth=2
	s_or_b32 exec_lo, exec_lo, s7
	s_wait_loadcnt 0x0
	v_dual_mov_b32 v5, v6 :: v_dual_mov_b32 v14, 0
	s_mov_b32 s7, 0
	s_delay_alu instid0(VALU_DEP_1) | instskip(SKIP_1) | instid1(SALU_CYCLE_1)
	v_cmp_eq_u64_e64 s0, s[12:13], v[4:5]
	s_or_b32 s16, s0, s16
	s_and_not1_b32 exec_lo, exec_lo, s16
	s_cbranch_execnz .LBB1_2155
; %bb.2161:                             ;   in Loop: Header=BB1_1755 Depth=1
	s_or_b32 exec_lo, exec_lo, s16
	s_add_co_i32 s14, s6, 58
	v_lshl_add_u64 v[4:5], s[4:5], 4, v[12:13]
	s_mul_hi_u32 s0, s14, 0x10624dd3
	s_mov_b32 s16, 0
	s_lshr_b32 s0, s0, 6
	s_mov_b32 s17, s12
	s_mul_i32 s4, s0, 0x3e8
	s_mov_b32 s19, s5
	s_sub_co_i32 s4, s14, s4
	s_or_b64 s[0:1], s[16:17], s[12:13]
	s_lshl_b32 s18, s4, 12
	v_dual_mov_b32 v0, s0 :: v_dual_mov_b32 v1, s1
	v_add_nc_u64_e32 v[8:9], s[18:19], v[10:11]
	v_dual_mov_b32 v3, s12 :: v_dual_mov_b32 v14, 0
	s_lshl_b32 s4, s4, 8
	s_mov_b32 s15, s5
	s_mov_b32 s7, s16
	global_store_b128 v[4:5], v[0:3], off th:TH_STORE_NT
.LBB1_2162:                             ;   Parent Loop BB1_1755 Depth=1
                                        ; =>  This Inner Loop Header: Depth=2
	s_wait_loadcnt 0x0
	global_load_b128 v[4:7], v[8:9], off th:TH_LOAD_NT
	v_add_nc_u32_e32 v14, 1, v14
	s_mov_b32 s1, -1
	s_mov_b32 s12, -1
	s_mov_b32 s13, exec_lo
	s_wait_xcnt 0x0
	v_cmpx_eq_u32_e32 0xf4240, v14
	s_cbranch_execz .LBB1_2164
; %bb.2163:                             ;   in Loop: Header=BB1_2162 Depth=2
	s_wait_loadcnt 0x0
	s_wait_storecnt 0x0
	global_load_b32 v0, v2, s[10:11] scope:SCOPE_SYS
	s_wait_loadcnt 0x0
	global_inv scope:SCOPE_SYS
	v_mov_b32_e32 v14, 0
	v_cmp_eq_u32_e64 s0, 0, v0
	s_or_not1_b32 s12, s0, exec_lo
.LBB1_2164:                             ;   in Loop: Header=BB1_2162 Depth=2
	s_wait_xcnt 0x0
	s_or_b32 exec_lo, exec_lo, s13
	s_and_saveexec_b32 s13, s12
	s_cbranch_execz .LBB1_2166
; %bb.2165:                             ;   in Loop: Header=BB1_2162 Depth=2
	s_wait_loadcnt 0x0
	v_cmp_eq_u32_e64 s0, s14, v5
	v_cmp_eq_u32_e64 s1, s14, v7
	s_and_b32 s0, s0, s1
	s_delay_alu instid0(SALU_CYCLE_1)
	s_or_not1_b32 s1, s0, exec_lo
.LBB1_2166:                             ;   in Loop: Header=BB1_2162 Depth=2
	s_or_b32 exec_lo, exec_lo, s13
	s_delay_alu instid0(SALU_CYCLE_1) | instskip(NEXT) | instid1(SALU_CYCLE_1)
	s_and_b32 s0, exec_lo, s1
	s_or_b32 s7, s0, s7
	s_delay_alu instid0(SALU_CYCLE_1)
	s_and_not1_b32 exec_lo, exec_lo, s7
	s_cbranch_execnz .LBB1_2162
; %bb.2167:                             ;   in Loop: Header=BB1_2162 Depth=2
	s_or_b32 exec_lo, exec_lo, s7
	s_wait_loadcnt 0x0
	v_dual_mov_b32 v5, v6 :: v_dual_mov_b32 v14, 0
	s_mov_b32 s7, 0
	s_delay_alu instid0(VALU_DEP_1) | instskip(SKIP_1) | instid1(SALU_CYCLE_1)
	v_cmp_eq_u64_e64 s0, s[14:15], v[4:5]
	s_or_b32 s16, s0, s16
	s_and_not1_b32 exec_lo, exec_lo, s16
	s_cbranch_execnz .LBB1_2162
; %bb.2168:                             ;   in Loop: Header=BB1_1755 Depth=1
	s_or_b32 exec_lo, exec_lo, s16
	s_add_co_i32 s12, s6, 59
	v_lshl_add_u64 v[4:5], s[4:5], 4, v[12:13]
	s_mul_hi_u32 s0, s12, 0x10624dd3
	s_mov_b32 s16, 0
	s_lshr_b32 s0, s0, 6
	s_mov_b32 s17, s14
	s_mul_i32 s4, s0, 0x3e8
	s_mov_b32 s19, s5
	s_sub_co_i32 s4, s12, s4
	s_or_b64 s[0:1], s[16:17], s[14:15]
	s_lshl_b32 s18, s4, 12
	v_dual_mov_b32 v0, s0 :: v_dual_mov_b32 v1, s1
	v_add_nc_u64_e32 v[8:9], s[18:19], v[10:11]
	v_dual_mov_b32 v3, s14 :: v_dual_mov_b32 v14, 0
	s_lshl_b32 s4, s4, 8
	s_mov_b32 s13, s5
	s_mov_b32 s7, s16
	global_store_b128 v[4:5], v[0:3], off th:TH_STORE_NT
.LBB1_2169:                             ;   Parent Loop BB1_1755 Depth=1
                                        ; =>  This Inner Loop Header: Depth=2
	s_wait_loadcnt 0x0
	global_load_b128 v[4:7], v[8:9], off th:TH_LOAD_NT
	v_add_nc_u32_e32 v14, 1, v14
	s_mov_b32 s1, -1
	s_mov_b32 s14, -1
	s_mov_b32 s15, exec_lo
	s_wait_xcnt 0x0
	v_cmpx_eq_u32_e32 0xf4240, v14
	s_cbranch_execz .LBB1_2171
; %bb.2170:                             ;   in Loop: Header=BB1_2169 Depth=2
	s_wait_loadcnt 0x0
	s_wait_storecnt 0x0
	global_load_b32 v0, v2, s[10:11] scope:SCOPE_SYS
	s_wait_loadcnt 0x0
	global_inv scope:SCOPE_SYS
	v_mov_b32_e32 v14, 0
	v_cmp_eq_u32_e64 s0, 0, v0
	s_or_not1_b32 s14, s0, exec_lo
.LBB1_2171:                             ;   in Loop: Header=BB1_2169 Depth=2
	s_wait_xcnt 0x0
	s_or_b32 exec_lo, exec_lo, s15
	s_and_saveexec_b32 s15, s14
	s_cbranch_execz .LBB1_2173
; %bb.2172:                             ;   in Loop: Header=BB1_2169 Depth=2
	s_wait_loadcnt 0x0
	v_cmp_eq_u32_e64 s0, s12, v5
	v_cmp_eq_u32_e64 s1, s12, v7
	s_and_b32 s0, s0, s1
	s_delay_alu instid0(SALU_CYCLE_1)
	s_or_not1_b32 s1, s0, exec_lo
.LBB1_2173:                             ;   in Loop: Header=BB1_2169 Depth=2
	s_or_b32 exec_lo, exec_lo, s15
	s_delay_alu instid0(SALU_CYCLE_1) | instskip(NEXT) | instid1(SALU_CYCLE_1)
	s_and_b32 s0, exec_lo, s1
	s_or_b32 s7, s0, s7
	s_delay_alu instid0(SALU_CYCLE_1)
	s_and_not1_b32 exec_lo, exec_lo, s7
	s_cbranch_execnz .LBB1_2169
; %bb.2174:                             ;   in Loop: Header=BB1_2169 Depth=2
	s_or_b32 exec_lo, exec_lo, s7
	s_wait_loadcnt 0x0
	v_dual_mov_b32 v5, v6 :: v_dual_mov_b32 v14, 0
	s_mov_b32 s7, 0
	s_delay_alu instid0(VALU_DEP_1) | instskip(SKIP_1) | instid1(SALU_CYCLE_1)
	v_cmp_eq_u64_e64 s0, s[12:13], v[4:5]
	s_or_b32 s16, s0, s16
	s_and_not1_b32 exec_lo, exec_lo, s16
	s_cbranch_execnz .LBB1_2169
; %bb.2175:                             ;   in Loop: Header=BB1_1755 Depth=1
	s_or_b32 exec_lo, exec_lo, s16
	s_add_co_i32 s14, s6, 60
	v_lshl_add_u64 v[4:5], s[4:5], 4, v[12:13]
	s_mul_hi_u32 s0, s14, 0x10624dd3
	s_mov_b32 s16, 0
	s_lshr_b32 s0, s0, 6
	s_mov_b32 s17, s12
	s_mul_i32 s4, s0, 0x3e8
	s_mov_b32 s19, s5
	s_sub_co_i32 s4, s14, s4
	s_or_b64 s[0:1], s[16:17], s[12:13]
	s_lshl_b32 s18, s4, 12
	v_dual_mov_b32 v0, s0 :: v_dual_mov_b32 v1, s1
	v_add_nc_u64_e32 v[8:9], s[18:19], v[10:11]
	v_dual_mov_b32 v3, s12 :: v_dual_mov_b32 v14, 0
	s_lshl_b32 s4, s4, 8
	s_mov_b32 s15, s5
	s_mov_b32 s7, s16
	global_store_b128 v[4:5], v[0:3], off th:TH_STORE_NT
.LBB1_2176:                             ;   Parent Loop BB1_1755 Depth=1
                                        ; =>  This Inner Loop Header: Depth=2
	s_wait_loadcnt 0x0
	global_load_b128 v[4:7], v[8:9], off th:TH_LOAD_NT
	v_add_nc_u32_e32 v14, 1, v14
	s_mov_b32 s1, -1
	s_mov_b32 s12, -1
	s_mov_b32 s13, exec_lo
	s_wait_xcnt 0x0
	v_cmpx_eq_u32_e32 0xf4240, v14
	s_cbranch_execz .LBB1_2178
; %bb.2177:                             ;   in Loop: Header=BB1_2176 Depth=2
	s_wait_loadcnt 0x0
	s_wait_storecnt 0x0
	global_load_b32 v0, v2, s[10:11] scope:SCOPE_SYS
	s_wait_loadcnt 0x0
	global_inv scope:SCOPE_SYS
	v_mov_b32_e32 v14, 0
	v_cmp_eq_u32_e64 s0, 0, v0
	s_or_not1_b32 s12, s0, exec_lo
.LBB1_2178:                             ;   in Loop: Header=BB1_2176 Depth=2
	s_wait_xcnt 0x0
	s_or_b32 exec_lo, exec_lo, s13
	s_and_saveexec_b32 s13, s12
	s_cbranch_execz .LBB1_2180
; %bb.2179:                             ;   in Loop: Header=BB1_2176 Depth=2
	s_wait_loadcnt 0x0
	v_cmp_eq_u32_e64 s0, s14, v5
	v_cmp_eq_u32_e64 s1, s14, v7
	s_and_b32 s0, s0, s1
	s_delay_alu instid0(SALU_CYCLE_1)
	s_or_not1_b32 s1, s0, exec_lo
.LBB1_2180:                             ;   in Loop: Header=BB1_2176 Depth=2
	s_or_b32 exec_lo, exec_lo, s13
	s_delay_alu instid0(SALU_CYCLE_1) | instskip(NEXT) | instid1(SALU_CYCLE_1)
	s_and_b32 s0, exec_lo, s1
	s_or_b32 s7, s0, s7
	s_delay_alu instid0(SALU_CYCLE_1)
	s_and_not1_b32 exec_lo, exec_lo, s7
	s_cbranch_execnz .LBB1_2176
; %bb.2181:                             ;   in Loop: Header=BB1_2176 Depth=2
	s_or_b32 exec_lo, exec_lo, s7
	s_wait_loadcnt 0x0
	v_dual_mov_b32 v5, v6 :: v_dual_mov_b32 v14, 0
	s_mov_b32 s7, 0
	s_delay_alu instid0(VALU_DEP_1) | instskip(SKIP_1) | instid1(SALU_CYCLE_1)
	v_cmp_eq_u64_e64 s0, s[14:15], v[4:5]
	s_or_b32 s16, s0, s16
	s_and_not1_b32 exec_lo, exec_lo, s16
	s_cbranch_execnz .LBB1_2176
; %bb.2182:                             ;   in Loop: Header=BB1_1755 Depth=1
	s_or_b32 exec_lo, exec_lo, s16
	s_add_co_i32 s12, s6, 61
	v_lshl_add_u64 v[4:5], s[4:5], 4, v[12:13]
	s_mul_hi_u32 s0, s12, 0x10624dd3
	s_mov_b32 s16, 0
	s_lshr_b32 s0, s0, 6
	s_mov_b32 s17, s14
	s_mul_i32 s4, s0, 0x3e8
	s_mov_b32 s19, s5
	s_sub_co_i32 s4, s12, s4
	s_or_b64 s[0:1], s[16:17], s[14:15]
	s_lshl_b32 s18, s4, 12
	v_dual_mov_b32 v0, s0 :: v_dual_mov_b32 v1, s1
	v_add_nc_u64_e32 v[8:9], s[18:19], v[10:11]
	v_dual_mov_b32 v3, s14 :: v_dual_mov_b32 v14, 0
	s_lshl_b32 s4, s4, 8
	s_mov_b32 s13, s5
	s_mov_b32 s7, s16
	global_store_b128 v[4:5], v[0:3], off th:TH_STORE_NT
.LBB1_2183:                             ;   Parent Loop BB1_1755 Depth=1
                                        ; =>  This Inner Loop Header: Depth=2
	s_wait_loadcnt 0x0
	global_load_b128 v[4:7], v[8:9], off th:TH_LOAD_NT
	v_add_nc_u32_e32 v14, 1, v14
	s_mov_b32 s1, -1
	s_mov_b32 s14, -1
	s_mov_b32 s15, exec_lo
	s_wait_xcnt 0x0
	v_cmpx_eq_u32_e32 0xf4240, v14
	s_cbranch_execz .LBB1_2185
; %bb.2184:                             ;   in Loop: Header=BB1_2183 Depth=2
	s_wait_loadcnt 0x0
	s_wait_storecnt 0x0
	global_load_b32 v0, v2, s[10:11] scope:SCOPE_SYS
	s_wait_loadcnt 0x0
	global_inv scope:SCOPE_SYS
	v_mov_b32_e32 v14, 0
	v_cmp_eq_u32_e64 s0, 0, v0
	s_or_not1_b32 s14, s0, exec_lo
.LBB1_2185:                             ;   in Loop: Header=BB1_2183 Depth=2
	s_wait_xcnt 0x0
	s_or_b32 exec_lo, exec_lo, s15
	s_and_saveexec_b32 s15, s14
	s_cbranch_execz .LBB1_2187
; %bb.2186:                             ;   in Loop: Header=BB1_2183 Depth=2
	s_wait_loadcnt 0x0
	v_cmp_eq_u32_e64 s0, s12, v5
	v_cmp_eq_u32_e64 s1, s12, v7
	s_and_b32 s0, s0, s1
	s_delay_alu instid0(SALU_CYCLE_1)
	s_or_not1_b32 s1, s0, exec_lo
.LBB1_2187:                             ;   in Loop: Header=BB1_2183 Depth=2
	s_or_b32 exec_lo, exec_lo, s15
	s_delay_alu instid0(SALU_CYCLE_1) | instskip(NEXT) | instid1(SALU_CYCLE_1)
	s_and_b32 s0, exec_lo, s1
	s_or_b32 s7, s0, s7
	s_delay_alu instid0(SALU_CYCLE_1)
	s_and_not1_b32 exec_lo, exec_lo, s7
	s_cbranch_execnz .LBB1_2183
; %bb.2188:                             ;   in Loop: Header=BB1_2183 Depth=2
	s_or_b32 exec_lo, exec_lo, s7
	s_wait_loadcnt 0x0
	v_dual_mov_b32 v5, v6 :: v_dual_mov_b32 v14, 0
	s_mov_b32 s7, 0
	s_delay_alu instid0(VALU_DEP_1) | instskip(SKIP_1) | instid1(SALU_CYCLE_1)
	v_cmp_eq_u64_e64 s0, s[12:13], v[4:5]
	s_or_b32 s16, s0, s16
	s_and_not1_b32 exec_lo, exec_lo, s16
	s_cbranch_execnz .LBB1_2183
; %bb.2189:                             ;   in Loop: Header=BB1_1755 Depth=1
	s_or_b32 exec_lo, exec_lo, s16
	s_add_co_i32 s14, s6, 62
	v_lshl_add_u64 v[4:5], s[4:5], 4, v[12:13]
	s_mul_hi_u32 s0, s14, 0x10624dd3
	s_mov_b32 s16, 0
	s_lshr_b32 s0, s0, 6
	s_mov_b32 s17, s12
	s_mul_i32 s4, s0, 0x3e8
	s_mov_b32 s19, s5
	s_sub_co_i32 s4, s14, s4
	s_or_b64 s[0:1], s[16:17], s[12:13]
	s_lshl_b32 s18, s4, 12
	v_dual_mov_b32 v0, s0 :: v_dual_mov_b32 v1, s1
	v_add_nc_u64_e32 v[8:9], s[18:19], v[10:11]
	v_dual_mov_b32 v3, s12 :: v_dual_mov_b32 v14, 0
	s_lshl_b32 s4, s4, 8
	s_mov_b32 s15, s5
	s_mov_b32 s7, s16
	global_store_b128 v[4:5], v[0:3], off th:TH_STORE_NT
.LBB1_2190:                             ;   Parent Loop BB1_1755 Depth=1
                                        ; =>  This Inner Loop Header: Depth=2
	s_wait_loadcnt 0x0
	global_load_b128 v[4:7], v[8:9], off th:TH_LOAD_NT
	v_add_nc_u32_e32 v14, 1, v14
	s_mov_b32 s1, -1
	s_mov_b32 s12, -1
	s_mov_b32 s13, exec_lo
	s_wait_xcnt 0x0
	v_cmpx_eq_u32_e32 0xf4240, v14
	s_cbranch_execz .LBB1_2192
; %bb.2191:                             ;   in Loop: Header=BB1_2190 Depth=2
	s_wait_loadcnt 0x0
	s_wait_storecnt 0x0
	global_load_b32 v0, v2, s[10:11] scope:SCOPE_SYS
	s_wait_loadcnt 0x0
	global_inv scope:SCOPE_SYS
	v_mov_b32_e32 v14, 0
	v_cmp_eq_u32_e64 s0, 0, v0
	s_or_not1_b32 s12, s0, exec_lo
.LBB1_2192:                             ;   in Loop: Header=BB1_2190 Depth=2
	s_wait_xcnt 0x0
	s_or_b32 exec_lo, exec_lo, s13
	s_and_saveexec_b32 s13, s12
	s_cbranch_execz .LBB1_2194
; %bb.2193:                             ;   in Loop: Header=BB1_2190 Depth=2
	s_wait_loadcnt 0x0
	v_cmp_eq_u32_e64 s0, s14, v5
	v_cmp_eq_u32_e64 s1, s14, v7
	s_and_b32 s0, s0, s1
	s_delay_alu instid0(SALU_CYCLE_1)
	s_or_not1_b32 s1, s0, exec_lo
.LBB1_2194:                             ;   in Loop: Header=BB1_2190 Depth=2
	s_or_b32 exec_lo, exec_lo, s13
	s_delay_alu instid0(SALU_CYCLE_1) | instskip(NEXT) | instid1(SALU_CYCLE_1)
	s_and_b32 s0, exec_lo, s1
	s_or_b32 s7, s0, s7
	s_delay_alu instid0(SALU_CYCLE_1)
	s_and_not1_b32 exec_lo, exec_lo, s7
	s_cbranch_execnz .LBB1_2190
; %bb.2195:                             ;   in Loop: Header=BB1_2190 Depth=2
	s_or_b32 exec_lo, exec_lo, s7
	s_wait_loadcnt 0x0
	v_dual_mov_b32 v5, v6 :: v_dual_mov_b32 v14, 0
	s_mov_b32 s7, 0
	s_delay_alu instid0(VALU_DEP_1) | instskip(SKIP_1) | instid1(SALU_CYCLE_1)
	v_cmp_eq_u64_e64 s0, s[14:15], v[4:5]
	s_or_b32 s16, s0, s16
	s_and_not1_b32 exec_lo, exec_lo, s16
	s_cbranch_execnz .LBB1_2190
; %bb.2196:                             ;   in Loop: Header=BB1_1755 Depth=1
	s_or_b32 exec_lo, exec_lo, s16
	s_add_co_i32 s12, s6, 63
	v_lshl_add_u64 v[4:5], s[4:5], 4, v[12:13]
	s_mul_hi_u32 s0, s12, 0x10624dd3
	s_mov_b32 s16, 0
	s_lshr_b32 s0, s0, 6
	s_mov_b32 s17, s14
	s_mul_i32 s4, s0, 0x3e8
	s_mov_b32 s19, s5
	s_sub_co_i32 s4, s12, s4
	s_or_b64 s[0:1], s[16:17], s[14:15]
	s_lshl_b32 s18, s4, 12
	v_dual_mov_b32 v0, s0 :: v_dual_mov_b32 v1, s1
	v_add_nc_u64_e32 v[8:9], s[18:19], v[10:11]
	v_dual_mov_b32 v3, s14 :: v_dual_mov_b32 v14, 0
	s_lshl_b32 s4, s4, 8
	s_mov_b32 s13, s5
	s_mov_b32 s7, s16
	global_store_b128 v[4:5], v[0:3], off th:TH_STORE_NT
.LBB1_2197:                             ;   Parent Loop BB1_1755 Depth=1
                                        ; =>  This Inner Loop Header: Depth=2
	s_wait_loadcnt 0x0
	global_load_b128 v[4:7], v[8:9], off th:TH_LOAD_NT
	v_add_nc_u32_e32 v14, 1, v14
	s_mov_b32 s1, -1
	s_mov_b32 s14, -1
	s_mov_b32 s15, exec_lo
	s_wait_xcnt 0x0
	v_cmpx_eq_u32_e32 0xf4240, v14
	s_cbranch_execz .LBB1_2199
; %bb.2198:                             ;   in Loop: Header=BB1_2197 Depth=2
	s_wait_loadcnt 0x0
	s_wait_storecnt 0x0
	global_load_b32 v0, v2, s[10:11] scope:SCOPE_SYS
	s_wait_loadcnt 0x0
	global_inv scope:SCOPE_SYS
	v_mov_b32_e32 v14, 0
	v_cmp_eq_u32_e64 s0, 0, v0
	s_or_not1_b32 s14, s0, exec_lo
.LBB1_2199:                             ;   in Loop: Header=BB1_2197 Depth=2
	s_wait_xcnt 0x0
	s_or_b32 exec_lo, exec_lo, s15
	s_and_saveexec_b32 s15, s14
	s_cbranch_execz .LBB1_2201
; %bb.2200:                             ;   in Loop: Header=BB1_2197 Depth=2
	s_wait_loadcnt 0x0
	v_cmp_eq_u32_e64 s0, s12, v5
	v_cmp_eq_u32_e64 s1, s12, v7
	s_and_b32 s0, s0, s1
	s_delay_alu instid0(SALU_CYCLE_1)
	s_or_not1_b32 s1, s0, exec_lo
.LBB1_2201:                             ;   in Loop: Header=BB1_2197 Depth=2
	s_or_b32 exec_lo, exec_lo, s15
	s_delay_alu instid0(SALU_CYCLE_1) | instskip(NEXT) | instid1(SALU_CYCLE_1)
	s_and_b32 s0, exec_lo, s1
	s_or_b32 s7, s0, s7
	s_delay_alu instid0(SALU_CYCLE_1)
	s_and_not1_b32 exec_lo, exec_lo, s7
	s_cbranch_execnz .LBB1_2197
; %bb.2202:                             ;   in Loop: Header=BB1_2197 Depth=2
	s_or_b32 exec_lo, exec_lo, s7
	s_wait_loadcnt 0x0
	v_dual_mov_b32 v5, v6 :: v_dual_mov_b32 v14, 0
	s_mov_b32 s7, 0
	s_delay_alu instid0(VALU_DEP_1) | instskip(SKIP_1) | instid1(SALU_CYCLE_1)
	v_cmp_eq_u64_e64 s0, s[12:13], v[4:5]
	s_or_b32 s16, s0, s16
	s_and_not1_b32 exec_lo, exec_lo, s16
	s_cbranch_execnz .LBB1_2197
; %bb.2203:                             ;   in Loop: Header=BB1_1755 Depth=1
	s_or_b32 exec_lo, exec_lo, s16
	s_add_co_i32 s14, s6, 64
	v_lshl_add_u64 v[4:5], s[4:5], 4, v[12:13]
	s_mul_hi_u32 s0, s14, 0x10624dd3
	s_mov_b32 s16, 0
	s_lshr_b32 s0, s0, 6
	s_mov_b32 s17, s12
	s_mul_i32 s4, s0, 0x3e8
	s_mov_b32 s19, s5
	s_sub_co_i32 s4, s14, s4
	s_or_b64 s[0:1], s[16:17], s[12:13]
	s_lshl_b32 s18, s4, 12
	v_dual_mov_b32 v0, s0 :: v_dual_mov_b32 v1, s1
	v_add_nc_u64_e32 v[8:9], s[18:19], v[10:11]
	v_dual_mov_b32 v3, s12 :: v_dual_mov_b32 v14, 0
	s_lshl_b32 s4, s4, 8
	s_mov_b32 s15, s5
	s_mov_b32 s7, s16
	global_store_b128 v[4:5], v[0:3], off th:TH_STORE_NT
.LBB1_2204:                             ;   Parent Loop BB1_1755 Depth=1
                                        ; =>  This Inner Loop Header: Depth=2
	s_wait_loadcnt 0x0
	global_load_b128 v[4:7], v[8:9], off th:TH_LOAD_NT
	v_add_nc_u32_e32 v14, 1, v14
	s_mov_b32 s1, -1
	s_mov_b32 s12, -1
	s_mov_b32 s13, exec_lo
	s_wait_xcnt 0x0
	v_cmpx_eq_u32_e32 0xf4240, v14
	s_cbranch_execz .LBB1_2206
; %bb.2205:                             ;   in Loop: Header=BB1_2204 Depth=2
	s_wait_loadcnt 0x0
	s_wait_storecnt 0x0
	global_load_b32 v0, v2, s[10:11] scope:SCOPE_SYS
	s_wait_loadcnt 0x0
	global_inv scope:SCOPE_SYS
	v_mov_b32_e32 v14, 0
	v_cmp_eq_u32_e64 s0, 0, v0
	s_or_not1_b32 s12, s0, exec_lo
.LBB1_2206:                             ;   in Loop: Header=BB1_2204 Depth=2
	s_wait_xcnt 0x0
	s_or_b32 exec_lo, exec_lo, s13
	s_and_saveexec_b32 s13, s12
	s_cbranch_execz .LBB1_2208
; %bb.2207:                             ;   in Loop: Header=BB1_2204 Depth=2
	s_wait_loadcnt 0x0
	v_cmp_eq_u32_e64 s0, s14, v5
	v_cmp_eq_u32_e64 s1, s14, v7
	s_and_b32 s0, s0, s1
	s_delay_alu instid0(SALU_CYCLE_1)
	s_or_not1_b32 s1, s0, exec_lo
.LBB1_2208:                             ;   in Loop: Header=BB1_2204 Depth=2
	s_or_b32 exec_lo, exec_lo, s13
	s_delay_alu instid0(SALU_CYCLE_1) | instskip(NEXT) | instid1(SALU_CYCLE_1)
	s_and_b32 s0, exec_lo, s1
	s_or_b32 s7, s0, s7
	s_delay_alu instid0(SALU_CYCLE_1)
	s_and_not1_b32 exec_lo, exec_lo, s7
	s_cbranch_execnz .LBB1_2204
; %bb.2209:                             ;   in Loop: Header=BB1_2204 Depth=2
	s_or_b32 exec_lo, exec_lo, s7
	s_wait_loadcnt 0x0
	v_dual_mov_b32 v5, v6 :: v_dual_mov_b32 v14, 0
	s_mov_b32 s7, 0
	s_delay_alu instid0(VALU_DEP_1) | instskip(SKIP_1) | instid1(SALU_CYCLE_1)
	v_cmp_eq_u64_e64 s0, s[14:15], v[4:5]
	s_or_b32 s16, s0, s16
	s_and_not1_b32 exec_lo, exec_lo, s16
	s_cbranch_execnz .LBB1_2204
; %bb.2210:                             ;   in Loop: Header=BB1_1755 Depth=1
	s_or_b32 exec_lo, exec_lo, s16
	s_add_co_i32 s12, s6, 0x41
	v_lshl_add_u64 v[4:5], s[4:5], 4, v[12:13]
	s_mul_hi_u32 s0, s12, 0x10624dd3
	s_mov_b32 s16, 0
	s_lshr_b32 s0, s0, 6
	s_mov_b32 s17, s14
	s_mul_i32 s4, s0, 0x3e8
	s_mov_b32 s19, s5
	s_sub_co_i32 s4, s12, s4
	s_or_b64 s[0:1], s[16:17], s[14:15]
	s_lshl_b32 s18, s4, 12
	v_dual_mov_b32 v0, s0 :: v_dual_mov_b32 v1, s1
	v_add_nc_u64_e32 v[8:9], s[18:19], v[10:11]
	v_dual_mov_b32 v3, s14 :: v_dual_mov_b32 v14, 0
	s_lshl_b32 s4, s4, 8
	s_mov_b32 s13, s5
	s_mov_b32 s7, s16
	global_store_b128 v[4:5], v[0:3], off th:TH_STORE_NT
.LBB1_2211:                             ;   Parent Loop BB1_1755 Depth=1
                                        ; =>  This Inner Loop Header: Depth=2
	s_wait_loadcnt 0x0
	global_load_b128 v[4:7], v[8:9], off th:TH_LOAD_NT
	v_add_nc_u32_e32 v14, 1, v14
	s_mov_b32 s1, -1
	s_mov_b32 s14, -1
	s_mov_b32 s15, exec_lo
	s_wait_xcnt 0x0
	v_cmpx_eq_u32_e32 0xf4240, v14
	s_cbranch_execz .LBB1_2213
; %bb.2212:                             ;   in Loop: Header=BB1_2211 Depth=2
	s_wait_loadcnt 0x0
	s_wait_storecnt 0x0
	global_load_b32 v0, v2, s[10:11] scope:SCOPE_SYS
	s_wait_loadcnt 0x0
	global_inv scope:SCOPE_SYS
	v_mov_b32_e32 v14, 0
	v_cmp_eq_u32_e64 s0, 0, v0
	s_or_not1_b32 s14, s0, exec_lo
.LBB1_2213:                             ;   in Loop: Header=BB1_2211 Depth=2
	s_wait_xcnt 0x0
	s_or_b32 exec_lo, exec_lo, s15
	s_and_saveexec_b32 s15, s14
	s_cbranch_execz .LBB1_2215
; %bb.2214:                             ;   in Loop: Header=BB1_2211 Depth=2
	s_wait_loadcnt 0x0
	v_cmp_eq_u32_e64 s0, s12, v5
	v_cmp_eq_u32_e64 s1, s12, v7
	s_and_b32 s0, s0, s1
	s_delay_alu instid0(SALU_CYCLE_1)
	s_or_not1_b32 s1, s0, exec_lo
.LBB1_2215:                             ;   in Loop: Header=BB1_2211 Depth=2
	s_or_b32 exec_lo, exec_lo, s15
	s_delay_alu instid0(SALU_CYCLE_1) | instskip(NEXT) | instid1(SALU_CYCLE_1)
	s_and_b32 s0, exec_lo, s1
	s_or_b32 s7, s0, s7
	s_delay_alu instid0(SALU_CYCLE_1)
	s_and_not1_b32 exec_lo, exec_lo, s7
	s_cbranch_execnz .LBB1_2211
; %bb.2216:                             ;   in Loop: Header=BB1_2211 Depth=2
	s_or_b32 exec_lo, exec_lo, s7
	s_wait_loadcnt 0x0
	v_dual_mov_b32 v5, v6 :: v_dual_mov_b32 v14, 0
	s_mov_b32 s7, 0
	s_delay_alu instid0(VALU_DEP_1) | instskip(SKIP_1) | instid1(SALU_CYCLE_1)
	v_cmp_eq_u64_e64 s0, s[12:13], v[4:5]
	s_or_b32 s16, s0, s16
	s_and_not1_b32 exec_lo, exec_lo, s16
	s_cbranch_execnz .LBB1_2211
; %bb.2217:                             ;   in Loop: Header=BB1_1755 Depth=1
	s_or_b32 exec_lo, exec_lo, s16
	s_add_co_i32 s14, s6, 0x42
	v_lshl_add_u64 v[4:5], s[4:5], 4, v[12:13]
	s_mul_hi_u32 s0, s14, 0x10624dd3
	s_mov_b32 s16, 0
	s_lshr_b32 s0, s0, 6
	s_mov_b32 s17, s12
	s_mul_i32 s4, s0, 0x3e8
	s_mov_b32 s19, s5
	s_sub_co_i32 s4, s14, s4
	s_or_b64 s[0:1], s[16:17], s[12:13]
	s_lshl_b32 s18, s4, 12
	v_dual_mov_b32 v0, s0 :: v_dual_mov_b32 v1, s1
	v_add_nc_u64_e32 v[8:9], s[18:19], v[10:11]
	v_dual_mov_b32 v3, s12 :: v_dual_mov_b32 v14, 0
	s_lshl_b32 s4, s4, 8
	s_mov_b32 s15, s5
	s_mov_b32 s7, s16
	global_store_b128 v[4:5], v[0:3], off th:TH_STORE_NT
.LBB1_2218:                             ;   Parent Loop BB1_1755 Depth=1
                                        ; =>  This Inner Loop Header: Depth=2
	s_wait_loadcnt 0x0
	global_load_b128 v[4:7], v[8:9], off th:TH_LOAD_NT
	v_add_nc_u32_e32 v14, 1, v14
	s_mov_b32 s1, -1
	s_mov_b32 s12, -1
	s_mov_b32 s13, exec_lo
	s_wait_xcnt 0x0
	v_cmpx_eq_u32_e32 0xf4240, v14
	s_cbranch_execz .LBB1_2220
; %bb.2219:                             ;   in Loop: Header=BB1_2218 Depth=2
	s_wait_loadcnt 0x0
	s_wait_storecnt 0x0
	global_load_b32 v0, v2, s[10:11] scope:SCOPE_SYS
	s_wait_loadcnt 0x0
	global_inv scope:SCOPE_SYS
	v_mov_b32_e32 v14, 0
	v_cmp_eq_u32_e64 s0, 0, v0
	s_or_not1_b32 s12, s0, exec_lo
.LBB1_2220:                             ;   in Loop: Header=BB1_2218 Depth=2
	s_wait_xcnt 0x0
	s_or_b32 exec_lo, exec_lo, s13
	s_and_saveexec_b32 s13, s12
	s_cbranch_execz .LBB1_2222
; %bb.2221:                             ;   in Loop: Header=BB1_2218 Depth=2
	s_wait_loadcnt 0x0
	v_cmp_eq_u32_e64 s0, s14, v5
	v_cmp_eq_u32_e64 s1, s14, v7
	s_and_b32 s0, s0, s1
	s_delay_alu instid0(SALU_CYCLE_1)
	s_or_not1_b32 s1, s0, exec_lo
.LBB1_2222:                             ;   in Loop: Header=BB1_2218 Depth=2
	s_or_b32 exec_lo, exec_lo, s13
	s_delay_alu instid0(SALU_CYCLE_1) | instskip(NEXT) | instid1(SALU_CYCLE_1)
	s_and_b32 s0, exec_lo, s1
	s_or_b32 s7, s0, s7
	s_delay_alu instid0(SALU_CYCLE_1)
	s_and_not1_b32 exec_lo, exec_lo, s7
	s_cbranch_execnz .LBB1_2218
; %bb.2223:                             ;   in Loop: Header=BB1_2218 Depth=2
	s_or_b32 exec_lo, exec_lo, s7
	s_wait_loadcnt 0x0
	v_dual_mov_b32 v5, v6 :: v_dual_mov_b32 v14, 0
	s_mov_b32 s7, 0
	s_delay_alu instid0(VALU_DEP_1) | instskip(SKIP_1) | instid1(SALU_CYCLE_1)
	v_cmp_eq_u64_e64 s0, s[14:15], v[4:5]
	s_or_b32 s16, s0, s16
	s_and_not1_b32 exec_lo, exec_lo, s16
	s_cbranch_execnz .LBB1_2218
; %bb.2224:                             ;   in Loop: Header=BB1_1755 Depth=1
	s_or_b32 exec_lo, exec_lo, s16
	s_add_co_i32 s12, s6, 0x43
	v_lshl_add_u64 v[4:5], s[4:5], 4, v[12:13]
	s_mul_hi_u32 s0, s12, 0x10624dd3
	s_mov_b32 s16, 0
	s_lshr_b32 s0, s0, 6
	s_mov_b32 s17, s14
	s_mul_i32 s4, s0, 0x3e8
	s_mov_b32 s19, s5
	s_sub_co_i32 s4, s12, s4
	s_or_b64 s[0:1], s[16:17], s[14:15]
	s_lshl_b32 s18, s4, 12
	v_dual_mov_b32 v0, s0 :: v_dual_mov_b32 v1, s1
	v_add_nc_u64_e32 v[8:9], s[18:19], v[10:11]
	v_dual_mov_b32 v3, s14 :: v_dual_mov_b32 v14, 0
	s_lshl_b32 s4, s4, 8
	s_mov_b32 s13, s5
	s_mov_b32 s7, s16
	global_store_b128 v[4:5], v[0:3], off th:TH_STORE_NT
.LBB1_2225:                             ;   Parent Loop BB1_1755 Depth=1
                                        ; =>  This Inner Loop Header: Depth=2
	s_wait_loadcnt 0x0
	global_load_b128 v[4:7], v[8:9], off th:TH_LOAD_NT
	v_add_nc_u32_e32 v14, 1, v14
	s_mov_b32 s1, -1
	s_mov_b32 s14, -1
	s_mov_b32 s15, exec_lo
	s_wait_xcnt 0x0
	v_cmpx_eq_u32_e32 0xf4240, v14
	s_cbranch_execz .LBB1_2227
; %bb.2226:                             ;   in Loop: Header=BB1_2225 Depth=2
	s_wait_loadcnt 0x0
	s_wait_storecnt 0x0
	global_load_b32 v0, v2, s[10:11] scope:SCOPE_SYS
	s_wait_loadcnt 0x0
	global_inv scope:SCOPE_SYS
	v_mov_b32_e32 v14, 0
	v_cmp_eq_u32_e64 s0, 0, v0
	s_or_not1_b32 s14, s0, exec_lo
.LBB1_2227:                             ;   in Loop: Header=BB1_2225 Depth=2
	s_wait_xcnt 0x0
	s_or_b32 exec_lo, exec_lo, s15
	s_and_saveexec_b32 s15, s14
	s_cbranch_execz .LBB1_2229
; %bb.2228:                             ;   in Loop: Header=BB1_2225 Depth=2
	s_wait_loadcnt 0x0
	v_cmp_eq_u32_e64 s0, s12, v5
	v_cmp_eq_u32_e64 s1, s12, v7
	s_and_b32 s0, s0, s1
	s_delay_alu instid0(SALU_CYCLE_1)
	s_or_not1_b32 s1, s0, exec_lo
.LBB1_2229:                             ;   in Loop: Header=BB1_2225 Depth=2
	s_or_b32 exec_lo, exec_lo, s15
	s_delay_alu instid0(SALU_CYCLE_1) | instskip(NEXT) | instid1(SALU_CYCLE_1)
	s_and_b32 s0, exec_lo, s1
	s_or_b32 s7, s0, s7
	s_delay_alu instid0(SALU_CYCLE_1)
	s_and_not1_b32 exec_lo, exec_lo, s7
	s_cbranch_execnz .LBB1_2225
; %bb.2230:                             ;   in Loop: Header=BB1_2225 Depth=2
	s_or_b32 exec_lo, exec_lo, s7
	s_wait_loadcnt 0x0
	v_dual_mov_b32 v5, v6 :: v_dual_mov_b32 v14, 0
	s_mov_b32 s7, 0
	s_delay_alu instid0(VALU_DEP_1) | instskip(SKIP_1) | instid1(SALU_CYCLE_1)
	v_cmp_eq_u64_e64 s0, s[12:13], v[4:5]
	s_or_b32 s16, s0, s16
	s_and_not1_b32 exec_lo, exec_lo, s16
	s_cbranch_execnz .LBB1_2225
; %bb.2231:                             ;   in Loop: Header=BB1_1755 Depth=1
	s_or_b32 exec_lo, exec_lo, s16
	s_add_co_i32 s14, s6, 0x44
	v_lshl_add_u64 v[4:5], s[4:5], 4, v[12:13]
	s_mul_hi_u32 s0, s14, 0x10624dd3
	s_mov_b32 s16, 0
	s_lshr_b32 s0, s0, 6
	s_mov_b32 s17, s12
	s_mul_i32 s4, s0, 0x3e8
	s_mov_b32 s19, s5
	s_sub_co_i32 s4, s14, s4
	s_or_b64 s[0:1], s[16:17], s[12:13]
	s_lshl_b32 s18, s4, 12
	v_dual_mov_b32 v0, s0 :: v_dual_mov_b32 v1, s1
	v_add_nc_u64_e32 v[8:9], s[18:19], v[10:11]
	v_dual_mov_b32 v3, s12 :: v_dual_mov_b32 v14, 0
	s_lshl_b32 s4, s4, 8
	s_mov_b32 s15, s5
	s_mov_b32 s7, s16
	global_store_b128 v[4:5], v[0:3], off th:TH_STORE_NT
.LBB1_2232:                             ;   Parent Loop BB1_1755 Depth=1
                                        ; =>  This Inner Loop Header: Depth=2
	s_wait_loadcnt 0x0
	global_load_b128 v[4:7], v[8:9], off th:TH_LOAD_NT
	v_add_nc_u32_e32 v14, 1, v14
	s_mov_b32 s1, -1
	s_mov_b32 s12, -1
	s_mov_b32 s13, exec_lo
	s_wait_xcnt 0x0
	v_cmpx_eq_u32_e32 0xf4240, v14
	s_cbranch_execz .LBB1_2234
; %bb.2233:                             ;   in Loop: Header=BB1_2232 Depth=2
	s_wait_loadcnt 0x0
	s_wait_storecnt 0x0
	global_load_b32 v0, v2, s[10:11] scope:SCOPE_SYS
	s_wait_loadcnt 0x0
	global_inv scope:SCOPE_SYS
	v_mov_b32_e32 v14, 0
	v_cmp_eq_u32_e64 s0, 0, v0
	s_or_not1_b32 s12, s0, exec_lo
.LBB1_2234:                             ;   in Loop: Header=BB1_2232 Depth=2
	s_wait_xcnt 0x0
	s_or_b32 exec_lo, exec_lo, s13
	s_and_saveexec_b32 s13, s12
	s_cbranch_execz .LBB1_2236
; %bb.2235:                             ;   in Loop: Header=BB1_2232 Depth=2
	s_wait_loadcnt 0x0
	v_cmp_eq_u32_e64 s0, s14, v5
	v_cmp_eq_u32_e64 s1, s14, v7
	s_and_b32 s0, s0, s1
	s_delay_alu instid0(SALU_CYCLE_1)
	s_or_not1_b32 s1, s0, exec_lo
.LBB1_2236:                             ;   in Loop: Header=BB1_2232 Depth=2
	s_or_b32 exec_lo, exec_lo, s13
	s_delay_alu instid0(SALU_CYCLE_1) | instskip(NEXT) | instid1(SALU_CYCLE_1)
	s_and_b32 s0, exec_lo, s1
	s_or_b32 s7, s0, s7
	s_delay_alu instid0(SALU_CYCLE_1)
	s_and_not1_b32 exec_lo, exec_lo, s7
	s_cbranch_execnz .LBB1_2232
; %bb.2237:                             ;   in Loop: Header=BB1_2232 Depth=2
	s_or_b32 exec_lo, exec_lo, s7
	s_wait_loadcnt 0x0
	v_dual_mov_b32 v5, v6 :: v_dual_mov_b32 v14, 0
	s_mov_b32 s7, 0
	s_delay_alu instid0(VALU_DEP_1) | instskip(SKIP_1) | instid1(SALU_CYCLE_1)
	v_cmp_eq_u64_e64 s0, s[14:15], v[4:5]
	s_or_b32 s16, s0, s16
	s_and_not1_b32 exec_lo, exec_lo, s16
	s_cbranch_execnz .LBB1_2232
; %bb.2238:                             ;   in Loop: Header=BB1_1755 Depth=1
	s_or_b32 exec_lo, exec_lo, s16
	s_add_co_i32 s12, s6, 0x45
	v_lshl_add_u64 v[4:5], s[4:5], 4, v[12:13]
	s_mul_hi_u32 s0, s12, 0x10624dd3
	s_mov_b32 s16, 0
	s_lshr_b32 s0, s0, 6
	s_mov_b32 s17, s14
	s_mul_i32 s4, s0, 0x3e8
	s_mov_b32 s19, s5
	s_sub_co_i32 s4, s12, s4
	s_or_b64 s[0:1], s[16:17], s[14:15]
	s_lshl_b32 s18, s4, 12
	v_dual_mov_b32 v0, s0 :: v_dual_mov_b32 v1, s1
	v_add_nc_u64_e32 v[8:9], s[18:19], v[10:11]
	v_dual_mov_b32 v3, s14 :: v_dual_mov_b32 v14, 0
	s_lshl_b32 s4, s4, 8
	s_mov_b32 s13, s5
	s_mov_b32 s7, s16
	global_store_b128 v[4:5], v[0:3], off th:TH_STORE_NT
.LBB1_2239:                             ;   Parent Loop BB1_1755 Depth=1
                                        ; =>  This Inner Loop Header: Depth=2
	s_wait_loadcnt 0x0
	global_load_b128 v[4:7], v[8:9], off th:TH_LOAD_NT
	v_add_nc_u32_e32 v14, 1, v14
	s_mov_b32 s1, -1
	s_mov_b32 s14, -1
	s_mov_b32 s15, exec_lo
	s_wait_xcnt 0x0
	v_cmpx_eq_u32_e32 0xf4240, v14
	s_cbranch_execz .LBB1_2241
; %bb.2240:                             ;   in Loop: Header=BB1_2239 Depth=2
	s_wait_loadcnt 0x0
	s_wait_storecnt 0x0
	global_load_b32 v0, v2, s[10:11] scope:SCOPE_SYS
	s_wait_loadcnt 0x0
	global_inv scope:SCOPE_SYS
	v_mov_b32_e32 v14, 0
	v_cmp_eq_u32_e64 s0, 0, v0
	s_or_not1_b32 s14, s0, exec_lo
.LBB1_2241:                             ;   in Loop: Header=BB1_2239 Depth=2
	s_wait_xcnt 0x0
	s_or_b32 exec_lo, exec_lo, s15
	s_and_saveexec_b32 s15, s14
	s_cbranch_execz .LBB1_2243
; %bb.2242:                             ;   in Loop: Header=BB1_2239 Depth=2
	s_wait_loadcnt 0x0
	v_cmp_eq_u32_e64 s0, s12, v5
	v_cmp_eq_u32_e64 s1, s12, v7
	s_and_b32 s0, s0, s1
	s_delay_alu instid0(SALU_CYCLE_1)
	s_or_not1_b32 s1, s0, exec_lo
.LBB1_2243:                             ;   in Loop: Header=BB1_2239 Depth=2
	s_or_b32 exec_lo, exec_lo, s15
	s_delay_alu instid0(SALU_CYCLE_1) | instskip(NEXT) | instid1(SALU_CYCLE_1)
	s_and_b32 s0, exec_lo, s1
	s_or_b32 s7, s0, s7
	s_delay_alu instid0(SALU_CYCLE_1)
	s_and_not1_b32 exec_lo, exec_lo, s7
	s_cbranch_execnz .LBB1_2239
; %bb.2244:                             ;   in Loop: Header=BB1_2239 Depth=2
	s_or_b32 exec_lo, exec_lo, s7
	s_wait_loadcnt 0x0
	v_dual_mov_b32 v5, v6 :: v_dual_mov_b32 v14, 0
	s_mov_b32 s7, 0
	s_delay_alu instid0(VALU_DEP_1) | instskip(SKIP_1) | instid1(SALU_CYCLE_1)
	v_cmp_eq_u64_e64 s0, s[12:13], v[4:5]
	s_or_b32 s16, s0, s16
	s_and_not1_b32 exec_lo, exec_lo, s16
	s_cbranch_execnz .LBB1_2239
; %bb.2245:                             ;   in Loop: Header=BB1_1755 Depth=1
	s_or_b32 exec_lo, exec_lo, s16
	s_add_co_i32 s14, s6, 0x46
	v_lshl_add_u64 v[4:5], s[4:5], 4, v[12:13]
	s_mul_hi_u32 s0, s14, 0x10624dd3
	s_mov_b32 s16, 0
	s_lshr_b32 s0, s0, 6
	s_mov_b32 s17, s12
	s_mul_i32 s4, s0, 0x3e8
	s_mov_b32 s19, s5
	s_sub_co_i32 s4, s14, s4
	s_or_b64 s[0:1], s[16:17], s[12:13]
	s_lshl_b32 s18, s4, 12
	v_dual_mov_b32 v0, s0 :: v_dual_mov_b32 v1, s1
	v_add_nc_u64_e32 v[8:9], s[18:19], v[10:11]
	v_dual_mov_b32 v3, s12 :: v_dual_mov_b32 v14, 0
	s_lshl_b32 s4, s4, 8
	s_mov_b32 s15, s5
	s_mov_b32 s7, s16
	global_store_b128 v[4:5], v[0:3], off th:TH_STORE_NT
.LBB1_2246:                             ;   Parent Loop BB1_1755 Depth=1
                                        ; =>  This Inner Loop Header: Depth=2
	s_wait_loadcnt 0x0
	global_load_b128 v[4:7], v[8:9], off th:TH_LOAD_NT
	v_add_nc_u32_e32 v14, 1, v14
	s_mov_b32 s1, -1
	s_mov_b32 s12, -1
	s_mov_b32 s13, exec_lo
	s_wait_xcnt 0x0
	v_cmpx_eq_u32_e32 0xf4240, v14
	s_cbranch_execz .LBB1_2248
; %bb.2247:                             ;   in Loop: Header=BB1_2246 Depth=2
	s_wait_loadcnt 0x0
	s_wait_storecnt 0x0
	global_load_b32 v0, v2, s[10:11] scope:SCOPE_SYS
	s_wait_loadcnt 0x0
	global_inv scope:SCOPE_SYS
	v_mov_b32_e32 v14, 0
	v_cmp_eq_u32_e64 s0, 0, v0
	s_or_not1_b32 s12, s0, exec_lo
.LBB1_2248:                             ;   in Loop: Header=BB1_2246 Depth=2
	s_wait_xcnt 0x0
	s_or_b32 exec_lo, exec_lo, s13
	s_and_saveexec_b32 s13, s12
	s_cbranch_execz .LBB1_2250
; %bb.2249:                             ;   in Loop: Header=BB1_2246 Depth=2
	s_wait_loadcnt 0x0
	v_cmp_eq_u32_e64 s0, s14, v5
	v_cmp_eq_u32_e64 s1, s14, v7
	s_and_b32 s0, s0, s1
	s_delay_alu instid0(SALU_CYCLE_1)
	s_or_not1_b32 s1, s0, exec_lo
.LBB1_2250:                             ;   in Loop: Header=BB1_2246 Depth=2
	s_or_b32 exec_lo, exec_lo, s13
	s_delay_alu instid0(SALU_CYCLE_1) | instskip(NEXT) | instid1(SALU_CYCLE_1)
	s_and_b32 s0, exec_lo, s1
	s_or_b32 s7, s0, s7
	s_delay_alu instid0(SALU_CYCLE_1)
	s_and_not1_b32 exec_lo, exec_lo, s7
	s_cbranch_execnz .LBB1_2246
; %bb.2251:                             ;   in Loop: Header=BB1_2246 Depth=2
	s_or_b32 exec_lo, exec_lo, s7
	s_wait_loadcnt 0x0
	v_dual_mov_b32 v5, v6 :: v_dual_mov_b32 v14, 0
	s_mov_b32 s7, 0
	s_delay_alu instid0(VALU_DEP_1) | instskip(SKIP_1) | instid1(SALU_CYCLE_1)
	v_cmp_eq_u64_e64 s0, s[14:15], v[4:5]
	s_or_b32 s16, s0, s16
	s_and_not1_b32 exec_lo, exec_lo, s16
	s_cbranch_execnz .LBB1_2246
; %bb.2252:                             ;   in Loop: Header=BB1_1755 Depth=1
	s_or_b32 exec_lo, exec_lo, s16
	s_add_co_i32 s12, s6, 0x47
	v_lshl_add_u64 v[4:5], s[4:5], 4, v[12:13]
	s_mul_hi_u32 s0, s12, 0x10624dd3
	s_mov_b32 s16, 0
	s_lshr_b32 s0, s0, 6
	s_mov_b32 s17, s14
	s_mul_i32 s4, s0, 0x3e8
	s_mov_b32 s19, s5
	s_sub_co_i32 s4, s12, s4
	s_or_b64 s[0:1], s[16:17], s[14:15]
	s_lshl_b32 s18, s4, 12
	v_dual_mov_b32 v0, s0 :: v_dual_mov_b32 v1, s1
	v_add_nc_u64_e32 v[8:9], s[18:19], v[10:11]
	v_dual_mov_b32 v3, s14 :: v_dual_mov_b32 v14, 0
	s_lshl_b32 s4, s4, 8
	s_mov_b32 s13, s5
	s_mov_b32 s7, s16
	global_store_b128 v[4:5], v[0:3], off th:TH_STORE_NT
.LBB1_2253:                             ;   Parent Loop BB1_1755 Depth=1
                                        ; =>  This Inner Loop Header: Depth=2
	s_wait_loadcnt 0x0
	global_load_b128 v[4:7], v[8:9], off th:TH_LOAD_NT
	v_add_nc_u32_e32 v14, 1, v14
	s_mov_b32 s1, -1
	s_mov_b32 s14, -1
	s_mov_b32 s15, exec_lo
	s_wait_xcnt 0x0
	v_cmpx_eq_u32_e32 0xf4240, v14
	s_cbranch_execz .LBB1_2255
; %bb.2254:                             ;   in Loop: Header=BB1_2253 Depth=2
	s_wait_loadcnt 0x0
	s_wait_storecnt 0x0
	global_load_b32 v0, v2, s[10:11] scope:SCOPE_SYS
	s_wait_loadcnt 0x0
	global_inv scope:SCOPE_SYS
	v_mov_b32_e32 v14, 0
	v_cmp_eq_u32_e64 s0, 0, v0
	s_or_not1_b32 s14, s0, exec_lo
.LBB1_2255:                             ;   in Loop: Header=BB1_2253 Depth=2
	s_wait_xcnt 0x0
	s_or_b32 exec_lo, exec_lo, s15
	s_and_saveexec_b32 s15, s14
	s_cbranch_execz .LBB1_2257
; %bb.2256:                             ;   in Loop: Header=BB1_2253 Depth=2
	s_wait_loadcnt 0x0
	v_cmp_eq_u32_e64 s0, s12, v5
	v_cmp_eq_u32_e64 s1, s12, v7
	s_and_b32 s0, s0, s1
	s_delay_alu instid0(SALU_CYCLE_1)
	s_or_not1_b32 s1, s0, exec_lo
.LBB1_2257:                             ;   in Loop: Header=BB1_2253 Depth=2
	s_or_b32 exec_lo, exec_lo, s15
	s_delay_alu instid0(SALU_CYCLE_1) | instskip(NEXT) | instid1(SALU_CYCLE_1)
	s_and_b32 s0, exec_lo, s1
	s_or_b32 s7, s0, s7
	s_delay_alu instid0(SALU_CYCLE_1)
	s_and_not1_b32 exec_lo, exec_lo, s7
	s_cbranch_execnz .LBB1_2253
; %bb.2258:                             ;   in Loop: Header=BB1_2253 Depth=2
	s_or_b32 exec_lo, exec_lo, s7
	s_wait_loadcnt 0x0
	v_dual_mov_b32 v5, v6 :: v_dual_mov_b32 v14, 0
	s_mov_b32 s7, 0
	s_delay_alu instid0(VALU_DEP_1) | instskip(SKIP_1) | instid1(SALU_CYCLE_1)
	v_cmp_eq_u64_e64 s0, s[12:13], v[4:5]
	s_or_b32 s16, s0, s16
	s_and_not1_b32 exec_lo, exec_lo, s16
	s_cbranch_execnz .LBB1_2253
; %bb.2259:                             ;   in Loop: Header=BB1_1755 Depth=1
	s_or_b32 exec_lo, exec_lo, s16
	s_add_co_i32 s14, s6, 0x48
	v_lshl_add_u64 v[4:5], s[4:5], 4, v[12:13]
	s_mul_hi_u32 s0, s14, 0x10624dd3
	s_mov_b32 s16, 0
	s_lshr_b32 s0, s0, 6
	s_mov_b32 s17, s12
	s_mul_i32 s4, s0, 0x3e8
	s_mov_b32 s19, s5
	s_sub_co_i32 s4, s14, s4
	s_or_b64 s[0:1], s[16:17], s[12:13]
	s_lshl_b32 s18, s4, 12
	v_dual_mov_b32 v0, s0 :: v_dual_mov_b32 v1, s1
	v_add_nc_u64_e32 v[8:9], s[18:19], v[10:11]
	v_dual_mov_b32 v3, s12 :: v_dual_mov_b32 v14, 0
	s_lshl_b32 s4, s4, 8
	s_mov_b32 s15, s5
	s_mov_b32 s7, s16
	global_store_b128 v[4:5], v[0:3], off th:TH_STORE_NT
.LBB1_2260:                             ;   Parent Loop BB1_1755 Depth=1
                                        ; =>  This Inner Loop Header: Depth=2
	s_wait_loadcnt 0x0
	global_load_b128 v[4:7], v[8:9], off th:TH_LOAD_NT
	v_add_nc_u32_e32 v14, 1, v14
	s_mov_b32 s1, -1
	s_mov_b32 s12, -1
	s_mov_b32 s13, exec_lo
	s_wait_xcnt 0x0
	v_cmpx_eq_u32_e32 0xf4240, v14
	s_cbranch_execz .LBB1_2262
; %bb.2261:                             ;   in Loop: Header=BB1_2260 Depth=2
	s_wait_loadcnt 0x0
	s_wait_storecnt 0x0
	global_load_b32 v0, v2, s[10:11] scope:SCOPE_SYS
	s_wait_loadcnt 0x0
	global_inv scope:SCOPE_SYS
	v_mov_b32_e32 v14, 0
	v_cmp_eq_u32_e64 s0, 0, v0
	s_or_not1_b32 s12, s0, exec_lo
.LBB1_2262:                             ;   in Loop: Header=BB1_2260 Depth=2
	s_wait_xcnt 0x0
	s_or_b32 exec_lo, exec_lo, s13
	s_and_saveexec_b32 s13, s12
	s_cbranch_execz .LBB1_2264
; %bb.2263:                             ;   in Loop: Header=BB1_2260 Depth=2
	s_wait_loadcnt 0x0
	v_cmp_eq_u32_e64 s0, s14, v5
	v_cmp_eq_u32_e64 s1, s14, v7
	s_and_b32 s0, s0, s1
	s_delay_alu instid0(SALU_CYCLE_1)
	s_or_not1_b32 s1, s0, exec_lo
.LBB1_2264:                             ;   in Loop: Header=BB1_2260 Depth=2
	s_or_b32 exec_lo, exec_lo, s13
	s_delay_alu instid0(SALU_CYCLE_1) | instskip(NEXT) | instid1(SALU_CYCLE_1)
	s_and_b32 s0, exec_lo, s1
	s_or_b32 s7, s0, s7
	s_delay_alu instid0(SALU_CYCLE_1)
	s_and_not1_b32 exec_lo, exec_lo, s7
	s_cbranch_execnz .LBB1_2260
; %bb.2265:                             ;   in Loop: Header=BB1_2260 Depth=2
	s_or_b32 exec_lo, exec_lo, s7
	s_wait_loadcnt 0x0
	v_dual_mov_b32 v5, v6 :: v_dual_mov_b32 v14, 0
	s_mov_b32 s7, 0
	s_delay_alu instid0(VALU_DEP_1) | instskip(SKIP_1) | instid1(SALU_CYCLE_1)
	v_cmp_eq_u64_e64 s0, s[14:15], v[4:5]
	s_or_b32 s16, s0, s16
	s_and_not1_b32 exec_lo, exec_lo, s16
	s_cbranch_execnz .LBB1_2260
; %bb.2266:                             ;   in Loop: Header=BB1_1755 Depth=1
	s_or_b32 exec_lo, exec_lo, s16
	s_add_co_i32 s12, s6, 0x49
	v_lshl_add_u64 v[4:5], s[4:5], 4, v[12:13]
	s_mul_hi_u32 s0, s12, 0x10624dd3
	s_mov_b32 s16, 0
	s_lshr_b32 s0, s0, 6
	s_mov_b32 s17, s14
	s_mul_i32 s4, s0, 0x3e8
	s_mov_b32 s19, s5
	s_sub_co_i32 s4, s12, s4
	s_or_b64 s[0:1], s[16:17], s[14:15]
	s_lshl_b32 s18, s4, 12
	v_dual_mov_b32 v0, s0 :: v_dual_mov_b32 v1, s1
	v_add_nc_u64_e32 v[8:9], s[18:19], v[10:11]
	v_dual_mov_b32 v3, s14 :: v_dual_mov_b32 v14, 0
	s_lshl_b32 s4, s4, 8
	s_mov_b32 s13, s5
	s_mov_b32 s7, s16
	global_store_b128 v[4:5], v[0:3], off th:TH_STORE_NT
.LBB1_2267:                             ;   Parent Loop BB1_1755 Depth=1
                                        ; =>  This Inner Loop Header: Depth=2
	s_wait_loadcnt 0x0
	global_load_b128 v[4:7], v[8:9], off th:TH_LOAD_NT
	v_add_nc_u32_e32 v14, 1, v14
	s_mov_b32 s1, -1
	s_mov_b32 s14, -1
	s_mov_b32 s15, exec_lo
	s_wait_xcnt 0x0
	v_cmpx_eq_u32_e32 0xf4240, v14
	s_cbranch_execz .LBB1_2269
; %bb.2268:                             ;   in Loop: Header=BB1_2267 Depth=2
	s_wait_loadcnt 0x0
	s_wait_storecnt 0x0
	global_load_b32 v0, v2, s[10:11] scope:SCOPE_SYS
	s_wait_loadcnt 0x0
	global_inv scope:SCOPE_SYS
	v_mov_b32_e32 v14, 0
	v_cmp_eq_u32_e64 s0, 0, v0
	s_or_not1_b32 s14, s0, exec_lo
.LBB1_2269:                             ;   in Loop: Header=BB1_2267 Depth=2
	s_wait_xcnt 0x0
	s_or_b32 exec_lo, exec_lo, s15
	s_and_saveexec_b32 s15, s14
	s_cbranch_execz .LBB1_2271
; %bb.2270:                             ;   in Loop: Header=BB1_2267 Depth=2
	s_wait_loadcnt 0x0
	v_cmp_eq_u32_e64 s0, s12, v5
	v_cmp_eq_u32_e64 s1, s12, v7
	s_and_b32 s0, s0, s1
	s_delay_alu instid0(SALU_CYCLE_1)
	s_or_not1_b32 s1, s0, exec_lo
.LBB1_2271:                             ;   in Loop: Header=BB1_2267 Depth=2
	s_or_b32 exec_lo, exec_lo, s15
	s_delay_alu instid0(SALU_CYCLE_1) | instskip(NEXT) | instid1(SALU_CYCLE_1)
	s_and_b32 s0, exec_lo, s1
	s_or_b32 s7, s0, s7
	s_delay_alu instid0(SALU_CYCLE_1)
	s_and_not1_b32 exec_lo, exec_lo, s7
	s_cbranch_execnz .LBB1_2267
; %bb.2272:                             ;   in Loop: Header=BB1_2267 Depth=2
	s_or_b32 exec_lo, exec_lo, s7
	s_wait_loadcnt 0x0
	v_dual_mov_b32 v5, v6 :: v_dual_mov_b32 v14, 0
	s_mov_b32 s7, 0
	s_delay_alu instid0(VALU_DEP_1) | instskip(SKIP_1) | instid1(SALU_CYCLE_1)
	v_cmp_eq_u64_e64 s0, s[12:13], v[4:5]
	s_or_b32 s16, s0, s16
	s_and_not1_b32 exec_lo, exec_lo, s16
	s_cbranch_execnz .LBB1_2267
; %bb.2273:                             ;   in Loop: Header=BB1_1755 Depth=1
	s_or_b32 exec_lo, exec_lo, s16
	s_add_co_i32 s14, s6, 0x4a
	v_lshl_add_u64 v[4:5], s[4:5], 4, v[12:13]
	s_mul_hi_u32 s0, s14, 0x10624dd3
	s_mov_b32 s16, 0
	s_lshr_b32 s0, s0, 6
	s_mov_b32 s17, s12
	s_mul_i32 s4, s0, 0x3e8
	s_mov_b32 s19, s5
	s_sub_co_i32 s4, s14, s4
	s_or_b64 s[0:1], s[16:17], s[12:13]
	s_lshl_b32 s18, s4, 12
	v_dual_mov_b32 v0, s0 :: v_dual_mov_b32 v1, s1
	v_add_nc_u64_e32 v[8:9], s[18:19], v[10:11]
	v_dual_mov_b32 v3, s12 :: v_dual_mov_b32 v14, 0
	s_lshl_b32 s4, s4, 8
	s_mov_b32 s15, s5
	s_mov_b32 s7, s16
	global_store_b128 v[4:5], v[0:3], off th:TH_STORE_NT
.LBB1_2274:                             ;   Parent Loop BB1_1755 Depth=1
                                        ; =>  This Inner Loop Header: Depth=2
	s_wait_loadcnt 0x0
	global_load_b128 v[4:7], v[8:9], off th:TH_LOAD_NT
	v_add_nc_u32_e32 v14, 1, v14
	s_mov_b32 s1, -1
	s_mov_b32 s12, -1
	s_mov_b32 s13, exec_lo
	s_wait_xcnt 0x0
	v_cmpx_eq_u32_e32 0xf4240, v14
	s_cbranch_execz .LBB1_2276
; %bb.2275:                             ;   in Loop: Header=BB1_2274 Depth=2
	s_wait_loadcnt 0x0
	s_wait_storecnt 0x0
	global_load_b32 v0, v2, s[10:11] scope:SCOPE_SYS
	s_wait_loadcnt 0x0
	global_inv scope:SCOPE_SYS
	v_mov_b32_e32 v14, 0
	v_cmp_eq_u32_e64 s0, 0, v0
	s_or_not1_b32 s12, s0, exec_lo
.LBB1_2276:                             ;   in Loop: Header=BB1_2274 Depth=2
	s_wait_xcnt 0x0
	s_or_b32 exec_lo, exec_lo, s13
	s_and_saveexec_b32 s13, s12
	s_cbranch_execz .LBB1_2278
; %bb.2277:                             ;   in Loop: Header=BB1_2274 Depth=2
	s_wait_loadcnt 0x0
	v_cmp_eq_u32_e64 s0, s14, v5
	v_cmp_eq_u32_e64 s1, s14, v7
	s_and_b32 s0, s0, s1
	s_delay_alu instid0(SALU_CYCLE_1)
	s_or_not1_b32 s1, s0, exec_lo
.LBB1_2278:                             ;   in Loop: Header=BB1_2274 Depth=2
	s_or_b32 exec_lo, exec_lo, s13
	s_delay_alu instid0(SALU_CYCLE_1) | instskip(NEXT) | instid1(SALU_CYCLE_1)
	s_and_b32 s0, exec_lo, s1
	s_or_b32 s7, s0, s7
	s_delay_alu instid0(SALU_CYCLE_1)
	s_and_not1_b32 exec_lo, exec_lo, s7
	s_cbranch_execnz .LBB1_2274
; %bb.2279:                             ;   in Loop: Header=BB1_2274 Depth=2
	s_or_b32 exec_lo, exec_lo, s7
	s_wait_loadcnt 0x0
	v_dual_mov_b32 v5, v6 :: v_dual_mov_b32 v14, 0
	s_mov_b32 s7, 0
	s_delay_alu instid0(VALU_DEP_1) | instskip(SKIP_1) | instid1(SALU_CYCLE_1)
	v_cmp_eq_u64_e64 s0, s[14:15], v[4:5]
	s_or_b32 s16, s0, s16
	s_and_not1_b32 exec_lo, exec_lo, s16
	s_cbranch_execnz .LBB1_2274
; %bb.2280:                             ;   in Loop: Header=BB1_1755 Depth=1
	s_or_b32 exec_lo, exec_lo, s16
	s_add_co_i32 s12, s6, 0x4b
	v_lshl_add_u64 v[4:5], s[4:5], 4, v[12:13]
	s_mul_hi_u32 s0, s12, 0x10624dd3
	s_mov_b32 s16, 0
	s_lshr_b32 s0, s0, 6
	s_mov_b32 s17, s14
	s_mul_i32 s4, s0, 0x3e8
	s_mov_b32 s19, s5
	s_sub_co_i32 s4, s12, s4
	s_or_b64 s[0:1], s[16:17], s[14:15]
	s_lshl_b32 s18, s4, 12
	v_dual_mov_b32 v0, s0 :: v_dual_mov_b32 v1, s1
	v_add_nc_u64_e32 v[8:9], s[18:19], v[10:11]
	v_dual_mov_b32 v3, s14 :: v_dual_mov_b32 v14, 0
	s_lshl_b32 s4, s4, 8
	s_mov_b32 s13, s5
	s_mov_b32 s7, s16
	global_store_b128 v[4:5], v[0:3], off th:TH_STORE_NT
.LBB1_2281:                             ;   Parent Loop BB1_1755 Depth=1
                                        ; =>  This Inner Loop Header: Depth=2
	s_wait_loadcnt 0x0
	global_load_b128 v[4:7], v[8:9], off th:TH_LOAD_NT
	v_add_nc_u32_e32 v14, 1, v14
	s_mov_b32 s1, -1
	s_mov_b32 s14, -1
	s_mov_b32 s15, exec_lo
	s_wait_xcnt 0x0
	v_cmpx_eq_u32_e32 0xf4240, v14
	s_cbranch_execz .LBB1_2283
; %bb.2282:                             ;   in Loop: Header=BB1_2281 Depth=2
	s_wait_loadcnt 0x0
	s_wait_storecnt 0x0
	global_load_b32 v0, v2, s[10:11] scope:SCOPE_SYS
	s_wait_loadcnt 0x0
	global_inv scope:SCOPE_SYS
	v_mov_b32_e32 v14, 0
	v_cmp_eq_u32_e64 s0, 0, v0
	s_or_not1_b32 s14, s0, exec_lo
.LBB1_2283:                             ;   in Loop: Header=BB1_2281 Depth=2
	s_wait_xcnt 0x0
	s_or_b32 exec_lo, exec_lo, s15
	s_and_saveexec_b32 s15, s14
	s_cbranch_execz .LBB1_2285
; %bb.2284:                             ;   in Loop: Header=BB1_2281 Depth=2
	s_wait_loadcnt 0x0
	v_cmp_eq_u32_e64 s0, s12, v5
	v_cmp_eq_u32_e64 s1, s12, v7
	s_and_b32 s0, s0, s1
	s_delay_alu instid0(SALU_CYCLE_1)
	s_or_not1_b32 s1, s0, exec_lo
.LBB1_2285:                             ;   in Loop: Header=BB1_2281 Depth=2
	s_or_b32 exec_lo, exec_lo, s15
	s_delay_alu instid0(SALU_CYCLE_1) | instskip(NEXT) | instid1(SALU_CYCLE_1)
	s_and_b32 s0, exec_lo, s1
	s_or_b32 s7, s0, s7
	s_delay_alu instid0(SALU_CYCLE_1)
	s_and_not1_b32 exec_lo, exec_lo, s7
	s_cbranch_execnz .LBB1_2281
; %bb.2286:                             ;   in Loop: Header=BB1_2281 Depth=2
	s_or_b32 exec_lo, exec_lo, s7
	s_wait_loadcnt 0x0
	v_dual_mov_b32 v5, v6 :: v_dual_mov_b32 v14, 0
	s_mov_b32 s7, 0
	s_delay_alu instid0(VALU_DEP_1) | instskip(SKIP_1) | instid1(SALU_CYCLE_1)
	v_cmp_eq_u64_e64 s0, s[12:13], v[4:5]
	s_or_b32 s16, s0, s16
	s_and_not1_b32 exec_lo, exec_lo, s16
	s_cbranch_execnz .LBB1_2281
; %bb.2287:                             ;   in Loop: Header=BB1_1755 Depth=1
	s_or_b32 exec_lo, exec_lo, s16
	s_add_co_i32 s14, s6, 0x4c
	v_lshl_add_u64 v[4:5], s[4:5], 4, v[12:13]
	s_mul_hi_u32 s0, s14, 0x10624dd3
	s_mov_b32 s16, 0
	s_lshr_b32 s0, s0, 6
	s_mov_b32 s17, s12
	s_mul_i32 s4, s0, 0x3e8
	s_mov_b32 s19, s5
	s_sub_co_i32 s4, s14, s4
	s_or_b64 s[0:1], s[16:17], s[12:13]
	s_lshl_b32 s18, s4, 12
	v_dual_mov_b32 v0, s0 :: v_dual_mov_b32 v1, s1
	v_add_nc_u64_e32 v[8:9], s[18:19], v[10:11]
	v_dual_mov_b32 v3, s12 :: v_dual_mov_b32 v14, 0
	s_lshl_b32 s4, s4, 8
	s_mov_b32 s15, s5
	s_mov_b32 s7, s16
	global_store_b128 v[4:5], v[0:3], off th:TH_STORE_NT
.LBB1_2288:                             ;   Parent Loop BB1_1755 Depth=1
                                        ; =>  This Inner Loop Header: Depth=2
	s_wait_loadcnt 0x0
	global_load_b128 v[4:7], v[8:9], off th:TH_LOAD_NT
	v_add_nc_u32_e32 v14, 1, v14
	s_mov_b32 s1, -1
	s_mov_b32 s12, -1
	s_mov_b32 s13, exec_lo
	s_wait_xcnt 0x0
	v_cmpx_eq_u32_e32 0xf4240, v14
	s_cbranch_execz .LBB1_2290
; %bb.2289:                             ;   in Loop: Header=BB1_2288 Depth=2
	s_wait_loadcnt 0x0
	s_wait_storecnt 0x0
	global_load_b32 v0, v2, s[10:11] scope:SCOPE_SYS
	s_wait_loadcnt 0x0
	global_inv scope:SCOPE_SYS
	v_mov_b32_e32 v14, 0
	v_cmp_eq_u32_e64 s0, 0, v0
	s_or_not1_b32 s12, s0, exec_lo
.LBB1_2290:                             ;   in Loop: Header=BB1_2288 Depth=2
	s_wait_xcnt 0x0
	s_or_b32 exec_lo, exec_lo, s13
	s_and_saveexec_b32 s13, s12
	s_cbranch_execz .LBB1_2292
; %bb.2291:                             ;   in Loop: Header=BB1_2288 Depth=2
	s_wait_loadcnt 0x0
	v_cmp_eq_u32_e64 s0, s14, v5
	v_cmp_eq_u32_e64 s1, s14, v7
	s_and_b32 s0, s0, s1
	s_delay_alu instid0(SALU_CYCLE_1)
	s_or_not1_b32 s1, s0, exec_lo
.LBB1_2292:                             ;   in Loop: Header=BB1_2288 Depth=2
	s_or_b32 exec_lo, exec_lo, s13
	s_delay_alu instid0(SALU_CYCLE_1) | instskip(NEXT) | instid1(SALU_CYCLE_1)
	s_and_b32 s0, exec_lo, s1
	s_or_b32 s7, s0, s7
	s_delay_alu instid0(SALU_CYCLE_1)
	s_and_not1_b32 exec_lo, exec_lo, s7
	s_cbranch_execnz .LBB1_2288
; %bb.2293:                             ;   in Loop: Header=BB1_2288 Depth=2
	s_or_b32 exec_lo, exec_lo, s7
	s_wait_loadcnt 0x0
	v_dual_mov_b32 v5, v6 :: v_dual_mov_b32 v14, 0
	s_mov_b32 s7, 0
	s_delay_alu instid0(VALU_DEP_1) | instskip(SKIP_1) | instid1(SALU_CYCLE_1)
	v_cmp_eq_u64_e64 s0, s[14:15], v[4:5]
	s_or_b32 s16, s0, s16
	s_and_not1_b32 exec_lo, exec_lo, s16
	s_cbranch_execnz .LBB1_2288
; %bb.2294:                             ;   in Loop: Header=BB1_1755 Depth=1
	s_or_b32 exec_lo, exec_lo, s16
	s_add_co_i32 s12, s6, 0x4d
	v_lshl_add_u64 v[4:5], s[4:5], 4, v[12:13]
	s_mul_hi_u32 s0, s12, 0x10624dd3
	s_mov_b32 s16, 0
	s_lshr_b32 s0, s0, 6
	s_mov_b32 s17, s14
	s_mul_i32 s4, s0, 0x3e8
	s_mov_b32 s19, s5
	s_sub_co_i32 s4, s12, s4
	s_or_b64 s[0:1], s[16:17], s[14:15]
	s_lshl_b32 s18, s4, 12
	v_dual_mov_b32 v0, s0 :: v_dual_mov_b32 v1, s1
	v_add_nc_u64_e32 v[8:9], s[18:19], v[10:11]
	v_dual_mov_b32 v3, s14 :: v_dual_mov_b32 v14, 0
	s_lshl_b32 s4, s4, 8
	s_mov_b32 s13, s5
	s_mov_b32 s7, s16
	global_store_b128 v[4:5], v[0:3], off th:TH_STORE_NT
.LBB1_2295:                             ;   Parent Loop BB1_1755 Depth=1
                                        ; =>  This Inner Loop Header: Depth=2
	s_wait_loadcnt 0x0
	global_load_b128 v[4:7], v[8:9], off th:TH_LOAD_NT
	v_add_nc_u32_e32 v14, 1, v14
	s_mov_b32 s1, -1
	s_mov_b32 s14, -1
	s_mov_b32 s15, exec_lo
	s_wait_xcnt 0x0
	v_cmpx_eq_u32_e32 0xf4240, v14
	s_cbranch_execz .LBB1_2297
; %bb.2296:                             ;   in Loop: Header=BB1_2295 Depth=2
	s_wait_loadcnt 0x0
	s_wait_storecnt 0x0
	global_load_b32 v0, v2, s[10:11] scope:SCOPE_SYS
	s_wait_loadcnt 0x0
	global_inv scope:SCOPE_SYS
	v_mov_b32_e32 v14, 0
	v_cmp_eq_u32_e64 s0, 0, v0
	s_or_not1_b32 s14, s0, exec_lo
.LBB1_2297:                             ;   in Loop: Header=BB1_2295 Depth=2
	s_wait_xcnt 0x0
	s_or_b32 exec_lo, exec_lo, s15
	s_and_saveexec_b32 s15, s14
	s_cbranch_execz .LBB1_2299
; %bb.2298:                             ;   in Loop: Header=BB1_2295 Depth=2
	s_wait_loadcnt 0x0
	v_cmp_eq_u32_e64 s0, s12, v5
	v_cmp_eq_u32_e64 s1, s12, v7
	s_and_b32 s0, s0, s1
	s_delay_alu instid0(SALU_CYCLE_1)
	s_or_not1_b32 s1, s0, exec_lo
.LBB1_2299:                             ;   in Loop: Header=BB1_2295 Depth=2
	s_or_b32 exec_lo, exec_lo, s15
	s_delay_alu instid0(SALU_CYCLE_1) | instskip(NEXT) | instid1(SALU_CYCLE_1)
	s_and_b32 s0, exec_lo, s1
	s_or_b32 s7, s0, s7
	s_delay_alu instid0(SALU_CYCLE_1)
	s_and_not1_b32 exec_lo, exec_lo, s7
	s_cbranch_execnz .LBB1_2295
; %bb.2300:                             ;   in Loop: Header=BB1_2295 Depth=2
	s_or_b32 exec_lo, exec_lo, s7
	s_wait_loadcnt 0x0
	v_dual_mov_b32 v5, v6 :: v_dual_mov_b32 v14, 0
	s_mov_b32 s7, 0
	s_delay_alu instid0(VALU_DEP_1) | instskip(SKIP_1) | instid1(SALU_CYCLE_1)
	v_cmp_eq_u64_e64 s0, s[12:13], v[4:5]
	s_or_b32 s16, s0, s16
	s_and_not1_b32 exec_lo, exec_lo, s16
	s_cbranch_execnz .LBB1_2295
; %bb.2301:                             ;   in Loop: Header=BB1_1755 Depth=1
	s_or_b32 exec_lo, exec_lo, s16
	s_add_co_i32 s14, s6, 0x4e
	v_lshl_add_u64 v[4:5], s[4:5], 4, v[12:13]
	s_mul_hi_u32 s0, s14, 0x10624dd3
	s_mov_b32 s16, 0
	s_lshr_b32 s0, s0, 6
	s_mov_b32 s17, s12
	s_mul_i32 s4, s0, 0x3e8
	s_mov_b32 s19, s5
	s_sub_co_i32 s4, s14, s4
	s_or_b64 s[0:1], s[16:17], s[12:13]
	s_lshl_b32 s18, s4, 12
	v_dual_mov_b32 v0, s0 :: v_dual_mov_b32 v1, s1
	v_add_nc_u64_e32 v[8:9], s[18:19], v[10:11]
	v_dual_mov_b32 v3, s12 :: v_dual_mov_b32 v14, 0
	s_lshl_b32 s4, s4, 8
	s_mov_b32 s15, s5
	s_mov_b32 s7, s16
	global_store_b128 v[4:5], v[0:3], off th:TH_STORE_NT
.LBB1_2302:                             ;   Parent Loop BB1_1755 Depth=1
                                        ; =>  This Inner Loop Header: Depth=2
	s_wait_loadcnt 0x0
	global_load_b128 v[4:7], v[8:9], off th:TH_LOAD_NT
	v_add_nc_u32_e32 v14, 1, v14
	s_mov_b32 s1, -1
	s_mov_b32 s12, -1
	s_mov_b32 s13, exec_lo
	s_wait_xcnt 0x0
	v_cmpx_eq_u32_e32 0xf4240, v14
	s_cbranch_execz .LBB1_2304
; %bb.2303:                             ;   in Loop: Header=BB1_2302 Depth=2
	s_wait_loadcnt 0x0
	s_wait_storecnt 0x0
	global_load_b32 v0, v2, s[10:11] scope:SCOPE_SYS
	s_wait_loadcnt 0x0
	global_inv scope:SCOPE_SYS
	v_mov_b32_e32 v14, 0
	v_cmp_eq_u32_e64 s0, 0, v0
	s_or_not1_b32 s12, s0, exec_lo
.LBB1_2304:                             ;   in Loop: Header=BB1_2302 Depth=2
	s_wait_xcnt 0x0
	s_or_b32 exec_lo, exec_lo, s13
	s_and_saveexec_b32 s13, s12
	s_cbranch_execz .LBB1_2306
; %bb.2305:                             ;   in Loop: Header=BB1_2302 Depth=2
	s_wait_loadcnt 0x0
	v_cmp_eq_u32_e64 s0, s14, v5
	v_cmp_eq_u32_e64 s1, s14, v7
	s_and_b32 s0, s0, s1
	s_delay_alu instid0(SALU_CYCLE_1)
	s_or_not1_b32 s1, s0, exec_lo
.LBB1_2306:                             ;   in Loop: Header=BB1_2302 Depth=2
	s_or_b32 exec_lo, exec_lo, s13
	s_delay_alu instid0(SALU_CYCLE_1) | instskip(NEXT) | instid1(SALU_CYCLE_1)
	s_and_b32 s0, exec_lo, s1
	s_or_b32 s7, s0, s7
	s_delay_alu instid0(SALU_CYCLE_1)
	s_and_not1_b32 exec_lo, exec_lo, s7
	s_cbranch_execnz .LBB1_2302
; %bb.2307:                             ;   in Loop: Header=BB1_2302 Depth=2
	s_or_b32 exec_lo, exec_lo, s7
	s_wait_loadcnt 0x0
	v_dual_mov_b32 v5, v6 :: v_dual_mov_b32 v14, 0
	s_mov_b32 s7, 0
	s_delay_alu instid0(VALU_DEP_1) | instskip(SKIP_1) | instid1(SALU_CYCLE_1)
	v_cmp_eq_u64_e64 s0, s[14:15], v[4:5]
	s_or_b32 s16, s0, s16
	s_and_not1_b32 exec_lo, exec_lo, s16
	s_cbranch_execnz .LBB1_2302
; %bb.2308:                             ;   in Loop: Header=BB1_1755 Depth=1
	s_or_b32 exec_lo, exec_lo, s16
	s_add_co_i32 s12, s6, 0x4f
	v_lshl_add_u64 v[4:5], s[4:5], 4, v[12:13]
	s_mul_hi_u32 s0, s12, 0x10624dd3
	s_mov_b32 s16, 0
	s_lshr_b32 s0, s0, 6
	s_mov_b32 s17, s14
	s_mul_i32 s4, s0, 0x3e8
	s_mov_b32 s19, s5
	s_sub_co_i32 s4, s12, s4
	s_or_b64 s[0:1], s[16:17], s[14:15]
	s_lshl_b32 s18, s4, 12
	v_dual_mov_b32 v0, s0 :: v_dual_mov_b32 v1, s1
	v_add_nc_u64_e32 v[8:9], s[18:19], v[10:11]
	v_dual_mov_b32 v3, s14 :: v_dual_mov_b32 v14, 0
	s_lshl_b32 s4, s4, 8
	s_mov_b32 s13, s5
	s_mov_b32 s7, s16
	global_store_b128 v[4:5], v[0:3], off th:TH_STORE_NT
.LBB1_2309:                             ;   Parent Loop BB1_1755 Depth=1
                                        ; =>  This Inner Loop Header: Depth=2
	s_wait_loadcnt 0x0
	global_load_b128 v[4:7], v[8:9], off th:TH_LOAD_NT
	v_add_nc_u32_e32 v14, 1, v14
	s_mov_b32 s1, -1
	s_mov_b32 s14, -1
	s_mov_b32 s15, exec_lo
	s_wait_xcnt 0x0
	v_cmpx_eq_u32_e32 0xf4240, v14
	s_cbranch_execz .LBB1_2311
; %bb.2310:                             ;   in Loop: Header=BB1_2309 Depth=2
	s_wait_loadcnt 0x0
	s_wait_storecnt 0x0
	global_load_b32 v0, v2, s[10:11] scope:SCOPE_SYS
	s_wait_loadcnt 0x0
	global_inv scope:SCOPE_SYS
	v_mov_b32_e32 v14, 0
	v_cmp_eq_u32_e64 s0, 0, v0
	s_or_not1_b32 s14, s0, exec_lo
.LBB1_2311:                             ;   in Loop: Header=BB1_2309 Depth=2
	s_wait_xcnt 0x0
	s_or_b32 exec_lo, exec_lo, s15
	s_and_saveexec_b32 s15, s14
	s_cbranch_execz .LBB1_2313
; %bb.2312:                             ;   in Loop: Header=BB1_2309 Depth=2
	s_wait_loadcnt 0x0
	v_cmp_eq_u32_e64 s0, s12, v5
	v_cmp_eq_u32_e64 s1, s12, v7
	s_and_b32 s0, s0, s1
	s_delay_alu instid0(SALU_CYCLE_1)
	s_or_not1_b32 s1, s0, exec_lo
.LBB1_2313:                             ;   in Loop: Header=BB1_2309 Depth=2
	s_or_b32 exec_lo, exec_lo, s15
	s_delay_alu instid0(SALU_CYCLE_1) | instskip(NEXT) | instid1(SALU_CYCLE_1)
	s_and_b32 s0, exec_lo, s1
	s_or_b32 s7, s0, s7
	s_delay_alu instid0(SALU_CYCLE_1)
	s_and_not1_b32 exec_lo, exec_lo, s7
	s_cbranch_execnz .LBB1_2309
; %bb.2314:                             ;   in Loop: Header=BB1_2309 Depth=2
	s_or_b32 exec_lo, exec_lo, s7
	s_wait_loadcnt 0x0
	v_dual_mov_b32 v5, v6 :: v_dual_mov_b32 v14, 0
	s_mov_b32 s7, 0
	s_delay_alu instid0(VALU_DEP_1) | instskip(SKIP_1) | instid1(SALU_CYCLE_1)
	v_cmp_eq_u64_e64 s0, s[12:13], v[4:5]
	s_or_b32 s16, s0, s16
	s_and_not1_b32 exec_lo, exec_lo, s16
	s_cbranch_execnz .LBB1_2309
; %bb.2315:                             ;   in Loop: Header=BB1_1755 Depth=1
	s_or_b32 exec_lo, exec_lo, s16
	s_add_co_i32 s14, s6, 0x50
	v_lshl_add_u64 v[4:5], s[4:5], 4, v[12:13]
	s_mul_hi_u32 s0, s14, 0x10624dd3
	s_mov_b32 s16, 0
	s_lshr_b32 s0, s0, 6
	s_mov_b32 s17, s12
	s_mul_i32 s4, s0, 0x3e8
	s_mov_b32 s19, s5
	s_sub_co_i32 s4, s14, s4
	s_or_b64 s[0:1], s[16:17], s[12:13]
	s_lshl_b32 s18, s4, 12
	v_dual_mov_b32 v0, s0 :: v_dual_mov_b32 v1, s1
	v_add_nc_u64_e32 v[8:9], s[18:19], v[10:11]
	v_dual_mov_b32 v3, s12 :: v_dual_mov_b32 v14, 0
	s_lshl_b32 s4, s4, 8
	s_mov_b32 s15, s5
	s_mov_b32 s7, s16
	global_store_b128 v[4:5], v[0:3], off th:TH_STORE_NT
.LBB1_2316:                             ;   Parent Loop BB1_1755 Depth=1
                                        ; =>  This Inner Loop Header: Depth=2
	s_wait_loadcnt 0x0
	global_load_b128 v[4:7], v[8:9], off th:TH_LOAD_NT
	v_add_nc_u32_e32 v14, 1, v14
	s_mov_b32 s1, -1
	s_mov_b32 s12, -1
	s_mov_b32 s13, exec_lo
	s_wait_xcnt 0x0
	v_cmpx_eq_u32_e32 0xf4240, v14
	s_cbranch_execz .LBB1_2318
; %bb.2317:                             ;   in Loop: Header=BB1_2316 Depth=2
	s_wait_loadcnt 0x0
	s_wait_storecnt 0x0
	global_load_b32 v0, v2, s[10:11] scope:SCOPE_SYS
	s_wait_loadcnt 0x0
	global_inv scope:SCOPE_SYS
	v_mov_b32_e32 v14, 0
	v_cmp_eq_u32_e64 s0, 0, v0
	s_or_not1_b32 s12, s0, exec_lo
.LBB1_2318:                             ;   in Loop: Header=BB1_2316 Depth=2
	s_wait_xcnt 0x0
	s_or_b32 exec_lo, exec_lo, s13
	s_and_saveexec_b32 s13, s12
	s_cbranch_execz .LBB1_2320
; %bb.2319:                             ;   in Loop: Header=BB1_2316 Depth=2
	s_wait_loadcnt 0x0
	v_cmp_eq_u32_e64 s0, s14, v5
	v_cmp_eq_u32_e64 s1, s14, v7
	s_and_b32 s0, s0, s1
	s_delay_alu instid0(SALU_CYCLE_1)
	s_or_not1_b32 s1, s0, exec_lo
.LBB1_2320:                             ;   in Loop: Header=BB1_2316 Depth=2
	s_or_b32 exec_lo, exec_lo, s13
	s_delay_alu instid0(SALU_CYCLE_1) | instskip(NEXT) | instid1(SALU_CYCLE_1)
	s_and_b32 s0, exec_lo, s1
	s_or_b32 s7, s0, s7
	s_delay_alu instid0(SALU_CYCLE_1)
	s_and_not1_b32 exec_lo, exec_lo, s7
	s_cbranch_execnz .LBB1_2316
; %bb.2321:                             ;   in Loop: Header=BB1_2316 Depth=2
	s_or_b32 exec_lo, exec_lo, s7
	s_wait_loadcnt 0x0
	v_dual_mov_b32 v5, v6 :: v_dual_mov_b32 v14, 0
	s_mov_b32 s7, 0
	s_delay_alu instid0(VALU_DEP_1) | instskip(SKIP_1) | instid1(SALU_CYCLE_1)
	v_cmp_eq_u64_e64 s0, s[14:15], v[4:5]
	s_or_b32 s16, s0, s16
	s_and_not1_b32 exec_lo, exec_lo, s16
	s_cbranch_execnz .LBB1_2316
; %bb.2322:                             ;   in Loop: Header=BB1_1755 Depth=1
	s_or_b32 exec_lo, exec_lo, s16
	s_add_co_i32 s12, s6, 0x51
	v_lshl_add_u64 v[4:5], s[4:5], 4, v[12:13]
	s_mul_hi_u32 s0, s12, 0x10624dd3
	s_mov_b32 s16, 0
	s_lshr_b32 s0, s0, 6
	s_mov_b32 s17, s14
	s_mul_i32 s4, s0, 0x3e8
	s_mov_b32 s19, s5
	s_sub_co_i32 s4, s12, s4
	s_or_b64 s[0:1], s[16:17], s[14:15]
	s_lshl_b32 s18, s4, 12
	v_dual_mov_b32 v0, s0 :: v_dual_mov_b32 v1, s1
	v_add_nc_u64_e32 v[8:9], s[18:19], v[10:11]
	v_dual_mov_b32 v3, s14 :: v_dual_mov_b32 v14, 0
	s_lshl_b32 s4, s4, 8
	s_mov_b32 s13, s5
	s_mov_b32 s7, s16
	global_store_b128 v[4:5], v[0:3], off th:TH_STORE_NT
.LBB1_2323:                             ;   Parent Loop BB1_1755 Depth=1
                                        ; =>  This Inner Loop Header: Depth=2
	s_wait_loadcnt 0x0
	global_load_b128 v[4:7], v[8:9], off th:TH_LOAD_NT
	v_add_nc_u32_e32 v14, 1, v14
	s_mov_b32 s1, -1
	s_mov_b32 s14, -1
	s_mov_b32 s15, exec_lo
	s_wait_xcnt 0x0
	v_cmpx_eq_u32_e32 0xf4240, v14
	s_cbranch_execz .LBB1_2325
; %bb.2324:                             ;   in Loop: Header=BB1_2323 Depth=2
	s_wait_loadcnt 0x0
	s_wait_storecnt 0x0
	global_load_b32 v0, v2, s[10:11] scope:SCOPE_SYS
	s_wait_loadcnt 0x0
	global_inv scope:SCOPE_SYS
	v_mov_b32_e32 v14, 0
	v_cmp_eq_u32_e64 s0, 0, v0
	s_or_not1_b32 s14, s0, exec_lo
.LBB1_2325:                             ;   in Loop: Header=BB1_2323 Depth=2
	s_wait_xcnt 0x0
	s_or_b32 exec_lo, exec_lo, s15
	s_and_saveexec_b32 s15, s14
	s_cbranch_execz .LBB1_2327
; %bb.2326:                             ;   in Loop: Header=BB1_2323 Depth=2
	s_wait_loadcnt 0x0
	v_cmp_eq_u32_e64 s0, s12, v5
	v_cmp_eq_u32_e64 s1, s12, v7
	s_and_b32 s0, s0, s1
	s_delay_alu instid0(SALU_CYCLE_1)
	s_or_not1_b32 s1, s0, exec_lo
.LBB1_2327:                             ;   in Loop: Header=BB1_2323 Depth=2
	s_or_b32 exec_lo, exec_lo, s15
	s_delay_alu instid0(SALU_CYCLE_1) | instskip(NEXT) | instid1(SALU_CYCLE_1)
	s_and_b32 s0, exec_lo, s1
	s_or_b32 s7, s0, s7
	s_delay_alu instid0(SALU_CYCLE_1)
	s_and_not1_b32 exec_lo, exec_lo, s7
	s_cbranch_execnz .LBB1_2323
; %bb.2328:                             ;   in Loop: Header=BB1_2323 Depth=2
	s_or_b32 exec_lo, exec_lo, s7
	s_wait_loadcnt 0x0
	v_dual_mov_b32 v5, v6 :: v_dual_mov_b32 v14, 0
	s_mov_b32 s7, 0
	s_delay_alu instid0(VALU_DEP_1) | instskip(SKIP_1) | instid1(SALU_CYCLE_1)
	v_cmp_eq_u64_e64 s0, s[12:13], v[4:5]
	s_or_b32 s16, s0, s16
	s_and_not1_b32 exec_lo, exec_lo, s16
	s_cbranch_execnz .LBB1_2323
; %bb.2329:                             ;   in Loop: Header=BB1_1755 Depth=1
	s_or_b32 exec_lo, exec_lo, s16
	s_add_co_i32 s14, s6, 0x52
	v_lshl_add_u64 v[4:5], s[4:5], 4, v[12:13]
	s_mul_hi_u32 s0, s14, 0x10624dd3
	s_mov_b32 s16, 0
	s_lshr_b32 s0, s0, 6
	s_mov_b32 s17, s12
	s_mul_i32 s4, s0, 0x3e8
	s_mov_b32 s19, s5
	s_sub_co_i32 s4, s14, s4
	s_or_b64 s[0:1], s[16:17], s[12:13]
	s_lshl_b32 s18, s4, 12
	v_dual_mov_b32 v0, s0 :: v_dual_mov_b32 v1, s1
	v_add_nc_u64_e32 v[8:9], s[18:19], v[10:11]
	v_dual_mov_b32 v3, s12 :: v_dual_mov_b32 v14, 0
	s_lshl_b32 s4, s4, 8
	s_mov_b32 s15, s5
	s_mov_b32 s7, s16
	global_store_b128 v[4:5], v[0:3], off th:TH_STORE_NT
.LBB1_2330:                             ;   Parent Loop BB1_1755 Depth=1
                                        ; =>  This Inner Loop Header: Depth=2
	s_wait_loadcnt 0x0
	global_load_b128 v[4:7], v[8:9], off th:TH_LOAD_NT
	v_add_nc_u32_e32 v14, 1, v14
	s_mov_b32 s1, -1
	s_mov_b32 s12, -1
	s_mov_b32 s13, exec_lo
	s_wait_xcnt 0x0
	v_cmpx_eq_u32_e32 0xf4240, v14
	s_cbranch_execz .LBB1_2332
; %bb.2331:                             ;   in Loop: Header=BB1_2330 Depth=2
	s_wait_loadcnt 0x0
	s_wait_storecnt 0x0
	global_load_b32 v0, v2, s[10:11] scope:SCOPE_SYS
	s_wait_loadcnt 0x0
	global_inv scope:SCOPE_SYS
	v_mov_b32_e32 v14, 0
	v_cmp_eq_u32_e64 s0, 0, v0
	s_or_not1_b32 s12, s0, exec_lo
.LBB1_2332:                             ;   in Loop: Header=BB1_2330 Depth=2
	s_wait_xcnt 0x0
	s_or_b32 exec_lo, exec_lo, s13
	s_and_saveexec_b32 s13, s12
	s_cbranch_execz .LBB1_2334
; %bb.2333:                             ;   in Loop: Header=BB1_2330 Depth=2
	s_wait_loadcnt 0x0
	v_cmp_eq_u32_e64 s0, s14, v5
	v_cmp_eq_u32_e64 s1, s14, v7
	s_and_b32 s0, s0, s1
	s_delay_alu instid0(SALU_CYCLE_1)
	s_or_not1_b32 s1, s0, exec_lo
.LBB1_2334:                             ;   in Loop: Header=BB1_2330 Depth=2
	s_or_b32 exec_lo, exec_lo, s13
	s_delay_alu instid0(SALU_CYCLE_1) | instskip(NEXT) | instid1(SALU_CYCLE_1)
	s_and_b32 s0, exec_lo, s1
	s_or_b32 s7, s0, s7
	s_delay_alu instid0(SALU_CYCLE_1)
	s_and_not1_b32 exec_lo, exec_lo, s7
	s_cbranch_execnz .LBB1_2330
; %bb.2335:                             ;   in Loop: Header=BB1_2330 Depth=2
	s_or_b32 exec_lo, exec_lo, s7
	s_wait_loadcnt 0x0
	v_dual_mov_b32 v5, v6 :: v_dual_mov_b32 v14, 0
	s_mov_b32 s7, 0
	s_delay_alu instid0(VALU_DEP_1) | instskip(SKIP_1) | instid1(SALU_CYCLE_1)
	v_cmp_eq_u64_e64 s0, s[14:15], v[4:5]
	s_or_b32 s16, s0, s16
	s_and_not1_b32 exec_lo, exec_lo, s16
	s_cbranch_execnz .LBB1_2330
; %bb.2336:                             ;   in Loop: Header=BB1_1755 Depth=1
	s_or_b32 exec_lo, exec_lo, s16
	s_add_co_i32 s12, s6, 0x53
	v_lshl_add_u64 v[4:5], s[4:5], 4, v[12:13]
	s_mul_hi_u32 s0, s12, 0x10624dd3
	s_mov_b32 s16, 0
	s_lshr_b32 s0, s0, 6
	s_mov_b32 s17, s14
	s_mul_i32 s4, s0, 0x3e8
	s_mov_b32 s19, s5
	s_sub_co_i32 s4, s12, s4
	s_or_b64 s[0:1], s[16:17], s[14:15]
	s_lshl_b32 s18, s4, 12
	v_dual_mov_b32 v0, s0 :: v_dual_mov_b32 v1, s1
	v_add_nc_u64_e32 v[8:9], s[18:19], v[10:11]
	v_dual_mov_b32 v3, s14 :: v_dual_mov_b32 v14, 0
	s_lshl_b32 s4, s4, 8
	s_mov_b32 s13, s5
	s_mov_b32 s7, s16
	global_store_b128 v[4:5], v[0:3], off th:TH_STORE_NT
.LBB1_2337:                             ;   Parent Loop BB1_1755 Depth=1
                                        ; =>  This Inner Loop Header: Depth=2
	s_wait_loadcnt 0x0
	global_load_b128 v[4:7], v[8:9], off th:TH_LOAD_NT
	v_add_nc_u32_e32 v14, 1, v14
	s_mov_b32 s1, -1
	s_mov_b32 s14, -1
	s_mov_b32 s15, exec_lo
	s_wait_xcnt 0x0
	v_cmpx_eq_u32_e32 0xf4240, v14
	s_cbranch_execz .LBB1_2339
; %bb.2338:                             ;   in Loop: Header=BB1_2337 Depth=2
	s_wait_loadcnt 0x0
	s_wait_storecnt 0x0
	global_load_b32 v0, v2, s[10:11] scope:SCOPE_SYS
	s_wait_loadcnt 0x0
	global_inv scope:SCOPE_SYS
	v_mov_b32_e32 v14, 0
	v_cmp_eq_u32_e64 s0, 0, v0
	s_or_not1_b32 s14, s0, exec_lo
.LBB1_2339:                             ;   in Loop: Header=BB1_2337 Depth=2
	s_wait_xcnt 0x0
	s_or_b32 exec_lo, exec_lo, s15
	s_and_saveexec_b32 s15, s14
	s_cbranch_execz .LBB1_2341
; %bb.2340:                             ;   in Loop: Header=BB1_2337 Depth=2
	s_wait_loadcnt 0x0
	v_cmp_eq_u32_e64 s0, s12, v5
	v_cmp_eq_u32_e64 s1, s12, v7
	s_and_b32 s0, s0, s1
	s_delay_alu instid0(SALU_CYCLE_1)
	s_or_not1_b32 s1, s0, exec_lo
.LBB1_2341:                             ;   in Loop: Header=BB1_2337 Depth=2
	s_or_b32 exec_lo, exec_lo, s15
	s_delay_alu instid0(SALU_CYCLE_1) | instskip(NEXT) | instid1(SALU_CYCLE_1)
	s_and_b32 s0, exec_lo, s1
	s_or_b32 s7, s0, s7
	s_delay_alu instid0(SALU_CYCLE_1)
	s_and_not1_b32 exec_lo, exec_lo, s7
	s_cbranch_execnz .LBB1_2337
; %bb.2342:                             ;   in Loop: Header=BB1_2337 Depth=2
	s_or_b32 exec_lo, exec_lo, s7
	s_wait_loadcnt 0x0
	v_dual_mov_b32 v5, v6 :: v_dual_mov_b32 v14, 0
	s_mov_b32 s7, 0
	s_delay_alu instid0(VALU_DEP_1) | instskip(SKIP_1) | instid1(SALU_CYCLE_1)
	v_cmp_eq_u64_e64 s0, s[12:13], v[4:5]
	s_or_b32 s16, s0, s16
	s_and_not1_b32 exec_lo, exec_lo, s16
	s_cbranch_execnz .LBB1_2337
; %bb.2343:                             ;   in Loop: Header=BB1_1755 Depth=1
	s_or_b32 exec_lo, exec_lo, s16
	s_add_co_i32 s14, s6, 0x54
	v_lshl_add_u64 v[4:5], s[4:5], 4, v[12:13]
	s_mul_hi_u32 s0, s14, 0x10624dd3
	s_mov_b32 s16, 0
	s_lshr_b32 s0, s0, 6
	s_mov_b32 s17, s12
	s_mul_i32 s4, s0, 0x3e8
	s_mov_b32 s19, s5
	s_sub_co_i32 s4, s14, s4
	s_or_b64 s[0:1], s[16:17], s[12:13]
	s_lshl_b32 s18, s4, 12
	v_dual_mov_b32 v0, s0 :: v_dual_mov_b32 v1, s1
	v_add_nc_u64_e32 v[8:9], s[18:19], v[10:11]
	v_dual_mov_b32 v3, s12 :: v_dual_mov_b32 v14, 0
	s_lshl_b32 s4, s4, 8
	s_mov_b32 s15, s5
	s_mov_b32 s7, s16
	global_store_b128 v[4:5], v[0:3], off th:TH_STORE_NT
.LBB1_2344:                             ;   Parent Loop BB1_1755 Depth=1
                                        ; =>  This Inner Loop Header: Depth=2
	s_wait_loadcnt 0x0
	global_load_b128 v[4:7], v[8:9], off th:TH_LOAD_NT
	v_add_nc_u32_e32 v14, 1, v14
	s_mov_b32 s1, -1
	s_mov_b32 s12, -1
	s_mov_b32 s13, exec_lo
	s_wait_xcnt 0x0
	v_cmpx_eq_u32_e32 0xf4240, v14
	s_cbranch_execz .LBB1_2346
; %bb.2345:                             ;   in Loop: Header=BB1_2344 Depth=2
	s_wait_loadcnt 0x0
	s_wait_storecnt 0x0
	global_load_b32 v0, v2, s[10:11] scope:SCOPE_SYS
	s_wait_loadcnt 0x0
	global_inv scope:SCOPE_SYS
	v_mov_b32_e32 v14, 0
	v_cmp_eq_u32_e64 s0, 0, v0
	s_or_not1_b32 s12, s0, exec_lo
.LBB1_2346:                             ;   in Loop: Header=BB1_2344 Depth=2
	s_wait_xcnt 0x0
	s_or_b32 exec_lo, exec_lo, s13
	s_and_saveexec_b32 s13, s12
	s_cbranch_execz .LBB1_2348
; %bb.2347:                             ;   in Loop: Header=BB1_2344 Depth=2
	s_wait_loadcnt 0x0
	v_cmp_eq_u32_e64 s0, s14, v5
	v_cmp_eq_u32_e64 s1, s14, v7
	s_and_b32 s0, s0, s1
	s_delay_alu instid0(SALU_CYCLE_1)
	s_or_not1_b32 s1, s0, exec_lo
.LBB1_2348:                             ;   in Loop: Header=BB1_2344 Depth=2
	s_or_b32 exec_lo, exec_lo, s13
	s_delay_alu instid0(SALU_CYCLE_1) | instskip(NEXT) | instid1(SALU_CYCLE_1)
	s_and_b32 s0, exec_lo, s1
	s_or_b32 s7, s0, s7
	s_delay_alu instid0(SALU_CYCLE_1)
	s_and_not1_b32 exec_lo, exec_lo, s7
	s_cbranch_execnz .LBB1_2344
; %bb.2349:                             ;   in Loop: Header=BB1_2344 Depth=2
	s_or_b32 exec_lo, exec_lo, s7
	s_wait_loadcnt 0x0
	v_dual_mov_b32 v5, v6 :: v_dual_mov_b32 v14, 0
	s_mov_b32 s7, 0
	s_delay_alu instid0(VALU_DEP_1) | instskip(SKIP_1) | instid1(SALU_CYCLE_1)
	v_cmp_eq_u64_e64 s0, s[14:15], v[4:5]
	s_or_b32 s16, s0, s16
	s_and_not1_b32 exec_lo, exec_lo, s16
	s_cbranch_execnz .LBB1_2344
; %bb.2350:                             ;   in Loop: Header=BB1_1755 Depth=1
	s_or_b32 exec_lo, exec_lo, s16
	s_add_co_i32 s12, s6, 0x55
	v_lshl_add_u64 v[4:5], s[4:5], 4, v[12:13]
	s_mul_hi_u32 s0, s12, 0x10624dd3
	s_mov_b32 s16, 0
	s_lshr_b32 s0, s0, 6
	s_mov_b32 s17, s14
	s_mul_i32 s4, s0, 0x3e8
	s_mov_b32 s19, s5
	s_sub_co_i32 s4, s12, s4
	s_or_b64 s[0:1], s[16:17], s[14:15]
	s_lshl_b32 s18, s4, 12
	v_dual_mov_b32 v0, s0 :: v_dual_mov_b32 v1, s1
	v_add_nc_u64_e32 v[8:9], s[18:19], v[10:11]
	v_dual_mov_b32 v3, s14 :: v_dual_mov_b32 v14, 0
	s_lshl_b32 s4, s4, 8
	s_mov_b32 s13, s5
	s_mov_b32 s7, s16
	global_store_b128 v[4:5], v[0:3], off th:TH_STORE_NT
.LBB1_2351:                             ;   Parent Loop BB1_1755 Depth=1
                                        ; =>  This Inner Loop Header: Depth=2
	s_wait_loadcnt 0x0
	global_load_b128 v[4:7], v[8:9], off th:TH_LOAD_NT
	v_add_nc_u32_e32 v14, 1, v14
	s_mov_b32 s1, -1
	s_mov_b32 s14, -1
	s_mov_b32 s15, exec_lo
	s_wait_xcnt 0x0
	v_cmpx_eq_u32_e32 0xf4240, v14
	s_cbranch_execz .LBB1_2353
; %bb.2352:                             ;   in Loop: Header=BB1_2351 Depth=2
	s_wait_loadcnt 0x0
	s_wait_storecnt 0x0
	global_load_b32 v0, v2, s[10:11] scope:SCOPE_SYS
	s_wait_loadcnt 0x0
	global_inv scope:SCOPE_SYS
	v_mov_b32_e32 v14, 0
	v_cmp_eq_u32_e64 s0, 0, v0
	s_or_not1_b32 s14, s0, exec_lo
.LBB1_2353:                             ;   in Loop: Header=BB1_2351 Depth=2
	s_wait_xcnt 0x0
	s_or_b32 exec_lo, exec_lo, s15
	s_and_saveexec_b32 s15, s14
	s_cbranch_execz .LBB1_2355
; %bb.2354:                             ;   in Loop: Header=BB1_2351 Depth=2
	s_wait_loadcnt 0x0
	v_cmp_eq_u32_e64 s0, s12, v5
	v_cmp_eq_u32_e64 s1, s12, v7
	s_and_b32 s0, s0, s1
	s_delay_alu instid0(SALU_CYCLE_1)
	s_or_not1_b32 s1, s0, exec_lo
.LBB1_2355:                             ;   in Loop: Header=BB1_2351 Depth=2
	s_or_b32 exec_lo, exec_lo, s15
	s_delay_alu instid0(SALU_CYCLE_1) | instskip(NEXT) | instid1(SALU_CYCLE_1)
	s_and_b32 s0, exec_lo, s1
	s_or_b32 s7, s0, s7
	s_delay_alu instid0(SALU_CYCLE_1)
	s_and_not1_b32 exec_lo, exec_lo, s7
	s_cbranch_execnz .LBB1_2351
; %bb.2356:                             ;   in Loop: Header=BB1_2351 Depth=2
	s_or_b32 exec_lo, exec_lo, s7
	s_wait_loadcnt 0x0
	v_dual_mov_b32 v5, v6 :: v_dual_mov_b32 v14, 0
	s_mov_b32 s7, 0
	s_delay_alu instid0(VALU_DEP_1) | instskip(SKIP_1) | instid1(SALU_CYCLE_1)
	v_cmp_eq_u64_e64 s0, s[12:13], v[4:5]
	s_or_b32 s16, s0, s16
	s_and_not1_b32 exec_lo, exec_lo, s16
	s_cbranch_execnz .LBB1_2351
; %bb.2357:                             ;   in Loop: Header=BB1_1755 Depth=1
	s_or_b32 exec_lo, exec_lo, s16
	s_add_co_i32 s14, s6, 0x56
	v_lshl_add_u64 v[4:5], s[4:5], 4, v[12:13]
	s_mul_hi_u32 s0, s14, 0x10624dd3
	s_mov_b32 s16, 0
	s_lshr_b32 s0, s0, 6
	s_mov_b32 s17, s12
	s_mul_i32 s4, s0, 0x3e8
	s_mov_b32 s19, s5
	s_sub_co_i32 s4, s14, s4
	s_or_b64 s[0:1], s[16:17], s[12:13]
	s_lshl_b32 s18, s4, 12
	v_dual_mov_b32 v0, s0 :: v_dual_mov_b32 v1, s1
	v_add_nc_u64_e32 v[8:9], s[18:19], v[10:11]
	v_dual_mov_b32 v3, s12 :: v_dual_mov_b32 v14, 0
	s_lshl_b32 s4, s4, 8
	s_mov_b32 s15, s5
	s_mov_b32 s7, s16
	global_store_b128 v[4:5], v[0:3], off th:TH_STORE_NT
.LBB1_2358:                             ;   Parent Loop BB1_1755 Depth=1
                                        ; =>  This Inner Loop Header: Depth=2
	s_wait_loadcnt 0x0
	global_load_b128 v[4:7], v[8:9], off th:TH_LOAD_NT
	v_add_nc_u32_e32 v14, 1, v14
	s_mov_b32 s1, -1
	s_mov_b32 s12, -1
	s_mov_b32 s13, exec_lo
	s_wait_xcnt 0x0
	v_cmpx_eq_u32_e32 0xf4240, v14
	s_cbranch_execz .LBB1_2360
; %bb.2359:                             ;   in Loop: Header=BB1_2358 Depth=2
	s_wait_loadcnt 0x0
	s_wait_storecnt 0x0
	global_load_b32 v0, v2, s[10:11] scope:SCOPE_SYS
	s_wait_loadcnt 0x0
	global_inv scope:SCOPE_SYS
	v_mov_b32_e32 v14, 0
	v_cmp_eq_u32_e64 s0, 0, v0
	s_or_not1_b32 s12, s0, exec_lo
.LBB1_2360:                             ;   in Loop: Header=BB1_2358 Depth=2
	s_wait_xcnt 0x0
	s_or_b32 exec_lo, exec_lo, s13
	s_and_saveexec_b32 s13, s12
	s_cbranch_execz .LBB1_2362
; %bb.2361:                             ;   in Loop: Header=BB1_2358 Depth=2
	s_wait_loadcnt 0x0
	v_cmp_eq_u32_e64 s0, s14, v5
	v_cmp_eq_u32_e64 s1, s14, v7
	s_and_b32 s0, s0, s1
	s_delay_alu instid0(SALU_CYCLE_1)
	s_or_not1_b32 s1, s0, exec_lo
.LBB1_2362:                             ;   in Loop: Header=BB1_2358 Depth=2
	s_or_b32 exec_lo, exec_lo, s13
	s_delay_alu instid0(SALU_CYCLE_1) | instskip(NEXT) | instid1(SALU_CYCLE_1)
	s_and_b32 s0, exec_lo, s1
	s_or_b32 s7, s0, s7
	s_delay_alu instid0(SALU_CYCLE_1)
	s_and_not1_b32 exec_lo, exec_lo, s7
	s_cbranch_execnz .LBB1_2358
; %bb.2363:                             ;   in Loop: Header=BB1_2358 Depth=2
	s_or_b32 exec_lo, exec_lo, s7
	s_wait_loadcnt 0x0
	v_dual_mov_b32 v5, v6 :: v_dual_mov_b32 v14, 0
	s_mov_b32 s7, 0
	s_delay_alu instid0(VALU_DEP_1) | instskip(SKIP_1) | instid1(SALU_CYCLE_1)
	v_cmp_eq_u64_e64 s0, s[14:15], v[4:5]
	s_or_b32 s16, s0, s16
	s_and_not1_b32 exec_lo, exec_lo, s16
	s_cbranch_execnz .LBB1_2358
; %bb.2364:                             ;   in Loop: Header=BB1_1755 Depth=1
	s_or_b32 exec_lo, exec_lo, s16
	s_add_co_i32 s12, s6, 0x57
	v_lshl_add_u64 v[4:5], s[4:5], 4, v[12:13]
	s_mul_hi_u32 s0, s12, 0x10624dd3
	s_mov_b32 s16, 0
	s_lshr_b32 s0, s0, 6
	s_mov_b32 s17, s14
	s_mul_i32 s4, s0, 0x3e8
	s_mov_b32 s19, s5
	s_sub_co_i32 s4, s12, s4
	s_or_b64 s[0:1], s[16:17], s[14:15]
	s_lshl_b32 s18, s4, 12
	v_dual_mov_b32 v0, s0 :: v_dual_mov_b32 v1, s1
	v_add_nc_u64_e32 v[8:9], s[18:19], v[10:11]
	v_dual_mov_b32 v3, s14 :: v_dual_mov_b32 v14, 0
	s_lshl_b32 s4, s4, 8
	s_mov_b32 s13, s5
	s_mov_b32 s7, s16
	global_store_b128 v[4:5], v[0:3], off th:TH_STORE_NT
.LBB1_2365:                             ;   Parent Loop BB1_1755 Depth=1
                                        ; =>  This Inner Loop Header: Depth=2
	s_wait_loadcnt 0x0
	global_load_b128 v[4:7], v[8:9], off th:TH_LOAD_NT
	v_add_nc_u32_e32 v14, 1, v14
	s_mov_b32 s1, -1
	s_mov_b32 s14, -1
	s_mov_b32 s15, exec_lo
	s_wait_xcnt 0x0
	v_cmpx_eq_u32_e32 0xf4240, v14
	s_cbranch_execz .LBB1_2367
; %bb.2366:                             ;   in Loop: Header=BB1_2365 Depth=2
	s_wait_loadcnt 0x0
	s_wait_storecnt 0x0
	global_load_b32 v0, v2, s[10:11] scope:SCOPE_SYS
	s_wait_loadcnt 0x0
	global_inv scope:SCOPE_SYS
	v_mov_b32_e32 v14, 0
	v_cmp_eq_u32_e64 s0, 0, v0
	s_or_not1_b32 s14, s0, exec_lo
.LBB1_2367:                             ;   in Loop: Header=BB1_2365 Depth=2
	s_wait_xcnt 0x0
	s_or_b32 exec_lo, exec_lo, s15
	s_and_saveexec_b32 s15, s14
	s_cbranch_execz .LBB1_2369
; %bb.2368:                             ;   in Loop: Header=BB1_2365 Depth=2
	s_wait_loadcnt 0x0
	v_cmp_eq_u32_e64 s0, s12, v5
	v_cmp_eq_u32_e64 s1, s12, v7
	s_and_b32 s0, s0, s1
	s_delay_alu instid0(SALU_CYCLE_1)
	s_or_not1_b32 s1, s0, exec_lo
.LBB1_2369:                             ;   in Loop: Header=BB1_2365 Depth=2
	s_or_b32 exec_lo, exec_lo, s15
	s_delay_alu instid0(SALU_CYCLE_1) | instskip(NEXT) | instid1(SALU_CYCLE_1)
	s_and_b32 s0, exec_lo, s1
	s_or_b32 s7, s0, s7
	s_delay_alu instid0(SALU_CYCLE_1)
	s_and_not1_b32 exec_lo, exec_lo, s7
	s_cbranch_execnz .LBB1_2365
; %bb.2370:                             ;   in Loop: Header=BB1_2365 Depth=2
	s_or_b32 exec_lo, exec_lo, s7
	s_wait_loadcnt 0x0
	v_dual_mov_b32 v5, v6 :: v_dual_mov_b32 v14, 0
	s_mov_b32 s7, 0
	s_delay_alu instid0(VALU_DEP_1) | instskip(SKIP_1) | instid1(SALU_CYCLE_1)
	v_cmp_eq_u64_e64 s0, s[12:13], v[4:5]
	s_or_b32 s16, s0, s16
	s_and_not1_b32 exec_lo, exec_lo, s16
	s_cbranch_execnz .LBB1_2365
; %bb.2371:                             ;   in Loop: Header=BB1_1755 Depth=1
	s_or_b32 exec_lo, exec_lo, s16
	s_add_co_i32 s14, s6, 0x58
	v_lshl_add_u64 v[4:5], s[4:5], 4, v[12:13]
	s_mul_hi_u32 s0, s14, 0x10624dd3
	s_mov_b32 s16, 0
	s_lshr_b32 s0, s0, 6
	s_mov_b32 s17, s12
	s_mul_i32 s4, s0, 0x3e8
	s_mov_b32 s19, s5
	s_sub_co_i32 s4, s14, s4
	s_or_b64 s[0:1], s[16:17], s[12:13]
	s_lshl_b32 s18, s4, 12
	v_dual_mov_b32 v0, s0 :: v_dual_mov_b32 v1, s1
	v_add_nc_u64_e32 v[8:9], s[18:19], v[10:11]
	v_dual_mov_b32 v3, s12 :: v_dual_mov_b32 v14, 0
	s_lshl_b32 s4, s4, 8
	s_mov_b32 s15, s5
	s_mov_b32 s7, s16
	global_store_b128 v[4:5], v[0:3], off th:TH_STORE_NT
.LBB1_2372:                             ;   Parent Loop BB1_1755 Depth=1
                                        ; =>  This Inner Loop Header: Depth=2
	s_wait_loadcnt 0x0
	global_load_b128 v[4:7], v[8:9], off th:TH_LOAD_NT
	v_add_nc_u32_e32 v14, 1, v14
	s_mov_b32 s1, -1
	s_mov_b32 s12, -1
	s_mov_b32 s13, exec_lo
	s_wait_xcnt 0x0
	v_cmpx_eq_u32_e32 0xf4240, v14
	s_cbranch_execz .LBB1_2374
; %bb.2373:                             ;   in Loop: Header=BB1_2372 Depth=2
	s_wait_loadcnt 0x0
	s_wait_storecnt 0x0
	global_load_b32 v0, v2, s[10:11] scope:SCOPE_SYS
	s_wait_loadcnt 0x0
	global_inv scope:SCOPE_SYS
	v_mov_b32_e32 v14, 0
	v_cmp_eq_u32_e64 s0, 0, v0
	s_or_not1_b32 s12, s0, exec_lo
.LBB1_2374:                             ;   in Loop: Header=BB1_2372 Depth=2
	s_wait_xcnt 0x0
	s_or_b32 exec_lo, exec_lo, s13
	s_and_saveexec_b32 s13, s12
	s_cbranch_execz .LBB1_2376
; %bb.2375:                             ;   in Loop: Header=BB1_2372 Depth=2
	s_wait_loadcnt 0x0
	v_cmp_eq_u32_e64 s0, s14, v5
	v_cmp_eq_u32_e64 s1, s14, v7
	s_and_b32 s0, s0, s1
	s_delay_alu instid0(SALU_CYCLE_1)
	s_or_not1_b32 s1, s0, exec_lo
.LBB1_2376:                             ;   in Loop: Header=BB1_2372 Depth=2
	s_or_b32 exec_lo, exec_lo, s13
	s_delay_alu instid0(SALU_CYCLE_1) | instskip(NEXT) | instid1(SALU_CYCLE_1)
	s_and_b32 s0, exec_lo, s1
	s_or_b32 s7, s0, s7
	s_delay_alu instid0(SALU_CYCLE_1)
	s_and_not1_b32 exec_lo, exec_lo, s7
	s_cbranch_execnz .LBB1_2372
; %bb.2377:                             ;   in Loop: Header=BB1_2372 Depth=2
	s_or_b32 exec_lo, exec_lo, s7
	s_wait_loadcnt 0x0
	v_dual_mov_b32 v5, v6 :: v_dual_mov_b32 v14, 0
	s_mov_b32 s7, 0
	s_delay_alu instid0(VALU_DEP_1) | instskip(SKIP_1) | instid1(SALU_CYCLE_1)
	v_cmp_eq_u64_e64 s0, s[14:15], v[4:5]
	s_or_b32 s16, s0, s16
	s_and_not1_b32 exec_lo, exec_lo, s16
	s_cbranch_execnz .LBB1_2372
; %bb.2378:                             ;   in Loop: Header=BB1_1755 Depth=1
	s_or_b32 exec_lo, exec_lo, s16
	s_add_co_i32 s12, s6, 0x59
	v_lshl_add_u64 v[4:5], s[4:5], 4, v[12:13]
	s_mul_hi_u32 s0, s12, 0x10624dd3
	s_mov_b32 s16, 0
	s_lshr_b32 s0, s0, 6
	s_mov_b32 s17, s14
	s_mul_i32 s4, s0, 0x3e8
	s_mov_b32 s19, s5
	s_sub_co_i32 s4, s12, s4
	s_or_b64 s[0:1], s[16:17], s[14:15]
	s_lshl_b32 s18, s4, 12
	v_dual_mov_b32 v0, s0 :: v_dual_mov_b32 v1, s1
	v_add_nc_u64_e32 v[8:9], s[18:19], v[10:11]
	v_dual_mov_b32 v3, s14 :: v_dual_mov_b32 v14, 0
	s_lshl_b32 s4, s4, 8
	s_mov_b32 s13, s5
	s_mov_b32 s7, s16
	global_store_b128 v[4:5], v[0:3], off th:TH_STORE_NT
.LBB1_2379:                             ;   Parent Loop BB1_1755 Depth=1
                                        ; =>  This Inner Loop Header: Depth=2
	s_wait_loadcnt 0x0
	global_load_b128 v[4:7], v[8:9], off th:TH_LOAD_NT
	v_add_nc_u32_e32 v14, 1, v14
	s_mov_b32 s1, -1
	s_mov_b32 s14, -1
	s_mov_b32 s15, exec_lo
	s_wait_xcnt 0x0
	v_cmpx_eq_u32_e32 0xf4240, v14
	s_cbranch_execz .LBB1_2381
; %bb.2380:                             ;   in Loop: Header=BB1_2379 Depth=2
	s_wait_loadcnt 0x0
	s_wait_storecnt 0x0
	global_load_b32 v0, v2, s[10:11] scope:SCOPE_SYS
	s_wait_loadcnt 0x0
	global_inv scope:SCOPE_SYS
	v_mov_b32_e32 v14, 0
	v_cmp_eq_u32_e64 s0, 0, v0
	s_or_not1_b32 s14, s0, exec_lo
.LBB1_2381:                             ;   in Loop: Header=BB1_2379 Depth=2
	s_wait_xcnt 0x0
	s_or_b32 exec_lo, exec_lo, s15
	s_and_saveexec_b32 s15, s14
	s_cbranch_execz .LBB1_2383
; %bb.2382:                             ;   in Loop: Header=BB1_2379 Depth=2
	s_wait_loadcnt 0x0
	v_cmp_eq_u32_e64 s0, s12, v5
	v_cmp_eq_u32_e64 s1, s12, v7
	s_and_b32 s0, s0, s1
	s_delay_alu instid0(SALU_CYCLE_1)
	s_or_not1_b32 s1, s0, exec_lo
.LBB1_2383:                             ;   in Loop: Header=BB1_2379 Depth=2
	s_or_b32 exec_lo, exec_lo, s15
	s_delay_alu instid0(SALU_CYCLE_1) | instskip(NEXT) | instid1(SALU_CYCLE_1)
	s_and_b32 s0, exec_lo, s1
	s_or_b32 s7, s0, s7
	s_delay_alu instid0(SALU_CYCLE_1)
	s_and_not1_b32 exec_lo, exec_lo, s7
	s_cbranch_execnz .LBB1_2379
; %bb.2384:                             ;   in Loop: Header=BB1_2379 Depth=2
	s_or_b32 exec_lo, exec_lo, s7
	s_wait_loadcnt 0x0
	v_dual_mov_b32 v5, v6 :: v_dual_mov_b32 v14, 0
	s_mov_b32 s7, 0
	s_delay_alu instid0(VALU_DEP_1) | instskip(SKIP_1) | instid1(SALU_CYCLE_1)
	v_cmp_eq_u64_e64 s0, s[12:13], v[4:5]
	s_or_b32 s16, s0, s16
	s_and_not1_b32 exec_lo, exec_lo, s16
	s_cbranch_execnz .LBB1_2379
; %bb.2385:                             ;   in Loop: Header=BB1_1755 Depth=1
	s_or_b32 exec_lo, exec_lo, s16
	s_add_co_i32 s14, s6, 0x5a
	v_lshl_add_u64 v[4:5], s[4:5], 4, v[12:13]
	s_mul_hi_u32 s0, s14, 0x10624dd3
	s_mov_b32 s16, 0
	s_lshr_b32 s0, s0, 6
	s_mov_b32 s17, s12
	s_mul_i32 s4, s0, 0x3e8
	s_mov_b32 s19, s5
	s_sub_co_i32 s4, s14, s4
	s_or_b64 s[0:1], s[16:17], s[12:13]
	s_lshl_b32 s18, s4, 12
	v_dual_mov_b32 v0, s0 :: v_dual_mov_b32 v1, s1
	v_add_nc_u64_e32 v[8:9], s[18:19], v[10:11]
	v_dual_mov_b32 v3, s12 :: v_dual_mov_b32 v14, 0
	s_lshl_b32 s4, s4, 8
	s_mov_b32 s15, s5
	s_mov_b32 s7, s16
	global_store_b128 v[4:5], v[0:3], off th:TH_STORE_NT
.LBB1_2386:                             ;   Parent Loop BB1_1755 Depth=1
                                        ; =>  This Inner Loop Header: Depth=2
	s_wait_loadcnt 0x0
	global_load_b128 v[4:7], v[8:9], off th:TH_LOAD_NT
	v_add_nc_u32_e32 v14, 1, v14
	s_mov_b32 s1, -1
	s_mov_b32 s12, -1
	s_mov_b32 s13, exec_lo
	s_wait_xcnt 0x0
	v_cmpx_eq_u32_e32 0xf4240, v14
	s_cbranch_execz .LBB1_2388
; %bb.2387:                             ;   in Loop: Header=BB1_2386 Depth=2
	s_wait_loadcnt 0x0
	s_wait_storecnt 0x0
	global_load_b32 v0, v2, s[10:11] scope:SCOPE_SYS
	s_wait_loadcnt 0x0
	global_inv scope:SCOPE_SYS
	v_mov_b32_e32 v14, 0
	v_cmp_eq_u32_e64 s0, 0, v0
	s_or_not1_b32 s12, s0, exec_lo
.LBB1_2388:                             ;   in Loop: Header=BB1_2386 Depth=2
	s_wait_xcnt 0x0
	s_or_b32 exec_lo, exec_lo, s13
	s_and_saveexec_b32 s13, s12
	s_cbranch_execz .LBB1_2390
; %bb.2389:                             ;   in Loop: Header=BB1_2386 Depth=2
	s_wait_loadcnt 0x0
	v_cmp_eq_u32_e64 s0, s14, v5
	v_cmp_eq_u32_e64 s1, s14, v7
	s_and_b32 s0, s0, s1
	s_delay_alu instid0(SALU_CYCLE_1)
	s_or_not1_b32 s1, s0, exec_lo
.LBB1_2390:                             ;   in Loop: Header=BB1_2386 Depth=2
	s_or_b32 exec_lo, exec_lo, s13
	s_delay_alu instid0(SALU_CYCLE_1) | instskip(NEXT) | instid1(SALU_CYCLE_1)
	s_and_b32 s0, exec_lo, s1
	s_or_b32 s7, s0, s7
	s_delay_alu instid0(SALU_CYCLE_1)
	s_and_not1_b32 exec_lo, exec_lo, s7
	s_cbranch_execnz .LBB1_2386
; %bb.2391:                             ;   in Loop: Header=BB1_2386 Depth=2
	s_or_b32 exec_lo, exec_lo, s7
	s_wait_loadcnt 0x0
	v_dual_mov_b32 v5, v6 :: v_dual_mov_b32 v14, 0
	s_mov_b32 s7, 0
	s_delay_alu instid0(VALU_DEP_1) | instskip(SKIP_1) | instid1(SALU_CYCLE_1)
	v_cmp_eq_u64_e64 s0, s[14:15], v[4:5]
	s_or_b32 s16, s0, s16
	s_and_not1_b32 exec_lo, exec_lo, s16
	s_cbranch_execnz .LBB1_2386
; %bb.2392:                             ;   in Loop: Header=BB1_1755 Depth=1
	s_or_b32 exec_lo, exec_lo, s16
	s_add_co_i32 s12, s6, 0x5b
	v_lshl_add_u64 v[4:5], s[4:5], 4, v[12:13]
	s_mul_hi_u32 s0, s12, 0x10624dd3
	s_mov_b32 s16, 0
	s_lshr_b32 s0, s0, 6
	s_mov_b32 s17, s14
	s_mul_i32 s4, s0, 0x3e8
	s_mov_b32 s19, s5
	s_sub_co_i32 s4, s12, s4
	s_or_b64 s[0:1], s[16:17], s[14:15]
	s_lshl_b32 s18, s4, 12
	v_dual_mov_b32 v0, s0 :: v_dual_mov_b32 v1, s1
	v_add_nc_u64_e32 v[8:9], s[18:19], v[10:11]
	v_dual_mov_b32 v3, s14 :: v_dual_mov_b32 v14, 0
	s_lshl_b32 s4, s4, 8
	s_mov_b32 s13, s5
	s_mov_b32 s7, s16
	global_store_b128 v[4:5], v[0:3], off th:TH_STORE_NT
.LBB1_2393:                             ;   Parent Loop BB1_1755 Depth=1
                                        ; =>  This Inner Loop Header: Depth=2
	s_wait_loadcnt 0x0
	global_load_b128 v[4:7], v[8:9], off th:TH_LOAD_NT
	v_add_nc_u32_e32 v14, 1, v14
	s_mov_b32 s1, -1
	s_mov_b32 s14, -1
	s_mov_b32 s15, exec_lo
	s_wait_xcnt 0x0
	v_cmpx_eq_u32_e32 0xf4240, v14
	s_cbranch_execz .LBB1_2395
; %bb.2394:                             ;   in Loop: Header=BB1_2393 Depth=2
	s_wait_loadcnt 0x0
	s_wait_storecnt 0x0
	global_load_b32 v0, v2, s[10:11] scope:SCOPE_SYS
	s_wait_loadcnt 0x0
	global_inv scope:SCOPE_SYS
	v_mov_b32_e32 v14, 0
	v_cmp_eq_u32_e64 s0, 0, v0
	s_or_not1_b32 s14, s0, exec_lo
.LBB1_2395:                             ;   in Loop: Header=BB1_2393 Depth=2
	s_wait_xcnt 0x0
	s_or_b32 exec_lo, exec_lo, s15
	s_and_saveexec_b32 s15, s14
	s_cbranch_execz .LBB1_2397
; %bb.2396:                             ;   in Loop: Header=BB1_2393 Depth=2
	s_wait_loadcnt 0x0
	v_cmp_eq_u32_e64 s0, s12, v5
	v_cmp_eq_u32_e64 s1, s12, v7
	s_and_b32 s0, s0, s1
	s_delay_alu instid0(SALU_CYCLE_1)
	s_or_not1_b32 s1, s0, exec_lo
.LBB1_2397:                             ;   in Loop: Header=BB1_2393 Depth=2
	s_or_b32 exec_lo, exec_lo, s15
	s_delay_alu instid0(SALU_CYCLE_1) | instskip(NEXT) | instid1(SALU_CYCLE_1)
	s_and_b32 s0, exec_lo, s1
	s_or_b32 s7, s0, s7
	s_delay_alu instid0(SALU_CYCLE_1)
	s_and_not1_b32 exec_lo, exec_lo, s7
	s_cbranch_execnz .LBB1_2393
; %bb.2398:                             ;   in Loop: Header=BB1_2393 Depth=2
	s_or_b32 exec_lo, exec_lo, s7
	s_wait_loadcnt 0x0
	v_dual_mov_b32 v5, v6 :: v_dual_mov_b32 v14, 0
	s_mov_b32 s7, 0
	s_delay_alu instid0(VALU_DEP_1) | instskip(SKIP_1) | instid1(SALU_CYCLE_1)
	v_cmp_eq_u64_e64 s0, s[12:13], v[4:5]
	s_or_b32 s16, s0, s16
	s_and_not1_b32 exec_lo, exec_lo, s16
	s_cbranch_execnz .LBB1_2393
; %bb.2399:                             ;   in Loop: Header=BB1_1755 Depth=1
	s_or_b32 exec_lo, exec_lo, s16
	s_add_co_i32 s14, s6, 0x5c
	v_lshl_add_u64 v[4:5], s[4:5], 4, v[12:13]
	s_mul_hi_u32 s0, s14, 0x10624dd3
	s_mov_b32 s16, 0
	s_lshr_b32 s0, s0, 6
	s_mov_b32 s17, s12
	s_mul_i32 s4, s0, 0x3e8
	s_mov_b32 s19, s5
	s_sub_co_i32 s4, s14, s4
	s_or_b64 s[0:1], s[16:17], s[12:13]
	s_lshl_b32 s18, s4, 12
	v_dual_mov_b32 v0, s0 :: v_dual_mov_b32 v1, s1
	v_add_nc_u64_e32 v[8:9], s[18:19], v[10:11]
	v_dual_mov_b32 v3, s12 :: v_dual_mov_b32 v14, 0
	s_lshl_b32 s4, s4, 8
	s_mov_b32 s15, s5
	s_mov_b32 s7, s16
	global_store_b128 v[4:5], v[0:3], off th:TH_STORE_NT
.LBB1_2400:                             ;   Parent Loop BB1_1755 Depth=1
                                        ; =>  This Inner Loop Header: Depth=2
	s_wait_loadcnt 0x0
	global_load_b128 v[4:7], v[8:9], off th:TH_LOAD_NT
	v_add_nc_u32_e32 v14, 1, v14
	s_mov_b32 s1, -1
	s_mov_b32 s12, -1
	s_mov_b32 s13, exec_lo
	s_wait_xcnt 0x0
	v_cmpx_eq_u32_e32 0xf4240, v14
	s_cbranch_execz .LBB1_2402
; %bb.2401:                             ;   in Loop: Header=BB1_2400 Depth=2
	s_wait_loadcnt 0x0
	s_wait_storecnt 0x0
	global_load_b32 v0, v2, s[10:11] scope:SCOPE_SYS
	s_wait_loadcnt 0x0
	global_inv scope:SCOPE_SYS
	v_mov_b32_e32 v14, 0
	v_cmp_eq_u32_e64 s0, 0, v0
	s_or_not1_b32 s12, s0, exec_lo
.LBB1_2402:                             ;   in Loop: Header=BB1_2400 Depth=2
	s_wait_xcnt 0x0
	s_or_b32 exec_lo, exec_lo, s13
	s_and_saveexec_b32 s13, s12
	s_cbranch_execz .LBB1_2404
; %bb.2403:                             ;   in Loop: Header=BB1_2400 Depth=2
	s_wait_loadcnt 0x0
	v_cmp_eq_u32_e64 s0, s14, v5
	v_cmp_eq_u32_e64 s1, s14, v7
	s_and_b32 s0, s0, s1
	s_delay_alu instid0(SALU_CYCLE_1)
	s_or_not1_b32 s1, s0, exec_lo
.LBB1_2404:                             ;   in Loop: Header=BB1_2400 Depth=2
	s_or_b32 exec_lo, exec_lo, s13
	s_delay_alu instid0(SALU_CYCLE_1) | instskip(NEXT) | instid1(SALU_CYCLE_1)
	s_and_b32 s0, exec_lo, s1
	s_or_b32 s7, s0, s7
	s_delay_alu instid0(SALU_CYCLE_1)
	s_and_not1_b32 exec_lo, exec_lo, s7
	s_cbranch_execnz .LBB1_2400
; %bb.2405:                             ;   in Loop: Header=BB1_2400 Depth=2
	s_or_b32 exec_lo, exec_lo, s7
	s_wait_loadcnt 0x0
	v_dual_mov_b32 v5, v6 :: v_dual_mov_b32 v14, 0
	s_mov_b32 s7, 0
	s_delay_alu instid0(VALU_DEP_1) | instskip(SKIP_1) | instid1(SALU_CYCLE_1)
	v_cmp_eq_u64_e64 s0, s[14:15], v[4:5]
	s_or_b32 s16, s0, s16
	s_and_not1_b32 exec_lo, exec_lo, s16
	s_cbranch_execnz .LBB1_2400
; %bb.2406:                             ;   in Loop: Header=BB1_1755 Depth=1
	s_or_b32 exec_lo, exec_lo, s16
	s_add_co_i32 s12, s6, 0x5d
	v_lshl_add_u64 v[4:5], s[4:5], 4, v[12:13]
	s_mul_hi_u32 s0, s12, 0x10624dd3
	s_mov_b32 s16, 0
	s_lshr_b32 s0, s0, 6
	s_mov_b32 s17, s14
	s_mul_i32 s4, s0, 0x3e8
	s_mov_b32 s19, s5
	s_sub_co_i32 s4, s12, s4
	s_or_b64 s[0:1], s[16:17], s[14:15]
	s_lshl_b32 s18, s4, 12
	v_dual_mov_b32 v0, s0 :: v_dual_mov_b32 v1, s1
	v_add_nc_u64_e32 v[8:9], s[18:19], v[10:11]
	v_dual_mov_b32 v3, s14 :: v_dual_mov_b32 v14, 0
	s_lshl_b32 s4, s4, 8
	s_mov_b32 s13, s5
	s_mov_b32 s7, s16
	global_store_b128 v[4:5], v[0:3], off th:TH_STORE_NT
.LBB1_2407:                             ;   Parent Loop BB1_1755 Depth=1
                                        ; =>  This Inner Loop Header: Depth=2
	s_wait_loadcnt 0x0
	global_load_b128 v[4:7], v[8:9], off th:TH_LOAD_NT
	v_add_nc_u32_e32 v14, 1, v14
	s_mov_b32 s1, -1
	s_mov_b32 s14, -1
	s_mov_b32 s15, exec_lo
	s_wait_xcnt 0x0
	v_cmpx_eq_u32_e32 0xf4240, v14
	s_cbranch_execz .LBB1_2409
; %bb.2408:                             ;   in Loop: Header=BB1_2407 Depth=2
	s_wait_loadcnt 0x0
	s_wait_storecnt 0x0
	global_load_b32 v0, v2, s[10:11] scope:SCOPE_SYS
	s_wait_loadcnt 0x0
	global_inv scope:SCOPE_SYS
	v_mov_b32_e32 v14, 0
	v_cmp_eq_u32_e64 s0, 0, v0
	s_or_not1_b32 s14, s0, exec_lo
.LBB1_2409:                             ;   in Loop: Header=BB1_2407 Depth=2
	s_wait_xcnt 0x0
	s_or_b32 exec_lo, exec_lo, s15
	s_and_saveexec_b32 s15, s14
	s_cbranch_execz .LBB1_2411
; %bb.2410:                             ;   in Loop: Header=BB1_2407 Depth=2
	s_wait_loadcnt 0x0
	v_cmp_eq_u32_e64 s0, s12, v5
	v_cmp_eq_u32_e64 s1, s12, v7
	s_and_b32 s0, s0, s1
	s_delay_alu instid0(SALU_CYCLE_1)
	s_or_not1_b32 s1, s0, exec_lo
.LBB1_2411:                             ;   in Loop: Header=BB1_2407 Depth=2
	s_or_b32 exec_lo, exec_lo, s15
	s_delay_alu instid0(SALU_CYCLE_1) | instskip(NEXT) | instid1(SALU_CYCLE_1)
	s_and_b32 s0, exec_lo, s1
	s_or_b32 s7, s0, s7
	s_delay_alu instid0(SALU_CYCLE_1)
	s_and_not1_b32 exec_lo, exec_lo, s7
	s_cbranch_execnz .LBB1_2407
; %bb.2412:                             ;   in Loop: Header=BB1_2407 Depth=2
	s_or_b32 exec_lo, exec_lo, s7
	s_wait_loadcnt 0x0
	v_dual_mov_b32 v5, v6 :: v_dual_mov_b32 v14, 0
	s_mov_b32 s7, 0
	s_delay_alu instid0(VALU_DEP_1) | instskip(SKIP_1) | instid1(SALU_CYCLE_1)
	v_cmp_eq_u64_e64 s0, s[12:13], v[4:5]
	s_or_b32 s16, s0, s16
	s_and_not1_b32 exec_lo, exec_lo, s16
	s_cbranch_execnz .LBB1_2407
; %bb.2413:                             ;   in Loop: Header=BB1_1755 Depth=1
	s_or_b32 exec_lo, exec_lo, s16
	s_add_co_i32 s14, s6, 0x5e
	v_lshl_add_u64 v[4:5], s[4:5], 4, v[12:13]
	s_mul_hi_u32 s0, s14, 0x10624dd3
	s_mov_b32 s16, 0
	s_lshr_b32 s0, s0, 6
	s_mov_b32 s17, s12
	s_mul_i32 s4, s0, 0x3e8
	s_mov_b32 s19, s5
	s_sub_co_i32 s4, s14, s4
	s_or_b64 s[0:1], s[16:17], s[12:13]
	s_lshl_b32 s18, s4, 12
	v_dual_mov_b32 v0, s0 :: v_dual_mov_b32 v1, s1
	v_add_nc_u64_e32 v[8:9], s[18:19], v[10:11]
	v_dual_mov_b32 v3, s12 :: v_dual_mov_b32 v14, 0
	s_lshl_b32 s4, s4, 8
	s_mov_b32 s15, s5
	s_mov_b32 s7, s16
	global_store_b128 v[4:5], v[0:3], off th:TH_STORE_NT
.LBB1_2414:                             ;   Parent Loop BB1_1755 Depth=1
                                        ; =>  This Inner Loop Header: Depth=2
	s_wait_loadcnt 0x0
	global_load_b128 v[4:7], v[8:9], off th:TH_LOAD_NT
	v_add_nc_u32_e32 v14, 1, v14
	s_mov_b32 s1, -1
	s_mov_b32 s12, -1
	s_mov_b32 s13, exec_lo
	s_wait_xcnt 0x0
	v_cmpx_eq_u32_e32 0xf4240, v14
	s_cbranch_execz .LBB1_2416
; %bb.2415:                             ;   in Loop: Header=BB1_2414 Depth=2
	s_wait_loadcnt 0x0
	s_wait_storecnt 0x0
	global_load_b32 v0, v2, s[10:11] scope:SCOPE_SYS
	s_wait_loadcnt 0x0
	global_inv scope:SCOPE_SYS
	v_mov_b32_e32 v14, 0
	v_cmp_eq_u32_e64 s0, 0, v0
	s_or_not1_b32 s12, s0, exec_lo
.LBB1_2416:                             ;   in Loop: Header=BB1_2414 Depth=2
	s_wait_xcnt 0x0
	s_or_b32 exec_lo, exec_lo, s13
	s_and_saveexec_b32 s13, s12
	s_cbranch_execz .LBB1_2418
; %bb.2417:                             ;   in Loop: Header=BB1_2414 Depth=2
	s_wait_loadcnt 0x0
	v_cmp_eq_u32_e64 s0, s14, v5
	v_cmp_eq_u32_e64 s1, s14, v7
	s_and_b32 s0, s0, s1
	s_delay_alu instid0(SALU_CYCLE_1)
	s_or_not1_b32 s1, s0, exec_lo
.LBB1_2418:                             ;   in Loop: Header=BB1_2414 Depth=2
	s_or_b32 exec_lo, exec_lo, s13
	s_delay_alu instid0(SALU_CYCLE_1) | instskip(NEXT) | instid1(SALU_CYCLE_1)
	s_and_b32 s0, exec_lo, s1
	s_or_b32 s7, s0, s7
	s_delay_alu instid0(SALU_CYCLE_1)
	s_and_not1_b32 exec_lo, exec_lo, s7
	s_cbranch_execnz .LBB1_2414
; %bb.2419:                             ;   in Loop: Header=BB1_2414 Depth=2
	s_or_b32 exec_lo, exec_lo, s7
	s_wait_loadcnt 0x0
	v_dual_mov_b32 v5, v6 :: v_dual_mov_b32 v14, 0
	s_mov_b32 s7, 0
	s_delay_alu instid0(VALU_DEP_1) | instskip(SKIP_1) | instid1(SALU_CYCLE_1)
	v_cmp_eq_u64_e64 s0, s[14:15], v[4:5]
	s_or_b32 s16, s0, s16
	s_and_not1_b32 exec_lo, exec_lo, s16
	s_cbranch_execnz .LBB1_2414
; %bb.2420:                             ;   in Loop: Header=BB1_1755 Depth=1
	s_or_b32 exec_lo, exec_lo, s16
	s_add_co_i32 s12, s6, 0x5f
	v_lshl_add_u64 v[4:5], s[4:5], 4, v[12:13]
	s_mul_hi_u32 s0, s12, 0x10624dd3
	s_mov_b32 s16, 0
	s_lshr_b32 s0, s0, 6
	s_mov_b32 s17, s14
	s_mul_i32 s4, s0, 0x3e8
	s_mov_b32 s19, s5
	s_sub_co_i32 s4, s12, s4
	s_or_b64 s[0:1], s[16:17], s[14:15]
	s_lshl_b32 s18, s4, 12
	v_dual_mov_b32 v0, s0 :: v_dual_mov_b32 v1, s1
	v_add_nc_u64_e32 v[8:9], s[18:19], v[10:11]
	v_dual_mov_b32 v3, s14 :: v_dual_mov_b32 v14, 0
	s_lshl_b32 s4, s4, 8
	s_mov_b32 s13, s5
	s_mov_b32 s7, s16
	global_store_b128 v[4:5], v[0:3], off th:TH_STORE_NT
.LBB1_2421:                             ;   Parent Loop BB1_1755 Depth=1
                                        ; =>  This Inner Loop Header: Depth=2
	s_wait_loadcnt 0x0
	global_load_b128 v[4:7], v[8:9], off th:TH_LOAD_NT
	v_add_nc_u32_e32 v14, 1, v14
	s_mov_b32 s1, -1
	s_mov_b32 s14, -1
	s_mov_b32 s15, exec_lo
	s_wait_xcnt 0x0
	v_cmpx_eq_u32_e32 0xf4240, v14
	s_cbranch_execz .LBB1_2423
; %bb.2422:                             ;   in Loop: Header=BB1_2421 Depth=2
	s_wait_loadcnt 0x0
	s_wait_storecnt 0x0
	global_load_b32 v0, v2, s[10:11] scope:SCOPE_SYS
	s_wait_loadcnt 0x0
	global_inv scope:SCOPE_SYS
	v_mov_b32_e32 v14, 0
	v_cmp_eq_u32_e64 s0, 0, v0
	s_or_not1_b32 s14, s0, exec_lo
.LBB1_2423:                             ;   in Loop: Header=BB1_2421 Depth=2
	s_wait_xcnt 0x0
	s_or_b32 exec_lo, exec_lo, s15
	s_and_saveexec_b32 s15, s14
	s_cbranch_execz .LBB1_2425
; %bb.2424:                             ;   in Loop: Header=BB1_2421 Depth=2
	s_wait_loadcnt 0x0
	v_cmp_eq_u32_e64 s0, s12, v5
	v_cmp_eq_u32_e64 s1, s12, v7
	s_and_b32 s0, s0, s1
	s_delay_alu instid0(SALU_CYCLE_1)
	s_or_not1_b32 s1, s0, exec_lo
.LBB1_2425:                             ;   in Loop: Header=BB1_2421 Depth=2
	s_or_b32 exec_lo, exec_lo, s15
	s_delay_alu instid0(SALU_CYCLE_1) | instskip(NEXT) | instid1(SALU_CYCLE_1)
	s_and_b32 s0, exec_lo, s1
	s_or_b32 s7, s0, s7
	s_delay_alu instid0(SALU_CYCLE_1)
	s_and_not1_b32 exec_lo, exec_lo, s7
	s_cbranch_execnz .LBB1_2421
; %bb.2426:                             ;   in Loop: Header=BB1_2421 Depth=2
	s_or_b32 exec_lo, exec_lo, s7
	s_wait_loadcnt 0x0
	v_dual_mov_b32 v5, v6 :: v_dual_mov_b32 v14, 0
	s_mov_b32 s7, 0
	s_delay_alu instid0(VALU_DEP_1) | instskip(SKIP_1) | instid1(SALU_CYCLE_1)
	v_cmp_eq_u64_e64 s0, s[12:13], v[4:5]
	s_or_b32 s16, s0, s16
	s_and_not1_b32 exec_lo, exec_lo, s16
	s_cbranch_execnz .LBB1_2421
; %bb.2427:                             ;   in Loop: Header=BB1_1755 Depth=1
	s_or_b32 exec_lo, exec_lo, s16
	s_add_co_i32 s14, s6, 0x60
	v_lshl_add_u64 v[4:5], s[4:5], 4, v[12:13]
	s_mul_hi_u32 s0, s14, 0x10624dd3
	s_mov_b32 s16, 0
	s_lshr_b32 s0, s0, 6
	s_mov_b32 s17, s12
	s_mul_i32 s4, s0, 0x3e8
	s_mov_b32 s19, s5
	s_sub_co_i32 s4, s14, s4
	s_or_b64 s[0:1], s[16:17], s[12:13]
	s_lshl_b32 s18, s4, 12
	v_dual_mov_b32 v0, s0 :: v_dual_mov_b32 v1, s1
	v_add_nc_u64_e32 v[8:9], s[18:19], v[10:11]
	v_dual_mov_b32 v3, s12 :: v_dual_mov_b32 v14, 0
	s_lshl_b32 s4, s4, 8
	s_mov_b32 s15, s5
	s_mov_b32 s7, s16
	global_store_b128 v[4:5], v[0:3], off th:TH_STORE_NT
.LBB1_2428:                             ;   Parent Loop BB1_1755 Depth=1
                                        ; =>  This Inner Loop Header: Depth=2
	s_wait_loadcnt 0x0
	global_load_b128 v[4:7], v[8:9], off th:TH_LOAD_NT
	v_add_nc_u32_e32 v14, 1, v14
	s_mov_b32 s1, -1
	s_mov_b32 s12, -1
	s_mov_b32 s13, exec_lo
	s_wait_xcnt 0x0
	v_cmpx_eq_u32_e32 0xf4240, v14
	s_cbranch_execz .LBB1_2430
; %bb.2429:                             ;   in Loop: Header=BB1_2428 Depth=2
	s_wait_loadcnt 0x0
	s_wait_storecnt 0x0
	global_load_b32 v0, v2, s[10:11] scope:SCOPE_SYS
	s_wait_loadcnt 0x0
	global_inv scope:SCOPE_SYS
	v_mov_b32_e32 v14, 0
	v_cmp_eq_u32_e64 s0, 0, v0
	s_or_not1_b32 s12, s0, exec_lo
.LBB1_2430:                             ;   in Loop: Header=BB1_2428 Depth=2
	s_wait_xcnt 0x0
	s_or_b32 exec_lo, exec_lo, s13
	s_and_saveexec_b32 s13, s12
	s_cbranch_execz .LBB1_2432
; %bb.2431:                             ;   in Loop: Header=BB1_2428 Depth=2
	s_wait_loadcnt 0x0
	v_cmp_eq_u32_e64 s0, s14, v5
	v_cmp_eq_u32_e64 s1, s14, v7
	s_and_b32 s0, s0, s1
	s_delay_alu instid0(SALU_CYCLE_1)
	s_or_not1_b32 s1, s0, exec_lo
.LBB1_2432:                             ;   in Loop: Header=BB1_2428 Depth=2
	s_or_b32 exec_lo, exec_lo, s13
	s_delay_alu instid0(SALU_CYCLE_1) | instskip(NEXT) | instid1(SALU_CYCLE_1)
	s_and_b32 s0, exec_lo, s1
	s_or_b32 s7, s0, s7
	s_delay_alu instid0(SALU_CYCLE_1)
	s_and_not1_b32 exec_lo, exec_lo, s7
	s_cbranch_execnz .LBB1_2428
; %bb.2433:                             ;   in Loop: Header=BB1_2428 Depth=2
	s_or_b32 exec_lo, exec_lo, s7
	s_wait_loadcnt 0x0
	v_dual_mov_b32 v5, v6 :: v_dual_mov_b32 v14, 0
	s_mov_b32 s7, 0
	s_delay_alu instid0(VALU_DEP_1) | instskip(SKIP_1) | instid1(SALU_CYCLE_1)
	v_cmp_eq_u64_e64 s0, s[14:15], v[4:5]
	s_or_b32 s16, s0, s16
	s_and_not1_b32 exec_lo, exec_lo, s16
	s_cbranch_execnz .LBB1_2428
; %bb.2434:                             ;   in Loop: Header=BB1_1755 Depth=1
	s_or_b32 exec_lo, exec_lo, s16
	s_add_co_i32 s12, s6, 0x61
	v_lshl_add_u64 v[4:5], s[4:5], 4, v[12:13]
	s_mul_hi_u32 s0, s12, 0x10624dd3
	s_mov_b32 s16, 0
	s_lshr_b32 s0, s0, 6
	s_mov_b32 s17, s14
	s_mul_i32 s4, s0, 0x3e8
	s_mov_b32 s19, s5
	s_sub_co_i32 s4, s12, s4
	s_or_b64 s[0:1], s[16:17], s[14:15]
	s_lshl_b32 s18, s4, 12
	v_dual_mov_b32 v0, s0 :: v_dual_mov_b32 v1, s1
	v_add_nc_u64_e32 v[8:9], s[18:19], v[10:11]
	v_dual_mov_b32 v3, s14 :: v_dual_mov_b32 v14, 0
	s_lshl_b32 s4, s4, 8
	s_mov_b32 s13, s5
	s_mov_b32 s7, s16
	global_store_b128 v[4:5], v[0:3], off th:TH_STORE_NT
.LBB1_2435:                             ;   Parent Loop BB1_1755 Depth=1
                                        ; =>  This Inner Loop Header: Depth=2
	s_wait_loadcnt 0x0
	global_load_b128 v[4:7], v[8:9], off th:TH_LOAD_NT
	v_add_nc_u32_e32 v14, 1, v14
	s_mov_b32 s1, -1
	s_mov_b32 s14, -1
	s_mov_b32 s15, exec_lo
	s_wait_xcnt 0x0
	v_cmpx_eq_u32_e32 0xf4240, v14
	s_cbranch_execz .LBB1_2437
; %bb.2436:                             ;   in Loop: Header=BB1_2435 Depth=2
	s_wait_loadcnt 0x0
	s_wait_storecnt 0x0
	global_load_b32 v0, v2, s[10:11] scope:SCOPE_SYS
	s_wait_loadcnt 0x0
	global_inv scope:SCOPE_SYS
	v_mov_b32_e32 v14, 0
	v_cmp_eq_u32_e64 s0, 0, v0
	s_or_not1_b32 s14, s0, exec_lo
.LBB1_2437:                             ;   in Loop: Header=BB1_2435 Depth=2
	s_wait_xcnt 0x0
	s_or_b32 exec_lo, exec_lo, s15
	s_and_saveexec_b32 s15, s14
	s_cbranch_execz .LBB1_2439
; %bb.2438:                             ;   in Loop: Header=BB1_2435 Depth=2
	s_wait_loadcnt 0x0
	v_cmp_eq_u32_e64 s0, s12, v5
	v_cmp_eq_u32_e64 s1, s12, v7
	s_and_b32 s0, s0, s1
	s_delay_alu instid0(SALU_CYCLE_1)
	s_or_not1_b32 s1, s0, exec_lo
.LBB1_2439:                             ;   in Loop: Header=BB1_2435 Depth=2
	s_or_b32 exec_lo, exec_lo, s15
	s_delay_alu instid0(SALU_CYCLE_1) | instskip(NEXT) | instid1(SALU_CYCLE_1)
	s_and_b32 s0, exec_lo, s1
	s_or_b32 s7, s0, s7
	s_delay_alu instid0(SALU_CYCLE_1)
	s_and_not1_b32 exec_lo, exec_lo, s7
	s_cbranch_execnz .LBB1_2435
; %bb.2440:                             ;   in Loop: Header=BB1_2435 Depth=2
	s_or_b32 exec_lo, exec_lo, s7
	s_wait_loadcnt 0x0
	v_dual_mov_b32 v5, v6 :: v_dual_mov_b32 v14, 0
	s_mov_b32 s7, 0
	s_delay_alu instid0(VALU_DEP_1) | instskip(SKIP_1) | instid1(SALU_CYCLE_1)
	v_cmp_eq_u64_e64 s0, s[12:13], v[4:5]
	s_or_b32 s16, s0, s16
	s_and_not1_b32 exec_lo, exec_lo, s16
	s_cbranch_execnz .LBB1_2435
; %bb.2441:                             ;   in Loop: Header=BB1_1755 Depth=1
	s_or_b32 exec_lo, exec_lo, s16
	s_add_co_i32 s14, s6, 0x62
	v_lshl_add_u64 v[4:5], s[4:5], 4, v[12:13]
	s_mul_hi_u32 s0, s14, 0x10624dd3
	s_mov_b32 s16, 0
	s_lshr_b32 s0, s0, 6
	s_mov_b32 s17, s12
	s_mul_i32 s4, s0, 0x3e8
	s_mov_b32 s19, s5
	s_sub_co_i32 s4, s14, s4
	s_or_b64 s[0:1], s[16:17], s[12:13]
	s_lshl_b32 s18, s4, 12
	v_dual_mov_b32 v0, s0 :: v_dual_mov_b32 v1, s1
	v_add_nc_u64_e32 v[8:9], s[18:19], v[10:11]
	v_dual_mov_b32 v3, s12 :: v_dual_mov_b32 v14, 0
	s_lshl_b32 s4, s4, 8
	s_mov_b32 s15, s5
	s_mov_b32 s7, s16
	global_store_b128 v[4:5], v[0:3], off th:TH_STORE_NT
.LBB1_2442:                             ;   Parent Loop BB1_1755 Depth=1
                                        ; =>  This Inner Loop Header: Depth=2
	s_wait_loadcnt 0x0
	global_load_b128 v[4:7], v[8:9], off th:TH_LOAD_NT
	v_add_nc_u32_e32 v14, 1, v14
	s_mov_b32 s1, -1
	s_mov_b32 s12, -1
	s_mov_b32 s13, exec_lo
	s_wait_xcnt 0x0
	v_cmpx_eq_u32_e32 0xf4240, v14
	s_cbranch_execz .LBB1_2444
; %bb.2443:                             ;   in Loop: Header=BB1_2442 Depth=2
	s_wait_loadcnt 0x0
	s_wait_storecnt 0x0
	global_load_b32 v0, v2, s[10:11] scope:SCOPE_SYS
	s_wait_loadcnt 0x0
	global_inv scope:SCOPE_SYS
	v_mov_b32_e32 v14, 0
	v_cmp_eq_u32_e64 s0, 0, v0
	s_or_not1_b32 s12, s0, exec_lo
.LBB1_2444:                             ;   in Loop: Header=BB1_2442 Depth=2
	s_wait_xcnt 0x0
	s_or_b32 exec_lo, exec_lo, s13
	s_and_saveexec_b32 s13, s12
	s_cbranch_execz .LBB1_2446
; %bb.2445:                             ;   in Loop: Header=BB1_2442 Depth=2
	s_wait_loadcnt 0x0
	v_cmp_eq_u32_e64 s0, s14, v5
	v_cmp_eq_u32_e64 s1, s14, v7
	s_and_b32 s0, s0, s1
	s_delay_alu instid0(SALU_CYCLE_1)
	s_or_not1_b32 s1, s0, exec_lo
.LBB1_2446:                             ;   in Loop: Header=BB1_2442 Depth=2
	s_or_b32 exec_lo, exec_lo, s13
	s_delay_alu instid0(SALU_CYCLE_1) | instskip(NEXT) | instid1(SALU_CYCLE_1)
	s_and_b32 s0, exec_lo, s1
	s_or_b32 s7, s0, s7
	s_delay_alu instid0(SALU_CYCLE_1)
	s_and_not1_b32 exec_lo, exec_lo, s7
	s_cbranch_execnz .LBB1_2442
; %bb.2447:                             ;   in Loop: Header=BB1_2442 Depth=2
	s_or_b32 exec_lo, exec_lo, s7
	s_wait_loadcnt 0x0
	v_dual_mov_b32 v5, v6 :: v_dual_mov_b32 v14, 0
	s_mov_b32 s7, 0
	s_delay_alu instid0(VALU_DEP_1) | instskip(SKIP_1) | instid1(SALU_CYCLE_1)
	v_cmp_eq_u64_e64 s0, s[14:15], v[4:5]
	s_or_b32 s16, s0, s16
	s_and_not1_b32 exec_lo, exec_lo, s16
	s_cbranch_execnz .LBB1_2442
; %bb.2448:                             ;   in Loop: Header=BB1_1755 Depth=1
	s_or_b32 exec_lo, exec_lo, s16
	s_add_co_i32 s12, s6, 0x63
	v_lshl_add_u64 v[4:5], s[4:5], 4, v[12:13]
	s_mul_hi_u32 s0, s12, 0x10624dd3
	s_mov_b32 s16, 0
	s_lshr_b32 s0, s0, 6
	s_mov_b32 s17, s14
	s_mul_i32 s4, s0, 0x3e8
	s_mov_b32 s19, s5
	s_sub_co_i32 s4, s12, s4
	s_or_b64 s[0:1], s[16:17], s[14:15]
	s_lshl_b32 s18, s4, 12
	v_dual_mov_b32 v0, s0 :: v_dual_mov_b32 v1, s1
	v_add_nc_u64_e32 v[8:9], s[18:19], v[10:11]
	v_dual_mov_b32 v3, s14 :: v_dual_mov_b32 v14, 0
	s_lshl_b32 s4, s4, 8
	s_mov_b32 s13, s5
	s_mov_b32 s7, s16
	global_store_b128 v[4:5], v[0:3], off th:TH_STORE_NT
.LBB1_2449:                             ;   Parent Loop BB1_1755 Depth=1
                                        ; =>  This Inner Loop Header: Depth=2
	s_wait_loadcnt 0x0
	global_load_b128 v[4:7], v[8:9], off th:TH_LOAD_NT
	v_add_nc_u32_e32 v14, 1, v14
	s_mov_b32 s1, -1
	s_mov_b32 s14, -1
	s_mov_b32 s15, exec_lo
	s_wait_xcnt 0x0
	v_cmpx_eq_u32_e32 0xf4240, v14
	s_cbranch_execz .LBB1_2451
; %bb.2450:                             ;   in Loop: Header=BB1_2449 Depth=2
	s_wait_loadcnt 0x0
	s_wait_storecnt 0x0
	global_load_b32 v0, v2, s[10:11] scope:SCOPE_SYS
	s_wait_loadcnt 0x0
	global_inv scope:SCOPE_SYS
	v_mov_b32_e32 v14, 0
	v_cmp_eq_u32_e64 s0, 0, v0
	s_or_not1_b32 s14, s0, exec_lo
.LBB1_2451:                             ;   in Loop: Header=BB1_2449 Depth=2
	s_wait_xcnt 0x0
	s_or_b32 exec_lo, exec_lo, s15
	s_and_saveexec_b32 s15, s14
	s_cbranch_execz .LBB1_2453
; %bb.2452:                             ;   in Loop: Header=BB1_2449 Depth=2
	s_wait_loadcnt 0x0
	v_cmp_eq_u32_e64 s0, s12, v5
	v_cmp_eq_u32_e64 s1, s12, v7
	s_and_b32 s0, s0, s1
	s_delay_alu instid0(SALU_CYCLE_1)
	s_or_not1_b32 s1, s0, exec_lo
.LBB1_2453:                             ;   in Loop: Header=BB1_2449 Depth=2
	s_or_b32 exec_lo, exec_lo, s15
	s_delay_alu instid0(SALU_CYCLE_1) | instskip(NEXT) | instid1(SALU_CYCLE_1)
	s_and_b32 s0, exec_lo, s1
	s_or_b32 s7, s0, s7
	s_delay_alu instid0(SALU_CYCLE_1)
	s_and_not1_b32 exec_lo, exec_lo, s7
	s_cbranch_execnz .LBB1_2449
; %bb.2454:                             ;   in Loop: Header=BB1_2449 Depth=2
	s_or_b32 exec_lo, exec_lo, s7
	s_wait_loadcnt 0x0
	v_dual_mov_b32 v5, v6 :: v_dual_mov_b32 v14, 0
	s_mov_b32 s7, 0
	s_delay_alu instid0(VALU_DEP_1) | instskip(SKIP_1) | instid1(SALU_CYCLE_1)
	v_cmp_eq_u64_e64 s0, s[12:13], v[4:5]
	s_or_b32 s16, s0, s16
	s_and_not1_b32 exec_lo, exec_lo, s16
	s_cbranch_execnz .LBB1_2449
; %bb.2455:                             ;   in Loop: Header=BB1_1755 Depth=1
	s_or_b32 exec_lo, exec_lo, s16
	s_add_co_i32 s14, s6, 0x64
	v_lshl_add_u64 v[4:5], s[4:5], 4, v[12:13]
	s_mul_hi_u32 s0, s14, 0x10624dd3
	s_mov_b32 s16, 0
	s_lshr_b32 s0, s0, 6
	s_mov_b32 s17, s12
	s_mul_i32 s4, s0, 0x3e8
	s_mov_b32 s19, s5
	s_sub_co_i32 s4, s14, s4
	s_or_b64 s[0:1], s[16:17], s[12:13]
	s_lshl_b32 s18, s4, 12
	v_dual_mov_b32 v0, s0 :: v_dual_mov_b32 v1, s1
	v_add_nc_u64_e32 v[8:9], s[18:19], v[10:11]
	v_dual_mov_b32 v3, s12 :: v_dual_mov_b32 v14, 0
	s_lshl_b32 s4, s4, 8
	s_mov_b32 s15, s5
	s_mov_b32 s7, s16
	global_store_b128 v[4:5], v[0:3], off th:TH_STORE_NT
.LBB1_2456:                             ;   Parent Loop BB1_1755 Depth=1
                                        ; =>  This Inner Loop Header: Depth=2
	s_wait_loadcnt 0x0
	global_load_b128 v[4:7], v[8:9], off th:TH_LOAD_NT
	v_add_nc_u32_e32 v14, 1, v14
	s_mov_b32 s1, -1
	s_mov_b32 s12, -1
	s_mov_b32 s13, exec_lo
	s_wait_xcnt 0x0
	v_cmpx_eq_u32_e32 0xf4240, v14
	s_cbranch_execz .LBB1_2458
; %bb.2457:                             ;   in Loop: Header=BB1_2456 Depth=2
	s_wait_loadcnt 0x0
	s_wait_storecnt 0x0
	global_load_b32 v0, v2, s[10:11] scope:SCOPE_SYS
	s_wait_loadcnt 0x0
	global_inv scope:SCOPE_SYS
	v_mov_b32_e32 v14, 0
	v_cmp_eq_u32_e64 s0, 0, v0
	s_or_not1_b32 s12, s0, exec_lo
.LBB1_2458:                             ;   in Loop: Header=BB1_2456 Depth=2
	s_wait_xcnt 0x0
	s_or_b32 exec_lo, exec_lo, s13
	s_and_saveexec_b32 s13, s12
	s_cbranch_execz .LBB1_2460
; %bb.2459:                             ;   in Loop: Header=BB1_2456 Depth=2
	s_wait_loadcnt 0x0
	v_cmp_eq_u32_e64 s0, s14, v5
	v_cmp_eq_u32_e64 s1, s14, v7
	s_and_b32 s0, s0, s1
	s_delay_alu instid0(SALU_CYCLE_1)
	s_or_not1_b32 s1, s0, exec_lo
.LBB1_2460:                             ;   in Loop: Header=BB1_2456 Depth=2
	s_or_b32 exec_lo, exec_lo, s13
	s_delay_alu instid0(SALU_CYCLE_1) | instskip(NEXT) | instid1(SALU_CYCLE_1)
	s_and_b32 s0, exec_lo, s1
	s_or_b32 s7, s0, s7
	s_delay_alu instid0(SALU_CYCLE_1)
	s_and_not1_b32 exec_lo, exec_lo, s7
	s_cbranch_execnz .LBB1_2456
; %bb.2461:                             ;   in Loop: Header=BB1_2456 Depth=2
	s_or_b32 exec_lo, exec_lo, s7
	s_wait_loadcnt 0x0
	v_dual_mov_b32 v5, v6 :: v_dual_mov_b32 v14, 0
	s_mov_b32 s7, 0
	s_delay_alu instid0(VALU_DEP_1) | instskip(SKIP_1) | instid1(SALU_CYCLE_1)
	v_cmp_eq_u64_e64 s0, s[14:15], v[4:5]
	s_or_b32 s16, s0, s16
	s_and_not1_b32 exec_lo, exec_lo, s16
	s_cbranch_execnz .LBB1_2456
; %bb.2462:                             ;   in Loop: Header=BB1_1755 Depth=1
	s_or_b32 exec_lo, exec_lo, s16
	s_add_co_i32 s12, s6, 0x65
	v_lshl_add_u64 v[4:5], s[4:5], 4, v[12:13]
	s_mul_hi_u32 s0, s12, 0x10624dd3
	s_mov_b32 s16, 0
	s_lshr_b32 s0, s0, 6
	s_mov_b32 s17, s14
	s_mul_i32 s4, s0, 0x3e8
	s_mov_b32 s19, s5
	s_sub_co_i32 s4, s12, s4
	s_or_b64 s[0:1], s[16:17], s[14:15]
	s_lshl_b32 s18, s4, 12
	v_dual_mov_b32 v0, s0 :: v_dual_mov_b32 v1, s1
	v_add_nc_u64_e32 v[8:9], s[18:19], v[10:11]
	v_dual_mov_b32 v3, s14 :: v_dual_mov_b32 v14, 0
	s_lshl_b32 s4, s4, 8
	s_mov_b32 s13, s5
	s_mov_b32 s7, s16
	global_store_b128 v[4:5], v[0:3], off th:TH_STORE_NT
.LBB1_2463:                             ;   Parent Loop BB1_1755 Depth=1
                                        ; =>  This Inner Loop Header: Depth=2
	s_wait_loadcnt 0x0
	global_load_b128 v[4:7], v[8:9], off th:TH_LOAD_NT
	v_add_nc_u32_e32 v14, 1, v14
	s_mov_b32 s1, -1
	s_mov_b32 s14, -1
	s_mov_b32 s15, exec_lo
	s_wait_xcnt 0x0
	v_cmpx_eq_u32_e32 0xf4240, v14
	s_cbranch_execz .LBB1_2465
; %bb.2464:                             ;   in Loop: Header=BB1_2463 Depth=2
	s_wait_loadcnt 0x0
	s_wait_storecnt 0x0
	global_load_b32 v0, v2, s[10:11] scope:SCOPE_SYS
	s_wait_loadcnt 0x0
	global_inv scope:SCOPE_SYS
	v_mov_b32_e32 v14, 0
	v_cmp_eq_u32_e64 s0, 0, v0
	s_or_not1_b32 s14, s0, exec_lo
.LBB1_2465:                             ;   in Loop: Header=BB1_2463 Depth=2
	s_wait_xcnt 0x0
	s_or_b32 exec_lo, exec_lo, s15
	s_and_saveexec_b32 s15, s14
	s_cbranch_execz .LBB1_2467
; %bb.2466:                             ;   in Loop: Header=BB1_2463 Depth=2
	s_wait_loadcnt 0x0
	v_cmp_eq_u32_e64 s0, s12, v5
	v_cmp_eq_u32_e64 s1, s12, v7
	s_and_b32 s0, s0, s1
	s_delay_alu instid0(SALU_CYCLE_1)
	s_or_not1_b32 s1, s0, exec_lo
.LBB1_2467:                             ;   in Loop: Header=BB1_2463 Depth=2
	s_or_b32 exec_lo, exec_lo, s15
	s_delay_alu instid0(SALU_CYCLE_1) | instskip(NEXT) | instid1(SALU_CYCLE_1)
	s_and_b32 s0, exec_lo, s1
	s_or_b32 s7, s0, s7
	s_delay_alu instid0(SALU_CYCLE_1)
	s_and_not1_b32 exec_lo, exec_lo, s7
	s_cbranch_execnz .LBB1_2463
; %bb.2468:                             ;   in Loop: Header=BB1_2463 Depth=2
	s_or_b32 exec_lo, exec_lo, s7
	s_wait_loadcnt 0x0
	v_dual_mov_b32 v5, v6 :: v_dual_mov_b32 v14, 0
	s_mov_b32 s7, 0
	s_delay_alu instid0(VALU_DEP_1) | instskip(SKIP_1) | instid1(SALU_CYCLE_1)
	v_cmp_eq_u64_e64 s0, s[12:13], v[4:5]
	s_or_b32 s16, s0, s16
	s_and_not1_b32 exec_lo, exec_lo, s16
	s_cbranch_execnz .LBB1_2463
; %bb.2469:                             ;   in Loop: Header=BB1_1755 Depth=1
	s_or_b32 exec_lo, exec_lo, s16
	s_add_co_i32 s14, s6, 0x66
	v_lshl_add_u64 v[4:5], s[4:5], 4, v[12:13]
	s_mul_hi_u32 s0, s14, 0x10624dd3
	s_mov_b32 s16, 0
	s_lshr_b32 s0, s0, 6
	s_mov_b32 s17, s12
	s_mul_i32 s4, s0, 0x3e8
	s_mov_b32 s19, s5
	s_sub_co_i32 s4, s14, s4
	s_or_b64 s[0:1], s[16:17], s[12:13]
	s_lshl_b32 s18, s4, 12
	v_dual_mov_b32 v0, s0 :: v_dual_mov_b32 v1, s1
	v_add_nc_u64_e32 v[8:9], s[18:19], v[10:11]
	v_dual_mov_b32 v3, s12 :: v_dual_mov_b32 v14, 0
	s_lshl_b32 s4, s4, 8
	s_mov_b32 s15, s5
	s_mov_b32 s7, s16
	global_store_b128 v[4:5], v[0:3], off th:TH_STORE_NT
.LBB1_2470:                             ;   Parent Loop BB1_1755 Depth=1
                                        ; =>  This Inner Loop Header: Depth=2
	s_wait_loadcnt 0x0
	global_load_b128 v[4:7], v[8:9], off th:TH_LOAD_NT
	v_add_nc_u32_e32 v14, 1, v14
	s_mov_b32 s1, -1
	s_mov_b32 s12, -1
	s_mov_b32 s13, exec_lo
	s_wait_xcnt 0x0
	v_cmpx_eq_u32_e32 0xf4240, v14
	s_cbranch_execz .LBB1_2472
; %bb.2471:                             ;   in Loop: Header=BB1_2470 Depth=2
	s_wait_loadcnt 0x0
	s_wait_storecnt 0x0
	global_load_b32 v0, v2, s[10:11] scope:SCOPE_SYS
	s_wait_loadcnt 0x0
	global_inv scope:SCOPE_SYS
	v_mov_b32_e32 v14, 0
	v_cmp_eq_u32_e64 s0, 0, v0
	s_or_not1_b32 s12, s0, exec_lo
.LBB1_2472:                             ;   in Loop: Header=BB1_2470 Depth=2
	s_wait_xcnt 0x0
	s_or_b32 exec_lo, exec_lo, s13
	s_and_saveexec_b32 s13, s12
	s_cbranch_execz .LBB1_2474
; %bb.2473:                             ;   in Loop: Header=BB1_2470 Depth=2
	s_wait_loadcnt 0x0
	v_cmp_eq_u32_e64 s0, s14, v5
	v_cmp_eq_u32_e64 s1, s14, v7
	s_and_b32 s0, s0, s1
	s_delay_alu instid0(SALU_CYCLE_1)
	s_or_not1_b32 s1, s0, exec_lo
.LBB1_2474:                             ;   in Loop: Header=BB1_2470 Depth=2
	s_or_b32 exec_lo, exec_lo, s13
	s_delay_alu instid0(SALU_CYCLE_1) | instskip(NEXT) | instid1(SALU_CYCLE_1)
	s_and_b32 s0, exec_lo, s1
	s_or_b32 s7, s0, s7
	s_delay_alu instid0(SALU_CYCLE_1)
	s_and_not1_b32 exec_lo, exec_lo, s7
	s_cbranch_execnz .LBB1_2470
; %bb.2475:                             ;   in Loop: Header=BB1_2470 Depth=2
	s_or_b32 exec_lo, exec_lo, s7
	s_wait_loadcnt 0x0
	v_dual_mov_b32 v5, v6 :: v_dual_mov_b32 v14, 0
	s_mov_b32 s7, 0
	s_delay_alu instid0(VALU_DEP_1) | instskip(SKIP_1) | instid1(SALU_CYCLE_1)
	v_cmp_eq_u64_e64 s0, s[14:15], v[4:5]
	s_or_b32 s16, s0, s16
	s_and_not1_b32 exec_lo, exec_lo, s16
	s_cbranch_execnz .LBB1_2470
; %bb.2476:                             ;   in Loop: Header=BB1_1755 Depth=1
	s_or_b32 exec_lo, exec_lo, s16
	s_add_co_i32 s12, s6, 0x67
	v_lshl_add_u64 v[4:5], s[4:5], 4, v[12:13]
	s_mul_hi_u32 s0, s12, 0x10624dd3
	s_mov_b32 s16, 0
	s_lshr_b32 s0, s0, 6
	s_mov_b32 s17, s14
	s_mul_i32 s4, s0, 0x3e8
	s_mov_b32 s19, s5
	s_sub_co_i32 s4, s12, s4
	s_or_b64 s[0:1], s[16:17], s[14:15]
	s_lshl_b32 s18, s4, 12
	v_dual_mov_b32 v0, s0 :: v_dual_mov_b32 v1, s1
	v_add_nc_u64_e32 v[8:9], s[18:19], v[10:11]
	v_dual_mov_b32 v3, s14 :: v_dual_mov_b32 v14, 0
	s_lshl_b32 s4, s4, 8
	s_mov_b32 s13, s5
	s_mov_b32 s7, s16
	global_store_b128 v[4:5], v[0:3], off th:TH_STORE_NT
.LBB1_2477:                             ;   Parent Loop BB1_1755 Depth=1
                                        ; =>  This Inner Loop Header: Depth=2
	s_wait_loadcnt 0x0
	global_load_b128 v[4:7], v[8:9], off th:TH_LOAD_NT
	v_add_nc_u32_e32 v14, 1, v14
	s_mov_b32 s1, -1
	s_mov_b32 s14, -1
	s_mov_b32 s15, exec_lo
	s_wait_xcnt 0x0
	v_cmpx_eq_u32_e32 0xf4240, v14
	s_cbranch_execz .LBB1_2479
; %bb.2478:                             ;   in Loop: Header=BB1_2477 Depth=2
	s_wait_loadcnt 0x0
	s_wait_storecnt 0x0
	global_load_b32 v0, v2, s[10:11] scope:SCOPE_SYS
	s_wait_loadcnt 0x0
	global_inv scope:SCOPE_SYS
	v_mov_b32_e32 v14, 0
	v_cmp_eq_u32_e64 s0, 0, v0
	s_or_not1_b32 s14, s0, exec_lo
.LBB1_2479:                             ;   in Loop: Header=BB1_2477 Depth=2
	s_wait_xcnt 0x0
	s_or_b32 exec_lo, exec_lo, s15
	s_and_saveexec_b32 s15, s14
	s_cbranch_execz .LBB1_2481
; %bb.2480:                             ;   in Loop: Header=BB1_2477 Depth=2
	s_wait_loadcnt 0x0
	v_cmp_eq_u32_e64 s0, s12, v5
	v_cmp_eq_u32_e64 s1, s12, v7
	s_and_b32 s0, s0, s1
	s_delay_alu instid0(SALU_CYCLE_1)
	s_or_not1_b32 s1, s0, exec_lo
.LBB1_2481:                             ;   in Loop: Header=BB1_2477 Depth=2
	s_or_b32 exec_lo, exec_lo, s15
	s_delay_alu instid0(SALU_CYCLE_1) | instskip(NEXT) | instid1(SALU_CYCLE_1)
	s_and_b32 s0, exec_lo, s1
	s_or_b32 s7, s0, s7
	s_delay_alu instid0(SALU_CYCLE_1)
	s_and_not1_b32 exec_lo, exec_lo, s7
	s_cbranch_execnz .LBB1_2477
; %bb.2482:                             ;   in Loop: Header=BB1_2477 Depth=2
	s_or_b32 exec_lo, exec_lo, s7
	s_wait_loadcnt 0x0
	v_dual_mov_b32 v5, v6 :: v_dual_mov_b32 v14, 0
	s_mov_b32 s7, 0
	s_delay_alu instid0(VALU_DEP_1) | instskip(SKIP_1) | instid1(SALU_CYCLE_1)
	v_cmp_eq_u64_e64 s0, s[12:13], v[4:5]
	s_or_b32 s16, s0, s16
	s_and_not1_b32 exec_lo, exec_lo, s16
	s_cbranch_execnz .LBB1_2477
; %bb.2483:                             ;   in Loop: Header=BB1_1755 Depth=1
	s_or_b32 exec_lo, exec_lo, s16
	s_add_co_i32 s14, s6, 0x68
	v_lshl_add_u64 v[4:5], s[4:5], 4, v[12:13]
	s_mul_hi_u32 s0, s14, 0x10624dd3
	s_mov_b32 s16, 0
	s_lshr_b32 s0, s0, 6
	s_mov_b32 s17, s12
	s_mul_i32 s4, s0, 0x3e8
	s_mov_b32 s19, s5
	s_sub_co_i32 s4, s14, s4
	s_or_b64 s[0:1], s[16:17], s[12:13]
	s_lshl_b32 s18, s4, 12
	v_dual_mov_b32 v0, s0 :: v_dual_mov_b32 v1, s1
	v_add_nc_u64_e32 v[8:9], s[18:19], v[10:11]
	v_dual_mov_b32 v3, s12 :: v_dual_mov_b32 v14, 0
	s_lshl_b32 s4, s4, 8
	s_mov_b32 s15, s5
	s_mov_b32 s7, s16
	global_store_b128 v[4:5], v[0:3], off th:TH_STORE_NT
.LBB1_2484:                             ;   Parent Loop BB1_1755 Depth=1
                                        ; =>  This Inner Loop Header: Depth=2
	s_wait_loadcnt 0x0
	global_load_b128 v[4:7], v[8:9], off th:TH_LOAD_NT
	v_add_nc_u32_e32 v14, 1, v14
	s_mov_b32 s1, -1
	s_mov_b32 s12, -1
	s_mov_b32 s13, exec_lo
	s_wait_xcnt 0x0
	v_cmpx_eq_u32_e32 0xf4240, v14
	s_cbranch_execz .LBB1_2486
; %bb.2485:                             ;   in Loop: Header=BB1_2484 Depth=2
	s_wait_loadcnt 0x0
	s_wait_storecnt 0x0
	global_load_b32 v0, v2, s[10:11] scope:SCOPE_SYS
	s_wait_loadcnt 0x0
	global_inv scope:SCOPE_SYS
	v_mov_b32_e32 v14, 0
	v_cmp_eq_u32_e64 s0, 0, v0
	s_or_not1_b32 s12, s0, exec_lo
.LBB1_2486:                             ;   in Loop: Header=BB1_2484 Depth=2
	s_wait_xcnt 0x0
	s_or_b32 exec_lo, exec_lo, s13
	s_and_saveexec_b32 s13, s12
	s_cbranch_execz .LBB1_2488
; %bb.2487:                             ;   in Loop: Header=BB1_2484 Depth=2
	s_wait_loadcnt 0x0
	v_cmp_eq_u32_e64 s0, s14, v5
	v_cmp_eq_u32_e64 s1, s14, v7
	s_and_b32 s0, s0, s1
	s_delay_alu instid0(SALU_CYCLE_1)
	s_or_not1_b32 s1, s0, exec_lo
.LBB1_2488:                             ;   in Loop: Header=BB1_2484 Depth=2
	s_or_b32 exec_lo, exec_lo, s13
	s_delay_alu instid0(SALU_CYCLE_1) | instskip(NEXT) | instid1(SALU_CYCLE_1)
	s_and_b32 s0, exec_lo, s1
	s_or_b32 s7, s0, s7
	s_delay_alu instid0(SALU_CYCLE_1)
	s_and_not1_b32 exec_lo, exec_lo, s7
	s_cbranch_execnz .LBB1_2484
; %bb.2489:                             ;   in Loop: Header=BB1_2484 Depth=2
	s_or_b32 exec_lo, exec_lo, s7
	s_wait_loadcnt 0x0
	v_dual_mov_b32 v5, v6 :: v_dual_mov_b32 v14, 0
	s_mov_b32 s7, 0
	s_delay_alu instid0(VALU_DEP_1) | instskip(SKIP_1) | instid1(SALU_CYCLE_1)
	v_cmp_eq_u64_e64 s0, s[14:15], v[4:5]
	s_or_b32 s16, s0, s16
	s_and_not1_b32 exec_lo, exec_lo, s16
	s_cbranch_execnz .LBB1_2484
; %bb.2490:                             ;   in Loop: Header=BB1_1755 Depth=1
	s_or_b32 exec_lo, exec_lo, s16
	s_add_co_i32 s12, s6, 0x69
	v_lshl_add_u64 v[4:5], s[4:5], 4, v[12:13]
	s_mul_hi_u32 s0, s12, 0x10624dd3
	s_mov_b32 s16, 0
	s_lshr_b32 s0, s0, 6
	s_mov_b32 s17, s14
	s_mul_i32 s4, s0, 0x3e8
	s_mov_b32 s19, s5
	s_sub_co_i32 s4, s12, s4
	s_or_b64 s[0:1], s[16:17], s[14:15]
	s_lshl_b32 s18, s4, 12
	v_dual_mov_b32 v0, s0 :: v_dual_mov_b32 v1, s1
	v_add_nc_u64_e32 v[8:9], s[18:19], v[10:11]
	v_dual_mov_b32 v3, s14 :: v_dual_mov_b32 v14, 0
	s_lshl_b32 s4, s4, 8
	s_mov_b32 s13, s5
	s_mov_b32 s7, s16
	global_store_b128 v[4:5], v[0:3], off th:TH_STORE_NT
.LBB1_2491:                             ;   Parent Loop BB1_1755 Depth=1
                                        ; =>  This Inner Loop Header: Depth=2
	s_wait_loadcnt 0x0
	global_load_b128 v[4:7], v[8:9], off th:TH_LOAD_NT
	v_add_nc_u32_e32 v14, 1, v14
	s_mov_b32 s1, -1
	s_mov_b32 s14, -1
	s_mov_b32 s15, exec_lo
	s_wait_xcnt 0x0
	v_cmpx_eq_u32_e32 0xf4240, v14
	s_cbranch_execz .LBB1_2493
; %bb.2492:                             ;   in Loop: Header=BB1_2491 Depth=2
	s_wait_loadcnt 0x0
	s_wait_storecnt 0x0
	global_load_b32 v0, v2, s[10:11] scope:SCOPE_SYS
	s_wait_loadcnt 0x0
	global_inv scope:SCOPE_SYS
	v_mov_b32_e32 v14, 0
	v_cmp_eq_u32_e64 s0, 0, v0
	s_or_not1_b32 s14, s0, exec_lo
.LBB1_2493:                             ;   in Loop: Header=BB1_2491 Depth=2
	s_wait_xcnt 0x0
	s_or_b32 exec_lo, exec_lo, s15
	s_and_saveexec_b32 s15, s14
	s_cbranch_execz .LBB1_2495
; %bb.2494:                             ;   in Loop: Header=BB1_2491 Depth=2
	s_wait_loadcnt 0x0
	v_cmp_eq_u32_e64 s0, s12, v5
	v_cmp_eq_u32_e64 s1, s12, v7
	s_and_b32 s0, s0, s1
	s_delay_alu instid0(SALU_CYCLE_1)
	s_or_not1_b32 s1, s0, exec_lo
.LBB1_2495:                             ;   in Loop: Header=BB1_2491 Depth=2
	s_or_b32 exec_lo, exec_lo, s15
	s_delay_alu instid0(SALU_CYCLE_1) | instskip(NEXT) | instid1(SALU_CYCLE_1)
	s_and_b32 s0, exec_lo, s1
	s_or_b32 s7, s0, s7
	s_delay_alu instid0(SALU_CYCLE_1)
	s_and_not1_b32 exec_lo, exec_lo, s7
	s_cbranch_execnz .LBB1_2491
; %bb.2496:                             ;   in Loop: Header=BB1_2491 Depth=2
	s_or_b32 exec_lo, exec_lo, s7
	s_wait_loadcnt 0x0
	v_dual_mov_b32 v5, v6 :: v_dual_mov_b32 v14, 0
	s_mov_b32 s7, 0
	s_delay_alu instid0(VALU_DEP_1) | instskip(SKIP_1) | instid1(SALU_CYCLE_1)
	v_cmp_eq_u64_e64 s0, s[12:13], v[4:5]
	s_or_b32 s16, s0, s16
	s_and_not1_b32 exec_lo, exec_lo, s16
	s_cbranch_execnz .LBB1_2491
; %bb.2497:                             ;   in Loop: Header=BB1_1755 Depth=1
	s_or_b32 exec_lo, exec_lo, s16
	s_add_co_i32 s14, s6, 0x6a
	v_lshl_add_u64 v[4:5], s[4:5], 4, v[12:13]
	s_mul_hi_u32 s0, s14, 0x10624dd3
	s_mov_b32 s16, 0
	s_lshr_b32 s0, s0, 6
	s_mov_b32 s17, s12
	s_mul_i32 s4, s0, 0x3e8
	s_mov_b32 s19, s5
	s_sub_co_i32 s4, s14, s4
	s_or_b64 s[0:1], s[16:17], s[12:13]
	s_lshl_b32 s18, s4, 12
	v_dual_mov_b32 v0, s0 :: v_dual_mov_b32 v1, s1
	v_add_nc_u64_e32 v[8:9], s[18:19], v[10:11]
	v_dual_mov_b32 v3, s12 :: v_dual_mov_b32 v14, 0
	s_lshl_b32 s4, s4, 8
	s_mov_b32 s15, s5
	s_mov_b32 s7, s16
	global_store_b128 v[4:5], v[0:3], off th:TH_STORE_NT
.LBB1_2498:                             ;   Parent Loop BB1_1755 Depth=1
                                        ; =>  This Inner Loop Header: Depth=2
	s_wait_loadcnt 0x0
	global_load_b128 v[4:7], v[8:9], off th:TH_LOAD_NT
	v_add_nc_u32_e32 v14, 1, v14
	s_mov_b32 s1, -1
	s_mov_b32 s12, -1
	s_mov_b32 s13, exec_lo
	s_wait_xcnt 0x0
	v_cmpx_eq_u32_e32 0xf4240, v14
	s_cbranch_execz .LBB1_2500
; %bb.2499:                             ;   in Loop: Header=BB1_2498 Depth=2
	s_wait_loadcnt 0x0
	s_wait_storecnt 0x0
	global_load_b32 v0, v2, s[10:11] scope:SCOPE_SYS
	s_wait_loadcnt 0x0
	global_inv scope:SCOPE_SYS
	v_mov_b32_e32 v14, 0
	v_cmp_eq_u32_e64 s0, 0, v0
	s_or_not1_b32 s12, s0, exec_lo
.LBB1_2500:                             ;   in Loop: Header=BB1_2498 Depth=2
	s_wait_xcnt 0x0
	s_or_b32 exec_lo, exec_lo, s13
	s_and_saveexec_b32 s13, s12
	s_cbranch_execz .LBB1_2502
; %bb.2501:                             ;   in Loop: Header=BB1_2498 Depth=2
	s_wait_loadcnt 0x0
	v_cmp_eq_u32_e64 s0, s14, v5
	v_cmp_eq_u32_e64 s1, s14, v7
	s_and_b32 s0, s0, s1
	s_delay_alu instid0(SALU_CYCLE_1)
	s_or_not1_b32 s1, s0, exec_lo
.LBB1_2502:                             ;   in Loop: Header=BB1_2498 Depth=2
	s_or_b32 exec_lo, exec_lo, s13
	s_delay_alu instid0(SALU_CYCLE_1) | instskip(NEXT) | instid1(SALU_CYCLE_1)
	s_and_b32 s0, exec_lo, s1
	s_or_b32 s7, s0, s7
	s_delay_alu instid0(SALU_CYCLE_1)
	s_and_not1_b32 exec_lo, exec_lo, s7
	s_cbranch_execnz .LBB1_2498
; %bb.2503:                             ;   in Loop: Header=BB1_2498 Depth=2
	s_or_b32 exec_lo, exec_lo, s7
	s_wait_loadcnt 0x0
	v_dual_mov_b32 v5, v6 :: v_dual_mov_b32 v14, 0
	s_mov_b32 s7, 0
	s_delay_alu instid0(VALU_DEP_1) | instskip(SKIP_1) | instid1(SALU_CYCLE_1)
	v_cmp_eq_u64_e64 s0, s[14:15], v[4:5]
	s_or_b32 s16, s0, s16
	s_and_not1_b32 exec_lo, exec_lo, s16
	s_cbranch_execnz .LBB1_2498
; %bb.2504:                             ;   in Loop: Header=BB1_1755 Depth=1
	s_or_b32 exec_lo, exec_lo, s16
	s_add_co_i32 s12, s6, 0x6b
	v_lshl_add_u64 v[4:5], s[4:5], 4, v[12:13]
	s_mul_hi_u32 s0, s12, 0x10624dd3
	s_mov_b32 s16, 0
	s_lshr_b32 s0, s0, 6
	s_mov_b32 s17, s14
	s_mul_i32 s4, s0, 0x3e8
	s_mov_b32 s19, s5
	s_sub_co_i32 s4, s12, s4
	s_or_b64 s[0:1], s[16:17], s[14:15]
	s_lshl_b32 s18, s4, 12
	v_dual_mov_b32 v0, s0 :: v_dual_mov_b32 v1, s1
	v_add_nc_u64_e32 v[8:9], s[18:19], v[10:11]
	v_dual_mov_b32 v3, s14 :: v_dual_mov_b32 v14, 0
	s_lshl_b32 s4, s4, 8
	s_mov_b32 s13, s5
	s_mov_b32 s7, s16
	global_store_b128 v[4:5], v[0:3], off th:TH_STORE_NT
.LBB1_2505:                             ;   Parent Loop BB1_1755 Depth=1
                                        ; =>  This Inner Loop Header: Depth=2
	s_wait_loadcnt 0x0
	global_load_b128 v[4:7], v[8:9], off th:TH_LOAD_NT
	v_add_nc_u32_e32 v14, 1, v14
	s_mov_b32 s1, -1
	s_mov_b32 s14, -1
	s_mov_b32 s15, exec_lo
	s_wait_xcnt 0x0
	v_cmpx_eq_u32_e32 0xf4240, v14
	s_cbranch_execz .LBB1_2507
; %bb.2506:                             ;   in Loop: Header=BB1_2505 Depth=2
	s_wait_loadcnt 0x0
	s_wait_storecnt 0x0
	global_load_b32 v0, v2, s[10:11] scope:SCOPE_SYS
	s_wait_loadcnt 0x0
	global_inv scope:SCOPE_SYS
	v_mov_b32_e32 v14, 0
	v_cmp_eq_u32_e64 s0, 0, v0
	s_or_not1_b32 s14, s0, exec_lo
.LBB1_2507:                             ;   in Loop: Header=BB1_2505 Depth=2
	s_wait_xcnt 0x0
	s_or_b32 exec_lo, exec_lo, s15
	s_and_saveexec_b32 s15, s14
	s_cbranch_execz .LBB1_2509
; %bb.2508:                             ;   in Loop: Header=BB1_2505 Depth=2
	s_wait_loadcnt 0x0
	v_cmp_eq_u32_e64 s0, s12, v5
	v_cmp_eq_u32_e64 s1, s12, v7
	s_and_b32 s0, s0, s1
	s_delay_alu instid0(SALU_CYCLE_1)
	s_or_not1_b32 s1, s0, exec_lo
.LBB1_2509:                             ;   in Loop: Header=BB1_2505 Depth=2
	s_or_b32 exec_lo, exec_lo, s15
	s_delay_alu instid0(SALU_CYCLE_1) | instskip(NEXT) | instid1(SALU_CYCLE_1)
	s_and_b32 s0, exec_lo, s1
	s_or_b32 s7, s0, s7
	s_delay_alu instid0(SALU_CYCLE_1)
	s_and_not1_b32 exec_lo, exec_lo, s7
	s_cbranch_execnz .LBB1_2505
; %bb.2510:                             ;   in Loop: Header=BB1_2505 Depth=2
	s_or_b32 exec_lo, exec_lo, s7
	s_wait_loadcnt 0x0
	v_dual_mov_b32 v5, v6 :: v_dual_mov_b32 v14, 0
	s_mov_b32 s7, 0
	s_delay_alu instid0(VALU_DEP_1) | instskip(SKIP_1) | instid1(SALU_CYCLE_1)
	v_cmp_eq_u64_e64 s0, s[12:13], v[4:5]
	s_or_b32 s16, s0, s16
	s_and_not1_b32 exec_lo, exec_lo, s16
	s_cbranch_execnz .LBB1_2505
; %bb.2511:                             ;   in Loop: Header=BB1_1755 Depth=1
	s_or_b32 exec_lo, exec_lo, s16
	s_add_co_i32 s14, s6, 0x6c
	v_lshl_add_u64 v[4:5], s[4:5], 4, v[12:13]
	s_mul_hi_u32 s0, s14, 0x10624dd3
	s_mov_b32 s16, 0
	s_lshr_b32 s0, s0, 6
	s_mov_b32 s17, s12
	s_mul_i32 s4, s0, 0x3e8
	s_mov_b32 s19, s5
	s_sub_co_i32 s4, s14, s4
	s_or_b64 s[0:1], s[16:17], s[12:13]
	s_lshl_b32 s18, s4, 12
	v_dual_mov_b32 v0, s0 :: v_dual_mov_b32 v1, s1
	v_add_nc_u64_e32 v[8:9], s[18:19], v[10:11]
	v_dual_mov_b32 v3, s12 :: v_dual_mov_b32 v14, 0
	s_lshl_b32 s4, s4, 8
	s_mov_b32 s15, s5
	s_mov_b32 s7, s16
	global_store_b128 v[4:5], v[0:3], off th:TH_STORE_NT
.LBB1_2512:                             ;   Parent Loop BB1_1755 Depth=1
                                        ; =>  This Inner Loop Header: Depth=2
	s_wait_loadcnt 0x0
	global_load_b128 v[4:7], v[8:9], off th:TH_LOAD_NT
	v_add_nc_u32_e32 v14, 1, v14
	s_mov_b32 s1, -1
	s_mov_b32 s12, -1
	s_mov_b32 s13, exec_lo
	s_wait_xcnt 0x0
	v_cmpx_eq_u32_e32 0xf4240, v14
	s_cbranch_execz .LBB1_2514
; %bb.2513:                             ;   in Loop: Header=BB1_2512 Depth=2
	s_wait_loadcnt 0x0
	s_wait_storecnt 0x0
	global_load_b32 v0, v2, s[10:11] scope:SCOPE_SYS
	s_wait_loadcnt 0x0
	global_inv scope:SCOPE_SYS
	v_mov_b32_e32 v14, 0
	v_cmp_eq_u32_e64 s0, 0, v0
	s_or_not1_b32 s12, s0, exec_lo
.LBB1_2514:                             ;   in Loop: Header=BB1_2512 Depth=2
	s_wait_xcnt 0x0
	s_or_b32 exec_lo, exec_lo, s13
	s_and_saveexec_b32 s13, s12
	s_cbranch_execz .LBB1_2516
; %bb.2515:                             ;   in Loop: Header=BB1_2512 Depth=2
	s_wait_loadcnt 0x0
	v_cmp_eq_u32_e64 s0, s14, v5
	v_cmp_eq_u32_e64 s1, s14, v7
	s_and_b32 s0, s0, s1
	s_delay_alu instid0(SALU_CYCLE_1)
	s_or_not1_b32 s1, s0, exec_lo
.LBB1_2516:                             ;   in Loop: Header=BB1_2512 Depth=2
	s_or_b32 exec_lo, exec_lo, s13
	s_delay_alu instid0(SALU_CYCLE_1) | instskip(NEXT) | instid1(SALU_CYCLE_1)
	s_and_b32 s0, exec_lo, s1
	s_or_b32 s7, s0, s7
	s_delay_alu instid0(SALU_CYCLE_1)
	s_and_not1_b32 exec_lo, exec_lo, s7
	s_cbranch_execnz .LBB1_2512
; %bb.2517:                             ;   in Loop: Header=BB1_2512 Depth=2
	s_or_b32 exec_lo, exec_lo, s7
	s_wait_loadcnt 0x0
	v_dual_mov_b32 v5, v6 :: v_dual_mov_b32 v14, 0
	s_mov_b32 s7, 0
	s_delay_alu instid0(VALU_DEP_1) | instskip(SKIP_1) | instid1(SALU_CYCLE_1)
	v_cmp_eq_u64_e64 s0, s[14:15], v[4:5]
	s_or_b32 s16, s0, s16
	s_and_not1_b32 exec_lo, exec_lo, s16
	s_cbranch_execnz .LBB1_2512
; %bb.2518:                             ;   in Loop: Header=BB1_1755 Depth=1
	s_or_b32 exec_lo, exec_lo, s16
	s_add_co_i32 s12, s6, 0x6d
	v_lshl_add_u64 v[4:5], s[4:5], 4, v[12:13]
	s_mul_hi_u32 s0, s12, 0x10624dd3
	s_mov_b32 s16, 0
	s_lshr_b32 s0, s0, 6
	s_mov_b32 s17, s14
	s_mul_i32 s4, s0, 0x3e8
	s_mov_b32 s19, s5
	s_sub_co_i32 s4, s12, s4
	s_or_b64 s[0:1], s[16:17], s[14:15]
	s_lshl_b32 s18, s4, 12
	v_dual_mov_b32 v0, s0 :: v_dual_mov_b32 v1, s1
	v_add_nc_u64_e32 v[8:9], s[18:19], v[10:11]
	v_dual_mov_b32 v3, s14 :: v_dual_mov_b32 v14, 0
	s_lshl_b32 s4, s4, 8
	s_mov_b32 s13, s5
	s_mov_b32 s7, s16
	global_store_b128 v[4:5], v[0:3], off th:TH_STORE_NT
.LBB1_2519:                             ;   Parent Loop BB1_1755 Depth=1
                                        ; =>  This Inner Loop Header: Depth=2
	s_wait_loadcnt 0x0
	global_load_b128 v[4:7], v[8:9], off th:TH_LOAD_NT
	v_add_nc_u32_e32 v14, 1, v14
	s_mov_b32 s1, -1
	s_mov_b32 s14, -1
	s_mov_b32 s15, exec_lo
	s_wait_xcnt 0x0
	v_cmpx_eq_u32_e32 0xf4240, v14
	s_cbranch_execz .LBB1_2521
; %bb.2520:                             ;   in Loop: Header=BB1_2519 Depth=2
	s_wait_loadcnt 0x0
	s_wait_storecnt 0x0
	global_load_b32 v0, v2, s[10:11] scope:SCOPE_SYS
	s_wait_loadcnt 0x0
	global_inv scope:SCOPE_SYS
	v_mov_b32_e32 v14, 0
	v_cmp_eq_u32_e64 s0, 0, v0
	s_or_not1_b32 s14, s0, exec_lo
.LBB1_2521:                             ;   in Loop: Header=BB1_2519 Depth=2
	s_wait_xcnt 0x0
	s_or_b32 exec_lo, exec_lo, s15
	s_and_saveexec_b32 s15, s14
	s_cbranch_execz .LBB1_2523
; %bb.2522:                             ;   in Loop: Header=BB1_2519 Depth=2
	s_wait_loadcnt 0x0
	v_cmp_eq_u32_e64 s0, s12, v5
	v_cmp_eq_u32_e64 s1, s12, v7
	s_and_b32 s0, s0, s1
	s_delay_alu instid0(SALU_CYCLE_1)
	s_or_not1_b32 s1, s0, exec_lo
.LBB1_2523:                             ;   in Loop: Header=BB1_2519 Depth=2
	s_or_b32 exec_lo, exec_lo, s15
	s_delay_alu instid0(SALU_CYCLE_1) | instskip(NEXT) | instid1(SALU_CYCLE_1)
	s_and_b32 s0, exec_lo, s1
	s_or_b32 s7, s0, s7
	s_delay_alu instid0(SALU_CYCLE_1)
	s_and_not1_b32 exec_lo, exec_lo, s7
	s_cbranch_execnz .LBB1_2519
; %bb.2524:                             ;   in Loop: Header=BB1_2519 Depth=2
	s_or_b32 exec_lo, exec_lo, s7
	s_wait_loadcnt 0x0
	v_dual_mov_b32 v5, v6 :: v_dual_mov_b32 v14, 0
	s_mov_b32 s7, 0
	s_delay_alu instid0(VALU_DEP_1) | instskip(SKIP_1) | instid1(SALU_CYCLE_1)
	v_cmp_eq_u64_e64 s0, s[12:13], v[4:5]
	s_or_b32 s16, s0, s16
	s_and_not1_b32 exec_lo, exec_lo, s16
	s_cbranch_execnz .LBB1_2519
; %bb.2525:                             ;   in Loop: Header=BB1_1755 Depth=1
	s_or_b32 exec_lo, exec_lo, s16
	s_add_co_i32 s14, s6, 0x6e
	v_lshl_add_u64 v[4:5], s[4:5], 4, v[12:13]
	s_mul_hi_u32 s0, s14, 0x10624dd3
	s_mov_b32 s16, 0
	s_lshr_b32 s0, s0, 6
	s_mov_b32 s17, s12
	s_mul_i32 s4, s0, 0x3e8
	s_mov_b32 s19, s5
	s_sub_co_i32 s4, s14, s4
	s_or_b64 s[0:1], s[16:17], s[12:13]
	s_lshl_b32 s18, s4, 12
	v_dual_mov_b32 v0, s0 :: v_dual_mov_b32 v1, s1
	v_add_nc_u64_e32 v[8:9], s[18:19], v[10:11]
	v_dual_mov_b32 v3, s12 :: v_dual_mov_b32 v14, 0
	s_lshl_b32 s4, s4, 8
	s_mov_b32 s15, s5
	s_mov_b32 s7, s16
	global_store_b128 v[4:5], v[0:3], off th:TH_STORE_NT
.LBB1_2526:                             ;   Parent Loop BB1_1755 Depth=1
                                        ; =>  This Inner Loop Header: Depth=2
	s_wait_loadcnt 0x0
	global_load_b128 v[4:7], v[8:9], off th:TH_LOAD_NT
	v_add_nc_u32_e32 v14, 1, v14
	s_mov_b32 s1, -1
	s_mov_b32 s12, -1
	s_mov_b32 s13, exec_lo
	s_wait_xcnt 0x0
	v_cmpx_eq_u32_e32 0xf4240, v14
	s_cbranch_execz .LBB1_2528
; %bb.2527:                             ;   in Loop: Header=BB1_2526 Depth=2
	s_wait_loadcnt 0x0
	s_wait_storecnt 0x0
	global_load_b32 v0, v2, s[10:11] scope:SCOPE_SYS
	s_wait_loadcnt 0x0
	global_inv scope:SCOPE_SYS
	v_mov_b32_e32 v14, 0
	v_cmp_eq_u32_e64 s0, 0, v0
	s_or_not1_b32 s12, s0, exec_lo
.LBB1_2528:                             ;   in Loop: Header=BB1_2526 Depth=2
	s_wait_xcnt 0x0
	s_or_b32 exec_lo, exec_lo, s13
	s_and_saveexec_b32 s13, s12
	s_cbranch_execz .LBB1_2530
; %bb.2529:                             ;   in Loop: Header=BB1_2526 Depth=2
	s_wait_loadcnt 0x0
	v_cmp_eq_u32_e64 s0, s14, v5
	v_cmp_eq_u32_e64 s1, s14, v7
	s_and_b32 s0, s0, s1
	s_delay_alu instid0(SALU_CYCLE_1)
	s_or_not1_b32 s1, s0, exec_lo
.LBB1_2530:                             ;   in Loop: Header=BB1_2526 Depth=2
	s_or_b32 exec_lo, exec_lo, s13
	s_delay_alu instid0(SALU_CYCLE_1) | instskip(NEXT) | instid1(SALU_CYCLE_1)
	s_and_b32 s0, exec_lo, s1
	s_or_b32 s7, s0, s7
	s_delay_alu instid0(SALU_CYCLE_1)
	s_and_not1_b32 exec_lo, exec_lo, s7
	s_cbranch_execnz .LBB1_2526
; %bb.2531:                             ;   in Loop: Header=BB1_2526 Depth=2
	s_or_b32 exec_lo, exec_lo, s7
	s_wait_loadcnt 0x0
	v_dual_mov_b32 v5, v6 :: v_dual_mov_b32 v14, 0
	s_mov_b32 s7, 0
	s_delay_alu instid0(VALU_DEP_1) | instskip(SKIP_1) | instid1(SALU_CYCLE_1)
	v_cmp_eq_u64_e64 s0, s[14:15], v[4:5]
	s_or_b32 s16, s0, s16
	s_and_not1_b32 exec_lo, exec_lo, s16
	s_cbranch_execnz .LBB1_2526
; %bb.2532:                             ;   in Loop: Header=BB1_1755 Depth=1
	s_or_b32 exec_lo, exec_lo, s16
	s_add_co_i32 s12, s6, 0x6f
	v_lshl_add_u64 v[4:5], s[4:5], 4, v[12:13]
	s_mul_hi_u32 s0, s12, 0x10624dd3
	s_mov_b32 s16, 0
	s_lshr_b32 s0, s0, 6
	s_mov_b32 s17, s14
	s_mul_i32 s4, s0, 0x3e8
	s_mov_b32 s19, s5
	s_sub_co_i32 s4, s12, s4
	s_or_b64 s[0:1], s[16:17], s[14:15]
	s_lshl_b32 s18, s4, 12
	v_dual_mov_b32 v0, s0 :: v_dual_mov_b32 v1, s1
	v_add_nc_u64_e32 v[8:9], s[18:19], v[10:11]
	v_dual_mov_b32 v3, s14 :: v_dual_mov_b32 v14, 0
	s_lshl_b32 s4, s4, 8
	s_mov_b32 s13, s5
	s_mov_b32 s7, s16
	global_store_b128 v[4:5], v[0:3], off th:TH_STORE_NT
.LBB1_2533:                             ;   Parent Loop BB1_1755 Depth=1
                                        ; =>  This Inner Loop Header: Depth=2
	s_wait_loadcnt 0x0
	global_load_b128 v[4:7], v[8:9], off th:TH_LOAD_NT
	v_add_nc_u32_e32 v14, 1, v14
	s_mov_b32 s1, -1
	s_mov_b32 s14, -1
	s_mov_b32 s15, exec_lo
	s_wait_xcnt 0x0
	v_cmpx_eq_u32_e32 0xf4240, v14
	s_cbranch_execz .LBB1_2535
; %bb.2534:                             ;   in Loop: Header=BB1_2533 Depth=2
	s_wait_loadcnt 0x0
	s_wait_storecnt 0x0
	global_load_b32 v0, v2, s[10:11] scope:SCOPE_SYS
	s_wait_loadcnt 0x0
	global_inv scope:SCOPE_SYS
	v_mov_b32_e32 v14, 0
	v_cmp_eq_u32_e64 s0, 0, v0
	s_or_not1_b32 s14, s0, exec_lo
.LBB1_2535:                             ;   in Loop: Header=BB1_2533 Depth=2
	s_wait_xcnt 0x0
	s_or_b32 exec_lo, exec_lo, s15
	s_and_saveexec_b32 s15, s14
	s_cbranch_execz .LBB1_2537
; %bb.2536:                             ;   in Loop: Header=BB1_2533 Depth=2
	s_wait_loadcnt 0x0
	v_cmp_eq_u32_e64 s0, s12, v5
	v_cmp_eq_u32_e64 s1, s12, v7
	s_and_b32 s0, s0, s1
	s_delay_alu instid0(SALU_CYCLE_1)
	s_or_not1_b32 s1, s0, exec_lo
.LBB1_2537:                             ;   in Loop: Header=BB1_2533 Depth=2
	s_or_b32 exec_lo, exec_lo, s15
	s_delay_alu instid0(SALU_CYCLE_1) | instskip(NEXT) | instid1(SALU_CYCLE_1)
	s_and_b32 s0, exec_lo, s1
	s_or_b32 s7, s0, s7
	s_delay_alu instid0(SALU_CYCLE_1)
	s_and_not1_b32 exec_lo, exec_lo, s7
	s_cbranch_execnz .LBB1_2533
; %bb.2538:                             ;   in Loop: Header=BB1_2533 Depth=2
	s_or_b32 exec_lo, exec_lo, s7
	s_wait_loadcnt 0x0
	v_dual_mov_b32 v5, v6 :: v_dual_mov_b32 v14, 0
	s_mov_b32 s7, 0
	s_delay_alu instid0(VALU_DEP_1) | instskip(SKIP_1) | instid1(SALU_CYCLE_1)
	v_cmp_eq_u64_e64 s0, s[12:13], v[4:5]
	s_or_b32 s16, s0, s16
	s_and_not1_b32 exec_lo, exec_lo, s16
	s_cbranch_execnz .LBB1_2533
; %bb.2539:                             ;   in Loop: Header=BB1_1755 Depth=1
	s_or_b32 exec_lo, exec_lo, s16
	s_add_co_i32 s14, s6, 0x70
	v_lshl_add_u64 v[4:5], s[4:5], 4, v[12:13]
	s_mul_hi_u32 s0, s14, 0x10624dd3
	s_mov_b32 s16, 0
	s_lshr_b32 s0, s0, 6
	s_mov_b32 s17, s12
	s_mul_i32 s4, s0, 0x3e8
	s_mov_b32 s19, s5
	s_sub_co_i32 s4, s14, s4
	s_or_b64 s[0:1], s[16:17], s[12:13]
	s_lshl_b32 s18, s4, 12
	v_dual_mov_b32 v0, s0 :: v_dual_mov_b32 v1, s1
	v_add_nc_u64_e32 v[8:9], s[18:19], v[10:11]
	v_dual_mov_b32 v3, s12 :: v_dual_mov_b32 v14, 0
	s_lshl_b32 s4, s4, 8
	s_mov_b32 s15, s5
	s_mov_b32 s7, s16
	global_store_b128 v[4:5], v[0:3], off th:TH_STORE_NT
.LBB1_2540:                             ;   Parent Loop BB1_1755 Depth=1
                                        ; =>  This Inner Loop Header: Depth=2
	s_wait_loadcnt 0x0
	global_load_b128 v[4:7], v[8:9], off th:TH_LOAD_NT
	v_add_nc_u32_e32 v14, 1, v14
	s_mov_b32 s1, -1
	s_mov_b32 s12, -1
	s_mov_b32 s13, exec_lo
	s_wait_xcnt 0x0
	v_cmpx_eq_u32_e32 0xf4240, v14
	s_cbranch_execz .LBB1_2542
; %bb.2541:                             ;   in Loop: Header=BB1_2540 Depth=2
	s_wait_loadcnt 0x0
	s_wait_storecnt 0x0
	global_load_b32 v0, v2, s[10:11] scope:SCOPE_SYS
	s_wait_loadcnt 0x0
	global_inv scope:SCOPE_SYS
	v_mov_b32_e32 v14, 0
	v_cmp_eq_u32_e64 s0, 0, v0
	s_or_not1_b32 s12, s0, exec_lo
.LBB1_2542:                             ;   in Loop: Header=BB1_2540 Depth=2
	s_wait_xcnt 0x0
	s_or_b32 exec_lo, exec_lo, s13
	s_and_saveexec_b32 s13, s12
	s_cbranch_execz .LBB1_2544
; %bb.2543:                             ;   in Loop: Header=BB1_2540 Depth=2
	s_wait_loadcnt 0x0
	v_cmp_eq_u32_e64 s0, s14, v5
	v_cmp_eq_u32_e64 s1, s14, v7
	s_and_b32 s0, s0, s1
	s_delay_alu instid0(SALU_CYCLE_1)
	s_or_not1_b32 s1, s0, exec_lo
.LBB1_2544:                             ;   in Loop: Header=BB1_2540 Depth=2
	s_or_b32 exec_lo, exec_lo, s13
	s_delay_alu instid0(SALU_CYCLE_1) | instskip(NEXT) | instid1(SALU_CYCLE_1)
	s_and_b32 s0, exec_lo, s1
	s_or_b32 s7, s0, s7
	s_delay_alu instid0(SALU_CYCLE_1)
	s_and_not1_b32 exec_lo, exec_lo, s7
	s_cbranch_execnz .LBB1_2540
; %bb.2545:                             ;   in Loop: Header=BB1_2540 Depth=2
	s_or_b32 exec_lo, exec_lo, s7
	s_wait_loadcnt 0x0
	v_dual_mov_b32 v5, v6 :: v_dual_mov_b32 v14, 0
	s_mov_b32 s7, 0
	s_delay_alu instid0(VALU_DEP_1) | instskip(SKIP_1) | instid1(SALU_CYCLE_1)
	v_cmp_eq_u64_e64 s0, s[14:15], v[4:5]
	s_or_b32 s16, s0, s16
	s_and_not1_b32 exec_lo, exec_lo, s16
	s_cbranch_execnz .LBB1_2540
; %bb.2546:                             ;   in Loop: Header=BB1_1755 Depth=1
	s_or_b32 exec_lo, exec_lo, s16
	s_add_co_i32 s12, s6, 0x71
	v_lshl_add_u64 v[4:5], s[4:5], 4, v[12:13]
	s_mul_hi_u32 s0, s12, 0x10624dd3
	s_mov_b32 s16, 0
	s_lshr_b32 s0, s0, 6
	s_mov_b32 s17, s14
	s_mul_i32 s4, s0, 0x3e8
	s_mov_b32 s19, s5
	s_sub_co_i32 s4, s12, s4
	s_or_b64 s[0:1], s[16:17], s[14:15]
	s_lshl_b32 s18, s4, 12
	v_dual_mov_b32 v0, s0 :: v_dual_mov_b32 v1, s1
	v_add_nc_u64_e32 v[8:9], s[18:19], v[10:11]
	v_dual_mov_b32 v3, s14 :: v_dual_mov_b32 v14, 0
	s_lshl_b32 s4, s4, 8
	s_mov_b32 s13, s5
	s_mov_b32 s7, s16
	global_store_b128 v[4:5], v[0:3], off th:TH_STORE_NT
.LBB1_2547:                             ;   Parent Loop BB1_1755 Depth=1
                                        ; =>  This Inner Loop Header: Depth=2
	s_wait_loadcnt 0x0
	global_load_b128 v[4:7], v[8:9], off th:TH_LOAD_NT
	v_add_nc_u32_e32 v14, 1, v14
	s_mov_b32 s1, -1
	s_mov_b32 s14, -1
	s_mov_b32 s15, exec_lo
	s_wait_xcnt 0x0
	v_cmpx_eq_u32_e32 0xf4240, v14
	s_cbranch_execz .LBB1_2549
; %bb.2548:                             ;   in Loop: Header=BB1_2547 Depth=2
	s_wait_loadcnt 0x0
	s_wait_storecnt 0x0
	global_load_b32 v0, v2, s[10:11] scope:SCOPE_SYS
	s_wait_loadcnt 0x0
	global_inv scope:SCOPE_SYS
	v_mov_b32_e32 v14, 0
	v_cmp_eq_u32_e64 s0, 0, v0
	s_or_not1_b32 s14, s0, exec_lo
.LBB1_2549:                             ;   in Loop: Header=BB1_2547 Depth=2
	s_wait_xcnt 0x0
	s_or_b32 exec_lo, exec_lo, s15
	s_and_saveexec_b32 s15, s14
	s_cbranch_execz .LBB1_2551
; %bb.2550:                             ;   in Loop: Header=BB1_2547 Depth=2
	s_wait_loadcnt 0x0
	v_cmp_eq_u32_e64 s0, s12, v5
	v_cmp_eq_u32_e64 s1, s12, v7
	s_and_b32 s0, s0, s1
	s_delay_alu instid0(SALU_CYCLE_1)
	s_or_not1_b32 s1, s0, exec_lo
.LBB1_2551:                             ;   in Loop: Header=BB1_2547 Depth=2
	s_or_b32 exec_lo, exec_lo, s15
	s_delay_alu instid0(SALU_CYCLE_1) | instskip(NEXT) | instid1(SALU_CYCLE_1)
	s_and_b32 s0, exec_lo, s1
	s_or_b32 s7, s0, s7
	s_delay_alu instid0(SALU_CYCLE_1)
	s_and_not1_b32 exec_lo, exec_lo, s7
	s_cbranch_execnz .LBB1_2547
; %bb.2552:                             ;   in Loop: Header=BB1_2547 Depth=2
	s_or_b32 exec_lo, exec_lo, s7
	s_wait_loadcnt 0x0
	v_dual_mov_b32 v5, v6 :: v_dual_mov_b32 v14, 0
	s_mov_b32 s7, 0
	s_delay_alu instid0(VALU_DEP_1) | instskip(SKIP_1) | instid1(SALU_CYCLE_1)
	v_cmp_eq_u64_e64 s0, s[12:13], v[4:5]
	s_or_b32 s16, s0, s16
	s_and_not1_b32 exec_lo, exec_lo, s16
	s_cbranch_execnz .LBB1_2547
; %bb.2553:                             ;   in Loop: Header=BB1_1755 Depth=1
	s_or_b32 exec_lo, exec_lo, s16
	s_add_co_i32 s14, s6, 0x72
	v_lshl_add_u64 v[4:5], s[4:5], 4, v[12:13]
	s_mul_hi_u32 s0, s14, 0x10624dd3
	s_mov_b32 s16, 0
	s_lshr_b32 s0, s0, 6
	s_mov_b32 s17, s12
	s_mul_i32 s4, s0, 0x3e8
	s_mov_b32 s19, s5
	s_sub_co_i32 s4, s14, s4
	s_or_b64 s[0:1], s[16:17], s[12:13]
	s_lshl_b32 s18, s4, 12
	v_dual_mov_b32 v0, s0 :: v_dual_mov_b32 v1, s1
	v_add_nc_u64_e32 v[8:9], s[18:19], v[10:11]
	v_dual_mov_b32 v3, s12 :: v_dual_mov_b32 v14, 0
	s_lshl_b32 s4, s4, 8
	s_mov_b32 s15, s5
	s_mov_b32 s7, s16
	global_store_b128 v[4:5], v[0:3], off th:TH_STORE_NT
.LBB1_2554:                             ;   Parent Loop BB1_1755 Depth=1
                                        ; =>  This Inner Loop Header: Depth=2
	s_wait_loadcnt 0x0
	global_load_b128 v[4:7], v[8:9], off th:TH_LOAD_NT
	v_add_nc_u32_e32 v14, 1, v14
	s_mov_b32 s1, -1
	s_mov_b32 s12, -1
	s_mov_b32 s13, exec_lo
	s_wait_xcnt 0x0
	v_cmpx_eq_u32_e32 0xf4240, v14
	s_cbranch_execz .LBB1_2556
; %bb.2555:                             ;   in Loop: Header=BB1_2554 Depth=2
	s_wait_loadcnt 0x0
	s_wait_storecnt 0x0
	global_load_b32 v0, v2, s[10:11] scope:SCOPE_SYS
	s_wait_loadcnt 0x0
	global_inv scope:SCOPE_SYS
	v_mov_b32_e32 v14, 0
	v_cmp_eq_u32_e64 s0, 0, v0
	s_or_not1_b32 s12, s0, exec_lo
.LBB1_2556:                             ;   in Loop: Header=BB1_2554 Depth=2
	s_wait_xcnt 0x0
	s_or_b32 exec_lo, exec_lo, s13
	s_and_saveexec_b32 s13, s12
	s_cbranch_execz .LBB1_2558
; %bb.2557:                             ;   in Loop: Header=BB1_2554 Depth=2
	s_wait_loadcnt 0x0
	v_cmp_eq_u32_e64 s0, s14, v5
	v_cmp_eq_u32_e64 s1, s14, v7
	s_and_b32 s0, s0, s1
	s_delay_alu instid0(SALU_CYCLE_1)
	s_or_not1_b32 s1, s0, exec_lo
.LBB1_2558:                             ;   in Loop: Header=BB1_2554 Depth=2
	s_or_b32 exec_lo, exec_lo, s13
	s_delay_alu instid0(SALU_CYCLE_1) | instskip(NEXT) | instid1(SALU_CYCLE_1)
	s_and_b32 s0, exec_lo, s1
	s_or_b32 s7, s0, s7
	s_delay_alu instid0(SALU_CYCLE_1)
	s_and_not1_b32 exec_lo, exec_lo, s7
	s_cbranch_execnz .LBB1_2554
; %bb.2559:                             ;   in Loop: Header=BB1_2554 Depth=2
	s_or_b32 exec_lo, exec_lo, s7
	s_wait_loadcnt 0x0
	v_dual_mov_b32 v5, v6 :: v_dual_mov_b32 v14, 0
	s_mov_b32 s7, 0
	s_delay_alu instid0(VALU_DEP_1) | instskip(SKIP_1) | instid1(SALU_CYCLE_1)
	v_cmp_eq_u64_e64 s0, s[14:15], v[4:5]
	s_or_b32 s16, s0, s16
	s_and_not1_b32 exec_lo, exec_lo, s16
	s_cbranch_execnz .LBB1_2554
; %bb.2560:                             ;   in Loop: Header=BB1_1755 Depth=1
	s_or_b32 exec_lo, exec_lo, s16
	s_add_co_i32 s12, s6, 0x73
	v_lshl_add_u64 v[4:5], s[4:5], 4, v[12:13]
	s_mul_hi_u32 s0, s12, 0x10624dd3
	s_mov_b32 s16, 0
	s_lshr_b32 s0, s0, 6
	s_mov_b32 s17, s14
	s_mul_i32 s4, s0, 0x3e8
	s_mov_b32 s19, s5
	s_sub_co_i32 s4, s12, s4
	s_or_b64 s[0:1], s[16:17], s[14:15]
	s_lshl_b32 s18, s4, 12
	v_dual_mov_b32 v0, s0 :: v_dual_mov_b32 v1, s1
	v_add_nc_u64_e32 v[8:9], s[18:19], v[10:11]
	v_dual_mov_b32 v3, s14 :: v_dual_mov_b32 v14, 0
	s_lshl_b32 s4, s4, 8
	s_mov_b32 s13, s5
	s_mov_b32 s7, s16
	global_store_b128 v[4:5], v[0:3], off th:TH_STORE_NT
.LBB1_2561:                             ;   Parent Loop BB1_1755 Depth=1
                                        ; =>  This Inner Loop Header: Depth=2
	s_wait_loadcnt 0x0
	global_load_b128 v[4:7], v[8:9], off th:TH_LOAD_NT
	v_add_nc_u32_e32 v14, 1, v14
	s_mov_b32 s1, -1
	s_mov_b32 s14, -1
	s_mov_b32 s15, exec_lo
	s_wait_xcnt 0x0
	v_cmpx_eq_u32_e32 0xf4240, v14
	s_cbranch_execz .LBB1_2563
; %bb.2562:                             ;   in Loop: Header=BB1_2561 Depth=2
	s_wait_loadcnt 0x0
	s_wait_storecnt 0x0
	global_load_b32 v0, v2, s[10:11] scope:SCOPE_SYS
	s_wait_loadcnt 0x0
	global_inv scope:SCOPE_SYS
	v_mov_b32_e32 v14, 0
	v_cmp_eq_u32_e64 s0, 0, v0
	s_or_not1_b32 s14, s0, exec_lo
.LBB1_2563:                             ;   in Loop: Header=BB1_2561 Depth=2
	s_wait_xcnt 0x0
	s_or_b32 exec_lo, exec_lo, s15
	s_and_saveexec_b32 s15, s14
	s_cbranch_execz .LBB1_2565
; %bb.2564:                             ;   in Loop: Header=BB1_2561 Depth=2
	s_wait_loadcnt 0x0
	v_cmp_eq_u32_e64 s0, s12, v5
	v_cmp_eq_u32_e64 s1, s12, v7
	s_and_b32 s0, s0, s1
	s_delay_alu instid0(SALU_CYCLE_1)
	s_or_not1_b32 s1, s0, exec_lo
.LBB1_2565:                             ;   in Loop: Header=BB1_2561 Depth=2
	s_or_b32 exec_lo, exec_lo, s15
	s_delay_alu instid0(SALU_CYCLE_1) | instskip(NEXT) | instid1(SALU_CYCLE_1)
	s_and_b32 s0, exec_lo, s1
	s_or_b32 s7, s0, s7
	s_delay_alu instid0(SALU_CYCLE_1)
	s_and_not1_b32 exec_lo, exec_lo, s7
	s_cbranch_execnz .LBB1_2561
; %bb.2566:                             ;   in Loop: Header=BB1_2561 Depth=2
	s_or_b32 exec_lo, exec_lo, s7
	s_wait_loadcnt 0x0
	v_dual_mov_b32 v5, v6 :: v_dual_mov_b32 v14, 0
	s_mov_b32 s7, 0
	s_delay_alu instid0(VALU_DEP_1) | instskip(SKIP_1) | instid1(SALU_CYCLE_1)
	v_cmp_eq_u64_e64 s0, s[12:13], v[4:5]
	s_or_b32 s16, s0, s16
	s_and_not1_b32 exec_lo, exec_lo, s16
	s_cbranch_execnz .LBB1_2561
; %bb.2567:                             ;   in Loop: Header=BB1_1755 Depth=1
	s_or_b32 exec_lo, exec_lo, s16
	s_add_co_i32 s14, s6, 0x74
	v_lshl_add_u64 v[4:5], s[4:5], 4, v[12:13]
	s_mul_hi_u32 s0, s14, 0x10624dd3
	s_mov_b32 s16, 0
	s_lshr_b32 s0, s0, 6
	s_mov_b32 s17, s12
	s_mul_i32 s4, s0, 0x3e8
	s_mov_b32 s19, s5
	s_sub_co_i32 s4, s14, s4
	s_or_b64 s[0:1], s[16:17], s[12:13]
	s_lshl_b32 s18, s4, 12
	v_dual_mov_b32 v0, s0 :: v_dual_mov_b32 v1, s1
	v_add_nc_u64_e32 v[8:9], s[18:19], v[10:11]
	v_dual_mov_b32 v3, s12 :: v_dual_mov_b32 v14, 0
	s_lshl_b32 s4, s4, 8
	s_mov_b32 s15, s5
	s_mov_b32 s7, s16
	global_store_b128 v[4:5], v[0:3], off th:TH_STORE_NT
.LBB1_2568:                             ;   Parent Loop BB1_1755 Depth=1
                                        ; =>  This Inner Loop Header: Depth=2
	s_wait_loadcnt 0x0
	global_load_b128 v[4:7], v[8:9], off th:TH_LOAD_NT
	v_add_nc_u32_e32 v14, 1, v14
	s_mov_b32 s1, -1
	s_mov_b32 s12, -1
	s_mov_b32 s13, exec_lo
	s_wait_xcnt 0x0
	v_cmpx_eq_u32_e32 0xf4240, v14
	s_cbranch_execz .LBB1_2570
; %bb.2569:                             ;   in Loop: Header=BB1_2568 Depth=2
	s_wait_loadcnt 0x0
	s_wait_storecnt 0x0
	global_load_b32 v0, v2, s[10:11] scope:SCOPE_SYS
	s_wait_loadcnt 0x0
	global_inv scope:SCOPE_SYS
	v_mov_b32_e32 v14, 0
	v_cmp_eq_u32_e64 s0, 0, v0
	s_or_not1_b32 s12, s0, exec_lo
.LBB1_2570:                             ;   in Loop: Header=BB1_2568 Depth=2
	s_wait_xcnt 0x0
	s_or_b32 exec_lo, exec_lo, s13
	s_and_saveexec_b32 s13, s12
	s_cbranch_execz .LBB1_2572
; %bb.2571:                             ;   in Loop: Header=BB1_2568 Depth=2
	s_wait_loadcnt 0x0
	v_cmp_eq_u32_e64 s0, s14, v5
	v_cmp_eq_u32_e64 s1, s14, v7
	s_and_b32 s0, s0, s1
	s_delay_alu instid0(SALU_CYCLE_1)
	s_or_not1_b32 s1, s0, exec_lo
.LBB1_2572:                             ;   in Loop: Header=BB1_2568 Depth=2
	s_or_b32 exec_lo, exec_lo, s13
	s_delay_alu instid0(SALU_CYCLE_1) | instskip(NEXT) | instid1(SALU_CYCLE_1)
	s_and_b32 s0, exec_lo, s1
	s_or_b32 s7, s0, s7
	s_delay_alu instid0(SALU_CYCLE_1)
	s_and_not1_b32 exec_lo, exec_lo, s7
	s_cbranch_execnz .LBB1_2568
; %bb.2573:                             ;   in Loop: Header=BB1_2568 Depth=2
	s_or_b32 exec_lo, exec_lo, s7
	s_wait_loadcnt 0x0
	v_dual_mov_b32 v5, v6 :: v_dual_mov_b32 v14, 0
	s_mov_b32 s7, 0
	s_delay_alu instid0(VALU_DEP_1) | instskip(SKIP_1) | instid1(SALU_CYCLE_1)
	v_cmp_eq_u64_e64 s0, s[14:15], v[4:5]
	s_or_b32 s16, s0, s16
	s_and_not1_b32 exec_lo, exec_lo, s16
	s_cbranch_execnz .LBB1_2568
; %bb.2574:                             ;   in Loop: Header=BB1_1755 Depth=1
	s_or_b32 exec_lo, exec_lo, s16
	s_add_co_i32 s12, s6, 0x75
	v_lshl_add_u64 v[4:5], s[4:5], 4, v[12:13]
	s_mul_hi_u32 s0, s12, 0x10624dd3
	s_mov_b32 s16, 0
	s_lshr_b32 s0, s0, 6
	s_mov_b32 s17, s14
	s_mul_i32 s4, s0, 0x3e8
	s_mov_b32 s19, s5
	s_sub_co_i32 s4, s12, s4
	s_or_b64 s[0:1], s[16:17], s[14:15]
	s_lshl_b32 s18, s4, 12
	v_dual_mov_b32 v0, s0 :: v_dual_mov_b32 v1, s1
	v_add_nc_u64_e32 v[8:9], s[18:19], v[10:11]
	v_dual_mov_b32 v3, s14 :: v_dual_mov_b32 v14, 0
	s_lshl_b32 s4, s4, 8
	s_mov_b32 s13, s5
	s_mov_b32 s7, s16
	global_store_b128 v[4:5], v[0:3], off th:TH_STORE_NT
.LBB1_2575:                             ;   Parent Loop BB1_1755 Depth=1
                                        ; =>  This Inner Loop Header: Depth=2
	s_wait_loadcnt 0x0
	global_load_b128 v[4:7], v[8:9], off th:TH_LOAD_NT
	v_add_nc_u32_e32 v14, 1, v14
	s_mov_b32 s1, -1
	s_mov_b32 s14, -1
	s_mov_b32 s15, exec_lo
	s_wait_xcnt 0x0
	v_cmpx_eq_u32_e32 0xf4240, v14
	s_cbranch_execz .LBB1_2577
; %bb.2576:                             ;   in Loop: Header=BB1_2575 Depth=2
	s_wait_loadcnt 0x0
	s_wait_storecnt 0x0
	global_load_b32 v0, v2, s[10:11] scope:SCOPE_SYS
	s_wait_loadcnt 0x0
	global_inv scope:SCOPE_SYS
	v_mov_b32_e32 v14, 0
	v_cmp_eq_u32_e64 s0, 0, v0
	s_or_not1_b32 s14, s0, exec_lo
.LBB1_2577:                             ;   in Loop: Header=BB1_2575 Depth=2
	s_wait_xcnt 0x0
	s_or_b32 exec_lo, exec_lo, s15
	s_and_saveexec_b32 s15, s14
	s_cbranch_execz .LBB1_2579
; %bb.2578:                             ;   in Loop: Header=BB1_2575 Depth=2
	s_wait_loadcnt 0x0
	v_cmp_eq_u32_e64 s0, s12, v5
	v_cmp_eq_u32_e64 s1, s12, v7
	s_and_b32 s0, s0, s1
	s_delay_alu instid0(SALU_CYCLE_1)
	s_or_not1_b32 s1, s0, exec_lo
.LBB1_2579:                             ;   in Loop: Header=BB1_2575 Depth=2
	s_or_b32 exec_lo, exec_lo, s15
	s_delay_alu instid0(SALU_CYCLE_1) | instskip(NEXT) | instid1(SALU_CYCLE_1)
	s_and_b32 s0, exec_lo, s1
	s_or_b32 s7, s0, s7
	s_delay_alu instid0(SALU_CYCLE_1)
	s_and_not1_b32 exec_lo, exec_lo, s7
	s_cbranch_execnz .LBB1_2575
; %bb.2580:                             ;   in Loop: Header=BB1_2575 Depth=2
	s_or_b32 exec_lo, exec_lo, s7
	s_wait_loadcnt 0x0
	v_dual_mov_b32 v5, v6 :: v_dual_mov_b32 v14, 0
	s_mov_b32 s7, 0
	s_delay_alu instid0(VALU_DEP_1) | instskip(SKIP_1) | instid1(SALU_CYCLE_1)
	v_cmp_eq_u64_e64 s0, s[12:13], v[4:5]
	s_or_b32 s16, s0, s16
	s_and_not1_b32 exec_lo, exec_lo, s16
	s_cbranch_execnz .LBB1_2575
; %bb.2581:                             ;   in Loop: Header=BB1_1755 Depth=1
	s_or_b32 exec_lo, exec_lo, s16
	s_add_co_i32 s14, s6, 0x76
	v_lshl_add_u64 v[4:5], s[4:5], 4, v[12:13]
	s_mul_hi_u32 s0, s14, 0x10624dd3
	s_mov_b32 s16, 0
	s_lshr_b32 s0, s0, 6
	s_mov_b32 s17, s12
	s_mul_i32 s4, s0, 0x3e8
	s_mov_b32 s19, s5
	s_sub_co_i32 s4, s14, s4
	s_or_b64 s[0:1], s[16:17], s[12:13]
	s_lshl_b32 s18, s4, 12
	v_dual_mov_b32 v0, s0 :: v_dual_mov_b32 v1, s1
	v_add_nc_u64_e32 v[8:9], s[18:19], v[10:11]
	v_dual_mov_b32 v3, s12 :: v_dual_mov_b32 v14, 0
	s_lshl_b32 s4, s4, 8
	s_mov_b32 s15, s5
	s_mov_b32 s7, s16
	global_store_b128 v[4:5], v[0:3], off th:TH_STORE_NT
.LBB1_2582:                             ;   Parent Loop BB1_1755 Depth=1
                                        ; =>  This Inner Loop Header: Depth=2
	s_wait_loadcnt 0x0
	global_load_b128 v[4:7], v[8:9], off th:TH_LOAD_NT
	v_add_nc_u32_e32 v14, 1, v14
	s_mov_b32 s1, -1
	s_mov_b32 s12, -1
	s_mov_b32 s13, exec_lo
	s_wait_xcnt 0x0
	v_cmpx_eq_u32_e32 0xf4240, v14
	s_cbranch_execz .LBB1_2584
; %bb.2583:                             ;   in Loop: Header=BB1_2582 Depth=2
	s_wait_loadcnt 0x0
	s_wait_storecnt 0x0
	global_load_b32 v0, v2, s[10:11] scope:SCOPE_SYS
	s_wait_loadcnt 0x0
	global_inv scope:SCOPE_SYS
	v_mov_b32_e32 v14, 0
	v_cmp_eq_u32_e64 s0, 0, v0
	s_or_not1_b32 s12, s0, exec_lo
.LBB1_2584:                             ;   in Loop: Header=BB1_2582 Depth=2
	s_wait_xcnt 0x0
	s_or_b32 exec_lo, exec_lo, s13
	s_and_saveexec_b32 s13, s12
	s_cbranch_execz .LBB1_2586
; %bb.2585:                             ;   in Loop: Header=BB1_2582 Depth=2
	s_wait_loadcnt 0x0
	v_cmp_eq_u32_e64 s0, s14, v5
	v_cmp_eq_u32_e64 s1, s14, v7
	s_and_b32 s0, s0, s1
	s_delay_alu instid0(SALU_CYCLE_1)
	s_or_not1_b32 s1, s0, exec_lo
.LBB1_2586:                             ;   in Loop: Header=BB1_2582 Depth=2
	s_or_b32 exec_lo, exec_lo, s13
	s_delay_alu instid0(SALU_CYCLE_1) | instskip(NEXT) | instid1(SALU_CYCLE_1)
	s_and_b32 s0, exec_lo, s1
	s_or_b32 s7, s0, s7
	s_delay_alu instid0(SALU_CYCLE_1)
	s_and_not1_b32 exec_lo, exec_lo, s7
	s_cbranch_execnz .LBB1_2582
; %bb.2587:                             ;   in Loop: Header=BB1_2582 Depth=2
	s_or_b32 exec_lo, exec_lo, s7
	s_wait_loadcnt 0x0
	v_dual_mov_b32 v5, v6 :: v_dual_mov_b32 v14, 0
	s_mov_b32 s7, 0
	s_delay_alu instid0(VALU_DEP_1) | instskip(SKIP_1) | instid1(SALU_CYCLE_1)
	v_cmp_eq_u64_e64 s0, s[14:15], v[4:5]
	s_or_b32 s16, s0, s16
	s_and_not1_b32 exec_lo, exec_lo, s16
	s_cbranch_execnz .LBB1_2582
; %bb.2588:                             ;   in Loop: Header=BB1_1755 Depth=1
	s_or_b32 exec_lo, exec_lo, s16
	s_add_co_i32 s12, s6, 0x77
	v_lshl_add_u64 v[4:5], s[4:5], 4, v[12:13]
	s_mul_hi_u32 s0, s12, 0x10624dd3
	s_mov_b32 s16, 0
	s_lshr_b32 s0, s0, 6
	s_mov_b32 s17, s14
	s_mul_i32 s4, s0, 0x3e8
	s_mov_b32 s19, s5
	s_sub_co_i32 s4, s12, s4
	s_or_b64 s[0:1], s[16:17], s[14:15]
	s_lshl_b32 s18, s4, 12
	v_dual_mov_b32 v0, s0 :: v_dual_mov_b32 v1, s1
	v_add_nc_u64_e32 v[8:9], s[18:19], v[10:11]
	v_dual_mov_b32 v3, s14 :: v_dual_mov_b32 v14, 0
	s_lshl_b32 s4, s4, 8
	s_mov_b32 s13, s5
	s_mov_b32 s7, s16
	global_store_b128 v[4:5], v[0:3], off th:TH_STORE_NT
.LBB1_2589:                             ;   Parent Loop BB1_1755 Depth=1
                                        ; =>  This Inner Loop Header: Depth=2
	s_wait_loadcnt 0x0
	global_load_b128 v[4:7], v[8:9], off th:TH_LOAD_NT
	v_add_nc_u32_e32 v14, 1, v14
	s_mov_b32 s1, -1
	s_mov_b32 s14, -1
	s_mov_b32 s15, exec_lo
	s_wait_xcnt 0x0
	v_cmpx_eq_u32_e32 0xf4240, v14
	s_cbranch_execz .LBB1_2591
; %bb.2590:                             ;   in Loop: Header=BB1_2589 Depth=2
	s_wait_loadcnt 0x0
	s_wait_storecnt 0x0
	global_load_b32 v0, v2, s[10:11] scope:SCOPE_SYS
	s_wait_loadcnt 0x0
	global_inv scope:SCOPE_SYS
	v_mov_b32_e32 v14, 0
	v_cmp_eq_u32_e64 s0, 0, v0
	s_or_not1_b32 s14, s0, exec_lo
.LBB1_2591:                             ;   in Loop: Header=BB1_2589 Depth=2
	s_wait_xcnt 0x0
	s_or_b32 exec_lo, exec_lo, s15
	s_and_saveexec_b32 s15, s14
	s_cbranch_execz .LBB1_2593
; %bb.2592:                             ;   in Loop: Header=BB1_2589 Depth=2
	s_wait_loadcnt 0x0
	v_cmp_eq_u32_e64 s0, s12, v5
	v_cmp_eq_u32_e64 s1, s12, v7
	s_and_b32 s0, s0, s1
	s_delay_alu instid0(SALU_CYCLE_1)
	s_or_not1_b32 s1, s0, exec_lo
.LBB1_2593:                             ;   in Loop: Header=BB1_2589 Depth=2
	s_or_b32 exec_lo, exec_lo, s15
	s_delay_alu instid0(SALU_CYCLE_1) | instskip(NEXT) | instid1(SALU_CYCLE_1)
	s_and_b32 s0, exec_lo, s1
	s_or_b32 s7, s0, s7
	s_delay_alu instid0(SALU_CYCLE_1)
	s_and_not1_b32 exec_lo, exec_lo, s7
	s_cbranch_execnz .LBB1_2589
; %bb.2594:                             ;   in Loop: Header=BB1_2589 Depth=2
	s_or_b32 exec_lo, exec_lo, s7
	s_wait_loadcnt 0x0
	v_dual_mov_b32 v5, v6 :: v_dual_mov_b32 v14, 0
	s_mov_b32 s7, 0
	s_delay_alu instid0(VALU_DEP_1) | instskip(SKIP_1) | instid1(SALU_CYCLE_1)
	v_cmp_eq_u64_e64 s0, s[12:13], v[4:5]
	s_or_b32 s16, s0, s16
	s_and_not1_b32 exec_lo, exec_lo, s16
	s_cbranch_execnz .LBB1_2589
; %bb.2595:                             ;   in Loop: Header=BB1_1755 Depth=1
	s_or_b32 exec_lo, exec_lo, s16
	s_add_co_i32 s14, s6, 0x78
	v_lshl_add_u64 v[4:5], s[4:5], 4, v[12:13]
	s_mul_hi_u32 s0, s14, 0x10624dd3
	s_mov_b32 s16, 0
	s_lshr_b32 s0, s0, 6
	s_mov_b32 s17, s12
	s_mul_i32 s4, s0, 0x3e8
	s_mov_b32 s19, s5
	s_sub_co_i32 s4, s14, s4
	s_or_b64 s[0:1], s[16:17], s[12:13]
	s_lshl_b32 s18, s4, 12
	v_dual_mov_b32 v0, s0 :: v_dual_mov_b32 v1, s1
	v_add_nc_u64_e32 v[8:9], s[18:19], v[10:11]
	v_dual_mov_b32 v3, s12 :: v_dual_mov_b32 v14, 0
	s_lshl_b32 s4, s4, 8
	s_mov_b32 s15, s5
	s_mov_b32 s7, s16
	global_store_b128 v[4:5], v[0:3], off th:TH_STORE_NT
.LBB1_2596:                             ;   Parent Loop BB1_1755 Depth=1
                                        ; =>  This Inner Loop Header: Depth=2
	s_wait_loadcnt 0x0
	global_load_b128 v[4:7], v[8:9], off th:TH_LOAD_NT
	v_add_nc_u32_e32 v14, 1, v14
	s_mov_b32 s1, -1
	s_mov_b32 s12, -1
	s_mov_b32 s13, exec_lo
	s_wait_xcnt 0x0
	v_cmpx_eq_u32_e32 0xf4240, v14
	s_cbranch_execz .LBB1_2598
; %bb.2597:                             ;   in Loop: Header=BB1_2596 Depth=2
	s_wait_loadcnt 0x0
	s_wait_storecnt 0x0
	global_load_b32 v0, v2, s[10:11] scope:SCOPE_SYS
	s_wait_loadcnt 0x0
	global_inv scope:SCOPE_SYS
	v_mov_b32_e32 v14, 0
	v_cmp_eq_u32_e64 s0, 0, v0
	s_or_not1_b32 s12, s0, exec_lo
.LBB1_2598:                             ;   in Loop: Header=BB1_2596 Depth=2
	s_wait_xcnt 0x0
	s_or_b32 exec_lo, exec_lo, s13
	s_and_saveexec_b32 s13, s12
	s_cbranch_execz .LBB1_2600
; %bb.2599:                             ;   in Loop: Header=BB1_2596 Depth=2
	s_wait_loadcnt 0x0
	v_cmp_eq_u32_e64 s0, s14, v5
	v_cmp_eq_u32_e64 s1, s14, v7
	s_and_b32 s0, s0, s1
	s_delay_alu instid0(SALU_CYCLE_1)
	s_or_not1_b32 s1, s0, exec_lo
.LBB1_2600:                             ;   in Loop: Header=BB1_2596 Depth=2
	s_or_b32 exec_lo, exec_lo, s13
	s_delay_alu instid0(SALU_CYCLE_1) | instskip(NEXT) | instid1(SALU_CYCLE_1)
	s_and_b32 s0, exec_lo, s1
	s_or_b32 s7, s0, s7
	s_delay_alu instid0(SALU_CYCLE_1)
	s_and_not1_b32 exec_lo, exec_lo, s7
	s_cbranch_execnz .LBB1_2596
; %bb.2601:                             ;   in Loop: Header=BB1_2596 Depth=2
	s_or_b32 exec_lo, exec_lo, s7
	s_wait_loadcnt 0x0
	v_dual_mov_b32 v5, v6 :: v_dual_mov_b32 v14, 0
	s_mov_b32 s7, 0
	s_delay_alu instid0(VALU_DEP_1) | instskip(SKIP_1) | instid1(SALU_CYCLE_1)
	v_cmp_eq_u64_e64 s0, s[14:15], v[4:5]
	s_or_b32 s16, s0, s16
	s_and_not1_b32 exec_lo, exec_lo, s16
	s_cbranch_execnz .LBB1_2596
; %bb.2602:                             ;   in Loop: Header=BB1_1755 Depth=1
	s_or_b32 exec_lo, exec_lo, s16
	s_add_co_i32 s12, s6, 0x79
	v_lshl_add_u64 v[4:5], s[4:5], 4, v[12:13]
	s_mul_hi_u32 s0, s12, 0x10624dd3
	s_mov_b32 s16, 0
	s_lshr_b32 s0, s0, 6
	s_mov_b32 s17, s14
	s_mul_i32 s4, s0, 0x3e8
	s_mov_b32 s19, s5
	s_sub_co_i32 s4, s12, s4
	s_or_b64 s[0:1], s[16:17], s[14:15]
	s_lshl_b32 s18, s4, 12
	v_dual_mov_b32 v0, s0 :: v_dual_mov_b32 v1, s1
	v_add_nc_u64_e32 v[8:9], s[18:19], v[10:11]
	v_dual_mov_b32 v3, s14 :: v_dual_mov_b32 v14, 0
	s_lshl_b32 s4, s4, 8
	s_mov_b32 s13, s5
	s_mov_b32 s7, s16
	global_store_b128 v[4:5], v[0:3], off th:TH_STORE_NT
.LBB1_2603:                             ;   Parent Loop BB1_1755 Depth=1
                                        ; =>  This Inner Loop Header: Depth=2
	s_wait_loadcnt 0x0
	global_load_b128 v[4:7], v[8:9], off th:TH_LOAD_NT
	v_add_nc_u32_e32 v14, 1, v14
	s_mov_b32 s1, -1
	s_mov_b32 s14, -1
	s_mov_b32 s15, exec_lo
	s_wait_xcnt 0x0
	v_cmpx_eq_u32_e32 0xf4240, v14
	s_cbranch_execz .LBB1_2605
; %bb.2604:                             ;   in Loop: Header=BB1_2603 Depth=2
	s_wait_loadcnt 0x0
	s_wait_storecnt 0x0
	global_load_b32 v0, v2, s[10:11] scope:SCOPE_SYS
	s_wait_loadcnt 0x0
	global_inv scope:SCOPE_SYS
	v_mov_b32_e32 v14, 0
	v_cmp_eq_u32_e64 s0, 0, v0
	s_or_not1_b32 s14, s0, exec_lo
.LBB1_2605:                             ;   in Loop: Header=BB1_2603 Depth=2
	s_wait_xcnt 0x0
	s_or_b32 exec_lo, exec_lo, s15
	s_and_saveexec_b32 s15, s14
	s_cbranch_execz .LBB1_2607
; %bb.2606:                             ;   in Loop: Header=BB1_2603 Depth=2
	s_wait_loadcnt 0x0
	v_cmp_eq_u32_e64 s0, s12, v5
	v_cmp_eq_u32_e64 s1, s12, v7
	s_and_b32 s0, s0, s1
	s_delay_alu instid0(SALU_CYCLE_1)
	s_or_not1_b32 s1, s0, exec_lo
.LBB1_2607:                             ;   in Loop: Header=BB1_2603 Depth=2
	s_or_b32 exec_lo, exec_lo, s15
	s_delay_alu instid0(SALU_CYCLE_1) | instskip(NEXT) | instid1(SALU_CYCLE_1)
	s_and_b32 s0, exec_lo, s1
	s_or_b32 s7, s0, s7
	s_delay_alu instid0(SALU_CYCLE_1)
	s_and_not1_b32 exec_lo, exec_lo, s7
	s_cbranch_execnz .LBB1_2603
; %bb.2608:                             ;   in Loop: Header=BB1_2603 Depth=2
	s_or_b32 exec_lo, exec_lo, s7
	s_wait_loadcnt 0x0
	v_dual_mov_b32 v5, v6 :: v_dual_mov_b32 v14, 0
	s_mov_b32 s7, 0
	s_delay_alu instid0(VALU_DEP_1) | instskip(SKIP_1) | instid1(SALU_CYCLE_1)
	v_cmp_eq_u64_e64 s0, s[12:13], v[4:5]
	s_or_b32 s16, s0, s16
	s_and_not1_b32 exec_lo, exec_lo, s16
	s_cbranch_execnz .LBB1_2603
; %bb.2609:                             ;   in Loop: Header=BB1_1755 Depth=1
	s_or_b32 exec_lo, exec_lo, s16
	s_add_co_i32 s14, s6, 0x7a
	v_lshl_add_u64 v[4:5], s[4:5], 4, v[12:13]
	s_mul_hi_u32 s0, s14, 0x10624dd3
	s_mov_b32 s16, 0
	s_lshr_b32 s0, s0, 6
	s_mov_b32 s17, s12
	s_mul_i32 s4, s0, 0x3e8
	s_mov_b32 s19, s5
	s_sub_co_i32 s4, s14, s4
	s_or_b64 s[0:1], s[16:17], s[12:13]
	s_lshl_b32 s18, s4, 12
	v_dual_mov_b32 v0, s0 :: v_dual_mov_b32 v1, s1
	v_add_nc_u64_e32 v[8:9], s[18:19], v[10:11]
	v_dual_mov_b32 v3, s12 :: v_dual_mov_b32 v14, 0
	s_lshl_b32 s4, s4, 8
	s_mov_b32 s15, s5
	s_mov_b32 s7, s16
	global_store_b128 v[4:5], v[0:3], off th:TH_STORE_NT
.LBB1_2610:                             ;   Parent Loop BB1_1755 Depth=1
                                        ; =>  This Inner Loop Header: Depth=2
	s_wait_loadcnt 0x0
	global_load_b128 v[4:7], v[8:9], off th:TH_LOAD_NT
	v_add_nc_u32_e32 v14, 1, v14
	s_mov_b32 s1, -1
	s_mov_b32 s12, -1
	s_mov_b32 s13, exec_lo
	s_wait_xcnt 0x0
	v_cmpx_eq_u32_e32 0xf4240, v14
	s_cbranch_execz .LBB1_2612
; %bb.2611:                             ;   in Loop: Header=BB1_2610 Depth=2
	s_wait_loadcnt 0x0
	s_wait_storecnt 0x0
	global_load_b32 v0, v2, s[10:11] scope:SCOPE_SYS
	s_wait_loadcnt 0x0
	global_inv scope:SCOPE_SYS
	v_mov_b32_e32 v14, 0
	v_cmp_eq_u32_e64 s0, 0, v0
	s_or_not1_b32 s12, s0, exec_lo
.LBB1_2612:                             ;   in Loop: Header=BB1_2610 Depth=2
	s_wait_xcnt 0x0
	s_or_b32 exec_lo, exec_lo, s13
	s_and_saveexec_b32 s13, s12
	s_cbranch_execz .LBB1_2614
; %bb.2613:                             ;   in Loop: Header=BB1_2610 Depth=2
	s_wait_loadcnt 0x0
	v_cmp_eq_u32_e64 s0, s14, v5
	v_cmp_eq_u32_e64 s1, s14, v7
	s_and_b32 s0, s0, s1
	s_delay_alu instid0(SALU_CYCLE_1)
	s_or_not1_b32 s1, s0, exec_lo
.LBB1_2614:                             ;   in Loop: Header=BB1_2610 Depth=2
	s_or_b32 exec_lo, exec_lo, s13
	s_delay_alu instid0(SALU_CYCLE_1) | instskip(NEXT) | instid1(SALU_CYCLE_1)
	s_and_b32 s0, exec_lo, s1
	s_or_b32 s7, s0, s7
	s_delay_alu instid0(SALU_CYCLE_1)
	s_and_not1_b32 exec_lo, exec_lo, s7
	s_cbranch_execnz .LBB1_2610
; %bb.2615:                             ;   in Loop: Header=BB1_2610 Depth=2
	s_or_b32 exec_lo, exec_lo, s7
	s_wait_loadcnt 0x0
	v_dual_mov_b32 v5, v6 :: v_dual_mov_b32 v14, 0
	s_mov_b32 s7, 0
	s_delay_alu instid0(VALU_DEP_1) | instskip(SKIP_1) | instid1(SALU_CYCLE_1)
	v_cmp_eq_u64_e64 s0, s[14:15], v[4:5]
	s_or_b32 s16, s0, s16
	s_and_not1_b32 exec_lo, exec_lo, s16
	s_cbranch_execnz .LBB1_2610
; %bb.2616:                             ;   in Loop: Header=BB1_1755 Depth=1
	s_or_b32 exec_lo, exec_lo, s16
	s_add_co_i32 s12, s6, 0x7b
	v_lshl_add_u64 v[4:5], s[4:5], 4, v[12:13]
	s_mul_hi_u32 s0, s12, 0x10624dd3
	s_mov_b32 s16, 0
	s_lshr_b32 s0, s0, 6
	s_mov_b32 s17, s14
	s_mul_i32 s4, s0, 0x3e8
	s_mov_b32 s19, s5
	s_sub_co_i32 s4, s12, s4
	s_or_b64 s[0:1], s[16:17], s[14:15]
	s_lshl_b32 s18, s4, 12
	v_dual_mov_b32 v0, s0 :: v_dual_mov_b32 v1, s1
	v_add_nc_u64_e32 v[8:9], s[18:19], v[10:11]
	v_dual_mov_b32 v3, s14 :: v_dual_mov_b32 v14, 0
	s_lshl_b32 s4, s4, 8
	s_mov_b32 s13, s5
	s_mov_b32 s7, s16
	global_store_b128 v[4:5], v[0:3], off th:TH_STORE_NT
.LBB1_2617:                             ;   Parent Loop BB1_1755 Depth=1
                                        ; =>  This Inner Loop Header: Depth=2
	s_wait_loadcnt 0x0
	global_load_b128 v[4:7], v[8:9], off th:TH_LOAD_NT
	v_add_nc_u32_e32 v14, 1, v14
	s_mov_b32 s1, -1
	s_mov_b32 s14, -1
	s_mov_b32 s15, exec_lo
	s_wait_xcnt 0x0
	v_cmpx_eq_u32_e32 0xf4240, v14
	s_cbranch_execz .LBB1_2619
; %bb.2618:                             ;   in Loop: Header=BB1_2617 Depth=2
	s_wait_loadcnt 0x0
	s_wait_storecnt 0x0
	global_load_b32 v0, v2, s[10:11] scope:SCOPE_SYS
	s_wait_loadcnt 0x0
	global_inv scope:SCOPE_SYS
	v_mov_b32_e32 v14, 0
	v_cmp_eq_u32_e64 s0, 0, v0
	s_or_not1_b32 s14, s0, exec_lo
.LBB1_2619:                             ;   in Loop: Header=BB1_2617 Depth=2
	s_wait_xcnt 0x0
	s_or_b32 exec_lo, exec_lo, s15
	s_and_saveexec_b32 s15, s14
	s_cbranch_execz .LBB1_2621
; %bb.2620:                             ;   in Loop: Header=BB1_2617 Depth=2
	s_wait_loadcnt 0x0
	v_cmp_eq_u32_e64 s0, s12, v5
	v_cmp_eq_u32_e64 s1, s12, v7
	s_and_b32 s0, s0, s1
	s_delay_alu instid0(SALU_CYCLE_1)
	s_or_not1_b32 s1, s0, exec_lo
.LBB1_2621:                             ;   in Loop: Header=BB1_2617 Depth=2
	s_or_b32 exec_lo, exec_lo, s15
	s_delay_alu instid0(SALU_CYCLE_1) | instskip(NEXT) | instid1(SALU_CYCLE_1)
	s_and_b32 s0, exec_lo, s1
	s_or_b32 s7, s0, s7
	s_delay_alu instid0(SALU_CYCLE_1)
	s_and_not1_b32 exec_lo, exec_lo, s7
	s_cbranch_execnz .LBB1_2617
; %bb.2622:                             ;   in Loop: Header=BB1_2617 Depth=2
	s_or_b32 exec_lo, exec_lo, s7
	s_wait_loadcnt 0x0
	v_dual_mov_b32 v5, v6 :: v_dual_mov_b32 v14, 0
	s_mov_b32 s7, 0
	s_delay_alu instid0(VALU_DEP_1) | instskip(SKIP_1) | instid1(SALU_CYCLE_1)
	v_cmp_eq_u64_e64 s0, s[12:13], v[4:5]
	s_or_b32 s16, s0, s16
	s_and_not1_b32 exec_lo, exec_lo, s16
	s_cbranch_execnz .LBB1_2617
; %bb.2623:                             ;   in Loop: Header=BB1_1755 Depth=1
	s_or_b32 exec_lo, exec_lo, s16
	s_add_co_i32 s14, s6, 0x7c
	v_lshl_add_u64 v[4:5], s[4:5], 4, v[12:13]
	s_mul_hi_u32 s0, s14, 0x10624dd3
	s_mov_b32 s16, 0
	s_lshr_b32 s0, s0, 6
	s_mov_b32 s17, s12
	s_mul_i32 s4, s0, 0x3e8
	s_mov_b32 s19, s5
	s_sub_co_i32 s4, s14, s4
	s_or_b64 s[0:1], s[16:17], s[12:13]
	s_lshl_b32 s18, s4, 12
	v_dual_mov_b32 v0, s0 :: v_dual_mov_b32 v1, s1
	v_add_nc_u64_e32 v[8:9], s[18:19], v[10:11]
	v_dual_mov_b32 v3, s12 :: v_dual_mov_b32 v14, 0
	s_lshl_b32 s4, s4, 8
	s_mov_b32 s15, s5
	s_mov_b32 s7, s16
	global_store_b128 v[4:5], v[0:3], off th:TH_STORE_NT
.LBB1_2624:                             ;   Parent Loop BB1_1755 Depth=1
                                        ; =>  This Inner Loop Header: Depth=2
	s_wait_loadcnt 0x0
	global_load_b128 v[4:7], v[8:9], off th:TH_LOAD_NT
	v_add_nc_u32_e32 v14, 1, v14
	s_mov_b32 s1, -1
	s_mov_b32 s12, -1
	s_mov_b32 s13, exec_lo
	s_wait_xcnt 0x0
	v_cmpx_eq_u32_e32 0xf4240, v14
	s_cbranch_execz .LBB1_2626
; %bb.2625:                             ;   in Loop: Header=BB1_2624 Depth=2
	s_wait_loadcnt 0x0
	s_wait_storecnt 0x0
	global_load_b32 v0, v2, s[10:11] scope:SCOPE_SYS
	s_wait_loadcnt 0x0
	global_inv scope:SCOPE_SYS
	v_mov_b32_e32 v14, 0
	v_cmp_eq_u32_e64 s0, 0, v0
	s_or_not1_b32 s12, s0, exec_lo
.LBB1_2626:                             ;   in Loop: Header=BB1_2624 Depth=2
	s_wait_xcnt 0x0
	s_or_b32 exec_lo, exec_lo, s13
	s_and_saveexec_b32 s13, s12
	s_cbranch_execz .LBB1_2628
; %bb.2627:                             ;   in Loop: Header=BB1_2624 Depth=2
	s_wait_loadcnt 0x0
	v_cmp_eq_u32_e64 s0, s14, v5
	v_cmp_eq_u32_e64 s1, s14, v7
	s_and_b32 s0, s0, s1
	s_delay_alu instid0(SALU_CYCLE_1)
	s_or_not1_b32 s1, s0, exec_lo
.LBB1_2628:                             ;   in Loop: Header=BB1_2624 Depth=2
	s_or_b32 exec_lo, exec_lo, s13
	s_delay_alu instid0(SALU_CYCLE_1) | instskip(NEXT) | instid1(SALU_CYCLE_1)
	s_and_b32 s0, exec_lo, s1
	s_or_b32 s7, s0, s7
	s_delay_alu instid0(SALU_CYCLE_1)
	s_and_not1_b32 exec_lo, exec_lo, s7
	s_cbranch_execnz .LBB1_2624
; %bb.2629:                             ;   in Loop: Header=BB1_2624 Depth=2
	s_or_b32 exec_lo, exec_lo, s7
	s_wait_loadcnt 0x0
	v_dual_mov_b32 v5, v6 :: v_dual_mov_b32 v14, 0
	s_mov_b32 s7, 0
	s_delay_alu instid0(VALU_DEP_1) | instskip(SKIP_1) | instid1(SALU_CYCLE_1)
	v_cmp_eq_u64_e64 s0, s[14:15], v[4:5]
	s_or_b32 s16, s0, s16
	s_and_not1_b32 exec_lo, exec_lo, s16
	s_cbranch_execnz .LBB1_2624
; %bb.2630:                             ;   in Loop: Header=BB1_1755 Depth=1
	s_or_b32 exec_lo, exec_lo, s16
	s_add_co_i32 s12, s6, 0x7d
	v_lshl_add_u64 v[4:5], s[4:5], 4, v[12:13]
	s_mul_hi_u32 s0, s12, 0x10624dd3
	s_mov_b32 s16, 0
	s_lshr_b32 s0, s0, 6
	s_mov_b32 s17, s14
	s_mul_i32 s4, s0, 0x3e8
	s_mov_b32 s19, s5
	s_sub_co_i32 s4, s12, s4
	s_or_b64 s[0:1], s[16:17], s[14:15]
	s_lshl_b32 s18, s4, 12
	v_dual_mov_b32 v0, s0 :: v_dual_mov_b32 v1, s1
	v_add_nc_u64_e32 v[8:9], s[18:19], v[10:11]
	v_dual_mov_b32 v3, s14 :: v_dual_mov_b32 v14, 0
	s_lshl_b32 s4, s4, 8
	s_mov_b32 s13, s5
	s_mov_b32 s7, s16
	global_store_b128 v[4:5], v[0:3], off th:TH_STORE_NT
.LBB1_2631:                             ;   Parent Loop BB1_1755 Depth=1
                                        ; =>  This Inner Loop Header: Depth=2
	s_wait_loadcnt 0x0
	global_load_b128 v[4:7], v[8:9], off th:TH_LOAD_NT
	v_add_nc_u32_e32 v14, 1, v14
	s_mov_b32 s1, -1
	s_mov_b32 s14, -1
	s_mov_b32 s15, exec_lo
	s_wait_xcnt 0x0
	v_cmpx_eq_u32_e32 0xf4240, v14
	s_cbranch_execz .LBB1_2633
; %bb.2632:                             ;   in Loop: Header=BB1_2631 Depth=2
	s_wait_loadcnt 0x0
	s_wait_storecnt 0x0
	global_load_b32 v0, v2, s[10:11] scope:SCOPE_SYS
	s_wait_loadcnt 0x0
	global_inv scope:SCOPE_SYS
	v_mov_b32_e32 v14, 0
	v_cmp_eq_u32_e64 s0, 0, v0
	s_or_not1_b32 s14, s0, exec_lo
.LBB1_2633:                             ;   in Loop: Header=BB1_2631 Depth=2
	s_wait_xcnt 0x0
	s_or_b32 exec_lo, exec_lo, s15
	s_and_saveexec_b32 s15, s14
	s_cbranch_execz .LBB1_2635
; %bb.2634:                             ;   in Loop: Header=BB1_2631 Depth=2
	s_wait_loadcnt 0x0
	v_cmp_eq_u32_e64 s0, s12, v5
	v_cmp_eq_u32_e64 s1, s12, v7
	s_and_b32 s0, s0, s1
	s_delay_alu instid0(SALU_CYCLE_1)
	s_or_not1_b32 s1, s0, exec_lo
.LBB1_2635:                             ;   in Loop: Header=BB1_2631 Depth=2
	s_or_b32 exec_lo, exec_lo, s15
	s_delay_alu instid0(SALU_CYCLE_1) | instskip(NEXT) | instid1(SALU_CYCLE_1)
	s_and_b32 s0, exec_lo, s1
	s_or_b32 s7, s0, s7
	s_delay_alu instid0(SALU_CYCLE_1)
	s_and_not1_b32 exec_lo, exec_lo, s7
	s_cbranch_execnz .LBB1_2631
; %bb.2636:                             ;   in Loop: Header=BB1_2631 Depth=2
	s_or_b32 exec_lo, exec_lo, s7
	s_wait_loadcnt 0x0
	v_dual_mov_b32 v5, v6 :: v_dual_mov_b32 v14, 0
	s_mov_b32 s7, 0
	s_delay_alu instid0(VALU_DEP_1) | instskip(SKIP_1) | instid1(SALU_CYCLE_1)
	v_cmp_eq_u64_e64 s0, s[12:13], v[4:5]
	s_or_b32 s16, s0, s16
	s_and_not1_b32 exec_lo, exec_lo, s16
	s_cbranch_execnz .LBB1_2631
; %bb.2637:                             ;   in Loop: Header=BB1_1755 Depth=1
	s_or_b32 exec_lo, exec_lo, s16
	s_add_co_i32 s14, s6, 0x7e
	v_lshl_add_u64 v[4:5], s[4:5], 4, v[12:13]
	s_mul_hi_u32 s0, s14, 0x10624dd3
	s_mov_b32 s16, 0
	s_lshr_b32 s0, s0, 6
	s_mov_b32 s17, s12
	s_mul_i32 s4, s0, 0x3e8
	s_mov_b32 s19, s5
	s_sub_co_i32 s4, s14, s4
	s_or_b64 s[0:1], s[16:17], s[12:13]
	s_lshl_b32 s18, s4, 12
	v_dual_mov_b32 v0, s0 :: v_dual_mov_b32 v1, s1
	v_add_nc_u64_e32 v[8:9], s[18:19], v[10:11]
	v_dual_mov_b32 v3, s12 :: v_dual_mov_b32 v14, 0
	s_lshl_b32 s4, s4, 8
	s_mov_b32 s15, s5
	s_mov_b32 s7, s16
	global_store_b128 v[4:5], v[0:3], off th:TH_STORE_NT
.LBB1_2638:                             ;   Parent Loop BB1_1755 Depth=1
                                        ; =>  This Inner Loop Header: Depth=2
	s_wait_loadcnt 0x0
	global_load_b128 v[4:7], v[8:9], off th:TH_LOAD_NT
	v_add_nc_u32_e32 v14, 1, v14
	s_mov_b32 s1, -1
	s_mov_b32 s12, -1
	s_mov_b32 s13, exec_lo
	s_wait_xcnt 0x0
	v_cmpx_eq_u32_e32 0xf4240, v14
	s_cbranch_execz .LBB1_2640
; %bb.2639:                             ;   in Loop: Header=BB1_2638 Depth=2
	s_wait_loadcnt 0x0
	s_wait_storecnt 0x0
	global_load_b32 v0, v2, s[10:11] scope:SCOPE_SYS
	s_wait_loadcnt 0x0
	global_inv scope:SCOPE_SYS
	v_mov_b32_e32 v14, 0
	v_cmp_eq_u32_e64 s0, 0, v0
	s_or_not1_b32 s12, s0, exec_lo
.LBB1_2640:                             ;   in Loop: Header=BB1_2638 Depth=2
	s_wait_xcnt 0x0
	s_or_b32 exec_lo, exec_lo, s13
	s_and_saveexec_b32 s13, s12
	s_cbranch_execz .LBB1_2642
; %bb.2641:                             ;   in Loop: Header=BB1_2638 Depth=2
	s_wait_loadcnt 0x0
	v_cmp_eq_u32_e64 s0, s14, v5
	v_cmp_eq_u32_e64 s1, s14, v7
	s_and_b32 s0, s0, s1
	s_delay_alu instid0(SALU_CYCLE_1)
	s_or_not1_b32 s1, s0, exec_lo
.LBB1_2642:                             ;   in Loop: Header=BB1_2638 Depth=2
	s_or_b32 exec_lo, exec_lo, s13
	s_delay_alu instid0(SALU_CYCLE_1) | instskip(NEXT) | instid1(SALU_CYCLE_1)
	s_and_b32 s0, exec_lo, s1
	s_or_b32 s7, s0, s7
	s_delay_alu instid0(SALU_CYCLE_1)
	s_and_not1_b32 exec_lo, exec_lo, s7
	s_cbranch_execnz .LBB1_2638
; %bb.2643:                             ;   in Loop: Header=BB1_2638 Depth=2
	s_or_b32 exec_lo, exec_lo, s7
	s_wait_loadcnt 0x0
	v_dual_mov_b32 v5, v6 :: v_dual_mov_b32 v14, 0
	s_mov_b32 s7, 0
	s_delay_alu instid0(VALU_DEP_1) | instskip(SKIP_1) | instid1(SALU_CYCLE_1)
	v_cmp_eq_u64_e64 s0, s[14:15], v[4:5]
	s_or_b32 s16, s0, s16
	s_and_not1_b32 exec_lo, exec_lo, s16
	s_cbranch_execnz .LBB1_2638
; %bb.2644:                             ;   in Loop: Header=BB1_1755 Depth=1
	s_or_b32 exec_lo, exec_lo, s16
	s_add_co_i32 s12, s6, 0x7f
	v_lshl_add_u64 v[4:5], s[4:5], 4, v[12:13]
	s_mul_hi_u32 s0, s12, 0x10624dd3
	s_mov_b32 s16, 0
	s_lshr_b32 s0, s0, 6
	s_mov_b32 s17, s14
	s_mul_i32 s4, s0, 0x3e8
	s_mov_b32 s19, s5
	s_sub_co_i32 s4, s12, s4
	s_or_b64 s[0:1], s[16:17], s[14:15]
	s_lshl_b32 s18, s4, 12
	v_dual_mov_b32 v0, s0 :: v_dual_mov_b32 v1, s1
	v_add_nc_u64_e32 v[8:9], s[18:19], v[10:11]
	v_dual_mov_b32 v3, s14 :: v_dual_mov_b32 v14, 0
	s_lshl_b32 s4, s4, 8
	s_mov_b32 s13, s5
	s_mov_b32 s7, s16
	global_store_b128 v[4:5], v[0:3], off th:TH_STORE_NT
.LBB1_2645:                             ;   Parent Loop BB1_1755 Depth=1
                                        ; =>  This Inner Loop Header: Depth=2
	s_wait_loadcnt 0x0
	global_load_b128 v[4:7], v[8:9], off th:TH_LOAD_NT
	v_add_nc_u32_e32 v14, 1, v14
	s_mov_b32 s1, -1
	s_mov_b32 s14, -1
	s_mov_b32 s15, exec_lo
	s_wait_xcnt 0x0
	v_cmpx_eq_u32_e32 0xf4240, v14
	s_cbranch_execz .LBB1_2647
; %bb.2646:                             ;   in Loop: Header=BB1_2645 Depth=2
	s_wait_loadcnt 0x0
	s_wait_storecnt 0x0
	global_load_b32 v0, v2, s[10:11] scope:SCOPE_SYS
	s_wait_loadcnt 0x0
	global_inv scope:SCOPE_SYS
	v_mov_b32_e32 v14, 0
	v_cmp_eq_u32_e64 s0, 0, v0
	s_or_not1_b32 s14, s0, exec_lo
.LBB1_2647:                             ;   in Loop: Header=BB1_2645 Depth=2
	s_wait_xcnt 0x0
	s_or_b32 exec_lo, exec_lo, s15
	s_and_saveexec_b32 s15, s14
	s_cbranch_execz .LBB1_2649
; %bb.2648:                             ;   in Loop: Header=BB1_2645 Depth=2
	s_wait_loadcnt 0x0
	v_cmp_eq_u32_e64 s0, s12, v5
	v_cmp_eq_u32_e64 s1, s12, v7
	s_and_b32 s0, s0, s1
	s_delay_alu instid0(SALU_CYCLE_1)
	s_or_not1_b32 s1, s0, exec_lo
.LBB1_2649:                             ;   in Loop: Header=BB1_2645 Depth=2
	s_or_b32 exec_lo, exec_lo, s15
	s_delay_alu instid0(SALU_CYCLE_1) | instskip(NEXT) | instid1(SALU_CYCLE_1)
	s_and_b32 s0, exec_lo, s1
	s_or_b32 s7, s0, s7
	s_delay_alu instid0(SALU_CYCLE_1)
	s_and_not1_b32 exec_lo, exec_lo, s7
	s_cbranch_execnz .LBB1_2645
; %bb.2650:                             ;   in Loop: Header=BB1_2645 Depth=2
	s_or_b32 exec_lo, exec_lo, s7
	s_wait_loadcnt 0x0
	v_dual_mov_b32 v5, v6 :: v_dual_mov_b32 v14, 0
	s_mov_b32 s7, 0
	s_delay_alu instid0(VALU_DEP_1) | instskip(SKIP_1) | instid1(SALU_CYCLE_1)
	v_cmp_eq_u64_e64 s0, s[12:13], v[4:5]
	s_or_b32 s16, s0, s16
	s_and_not1_b32 exec_lo, exec_lo, s16
	s_cbranch_execnz .LBB1_2645
; %bb.2651:                             ;   in Loop: Header=BB1_1755 Depth=1
	s_or_b32 exec_lo, exec_lo, s16
	s_add_co_i32 s14, s6, 0x80
	v_lshl_add_u64 v[4:5], s[4:5], 4, v[12:13]
	s_mul_hi_u32 s0, s14, 0x10624dd3
	s_mov_b32 s16, 0
	s_lshr_b32 s4, s0, 6
	s_mov_b32 s17, s12
	s_mulk_i32 s4, 0x3e8
	s_or_b64 s[0:1], s[16:17], s[12:13]
	s_sub_co_i32 s4, s14, s4
	v_dual_mov_b32 v0, s0 :: v_dual_mov_b32 v1, s1
	s_lshl_b32 s0, s4, 12
	s_mov_b32 s1, s5
	v_dual_mov_b32 v3, s12 :: v_dual_mov_b32 v14, 0
	v_add_nc_u64_e32 v[8:9], s[0:1], v[10:11]
	s_lshl_b32 s4, s4, 8
	s_mov_b32 s15, s5
	s_mov_b32 s7, s16
	global_store_b128 v[4:5], v[0:3], off th:TH_STORE_NT
.LBB1_2652:                             ;   Parent Loop BB1_1755 Depth=1
                                        ; =>  This Inner Loop Header: Depth=2
	s_wait_loadcnt 0x0
	global_load_b128 v[4:7], v[8:9], off th:TH_LOAD_NT
	v_add_nc_u32_e32 v14, 1, v14
	s_mov_b32 s1, -1
	s_mov_b32 s12, -1
	s_mov_b32 s13, exec_lo
	s_wait_xcnt 0x0
	v_cmpx_eq_u32_e32 0xf4240, v14
	s_cbranch_execz .LBB1_2654
; %bb.2653:                             ;   in Loop: Header=BB1_2652 Depth=2
	s_wait_loadcnt 0x0
	s_wait_storecnt 0x0
	global_load_b32 v0, v2, s[10:11] scope:SCOPE_SYS
	s_wait_loadcnt 0x0
	global_inv scope:SCOPE_SYS
	v_mov_b32_e32 v14, 0
	v_cmp_eq_u32_e64 s0, 0, v0
	s_or_not1_b32 s12, s0, exec_lo
.LBB1_2654:                             ;   in Loop: Header=BB1_2652 Depth=2
	s_wait_xcnt 0x0
	s_or_b32 exec_lo, exec_lo, s13
	s_and_saveexec_b32 s13, s12
	s_cbranch_execz .LBB1_2656
; %bb.2655:                             ;   in Loop: Header=BB1_2652 Depth=2
	s_wait_loadcnt 0x0
	v_cmp_eq_u32_e64 s0, s14, v5
	v_cmp_eq_u32_e64 s1, s14, v7
	s_and_b32 s0, s0, s1
	s_delay_alu instid0(SALU_CYCLE_1)
	s_or_not1_b32 s1, s0, exec_lo
.LBB1_2656:                             ;   in Loop: Header=BB1_2652 Depth=2
	s_or_b32 exec_lo, exec_lo, s13
	s_delay_alu instid0(SALU_CYCLE_1) | instskip(NEXT) | instid1(SALU_CYCLE_1)
	s_and_b32 s0, exec_lo, s1
	s_or_b32 s7, s0, s7
	s_delay_alu instid0(SALU_CYCLE_1)
	s_and_not1_b32 exec_lo, exec_lo, s7
	s_cbranch_execnz .LBB1_2652
; %bb.2657:                             ;   in Loop: Header=BB1_2652 Depth=2
	s_or_b32 exec_lo, exec_lo, s7
	s_wait_loadcnt 0x0
	v_dual_mov_b32 v5, v6 :: v_dual_mov_b32 v14, 0
	s_mov_b32 s7, 0
	s_delay_alu instid0(VALU_DEP_1) | instskip(SKIP_1) | instid1(SALU_CYCLE_1)
	v_cmp_eq_u64_e64 s0, s[14:15], v[4:5]
	s_or_b32 s16, s0, s16
	s_and_not1_b32 exec_lo, exec_lo, s16
	s_cbranch_execnz .LBB1_2652
; %bb.2658:                             ;   in Loop: Header=BB1_1755 Depth=1
	s_or_b32 exec_lo, exec_lo, s16
	s_add_co_i32 s12, s6, 0x81
	v_lshl_add_u64 v[4:5], s[4:5], 4, v[12:13]
	s_mul_hi_u32 s0, s12, 0x10624dd3
	s_mov_b32 s16, 0
	s_lshr_b32 s4, s0, 6
	s_mov_b32 s17, s14
	s_mulk_i32 s4, 0x3e8
	s_or_b64 s[0:1], s[16:17], s[14:15]
	s_sub_co_i32 s4, s12, s4
	v_dual_mov_b32 v0, s0 :: v_dual_mov_b32 v1, s1
	s_lshl_b32 s0, s4, 12
	s_mov_b32 s1, s5
	v_dual_mov_b32 v3, s14 :: v_dual_mov_b32 v14, 0
	v_add_nc_u64_e32 v[8:9], s[0:1], v[10:11]
	s_lshl_b32 s4, s4, 8
	s_mov_b32 s13, s5
	s_mov_b32 s7, s16
	global_store_b128 v[4:5], v[0:3], off th:TH_STORE_NT
.LBB1_2659:                             ;   Parent Loop BB1_1755 Depth=1
                                        ; =>  This Inner Loop Header: Depth=2
	s_wait_loadcnt 0x0
	global_load_b128 v[4:7], v[8:9], off th:TH_LOAD_NT
	v_add_nc_u32_e32 v14, 1, v14
	s_mov_b32 s1, -1
	s_mov_b32 s14, -1
	s_mov_b32 s15, exec_lo
	s_wait_xcnt 0x0
	v_cmpx_eq_u32_e32 0xf4240, v14
	s_cbranch_execz .LBB1_2661
; %bb.2660:                             ;   in Loop: Header=BB1_2659 Depth=2
	s_wait_loadcnt 0x0
	s_wait_storecnt 0x0
	global_load_b32 v0, v2, s[10:11] scope:SCOPE_SYS
	s_wait_loadcnt 0x0
	global_inv scope:SCOPE_SYS
	v_mov_b32_e32 v14, 0
	v_cmp_eq_u32_e64 s0, 0, v0
	s_or_not1_b32 s14, s0, exec_lo
.LBB1_2661:                             ;   in Loop: Header=BB1_2659 Depth=2
	s_wait_xcnt 0x0
	s_or_b32 exec_lo, exec_lo, s15
	s_and_saveexec_b32 s15, s14
	s_cbranch_execz .LBB1_2663
; %bb.2662:                             ;   in Loop: Header=BB1_2659 Depth=2
	s_wait_loadcnt 0x0
	v_cmp_eq_u32_e64 s0, s12, v5
	v_cmp_eq_u32_e64 s1, s12, v7
	s_and_b32 s0, s0, s1
	s_delay_alu instid0(SALU_CYCLE_1)
	s_or_not1_b32 s1, s0, exec_lo
.LBB1_2663:                             ;   in Loop: Header=BB1_2659 Depth=2
	s_or_b32 exec_lo, exec_lo, s15
	s_delay_alu instid0(SALU_CYCLE_1) | instskip(NEXT) | instid1(SALU_CYCLE_1)
	s_and_b32 s0, exec_lo, s1
	s_or_b32 s7, s0, s7
	s_delay_alu instid0(SALU_CYCLE_1)
	s_and_not1_b32 exec_lo, exec_lo, s7
	s_cbranch_execnz .LBB1_2659
; %bb.2664:                             ;   in Loop: Header=BB1_2659 Depth=2
	s_or_b32 exec_lo, exec_lo, s7
	s_wait_loadcnt 0x0
	v_dual_mov_b32 v5, v6 :: v_dual_mov_b32 v14, 0
	s_mov_b32 s7, 0
	s_delay_alu instid0(VALU_DEP_1) | instskip(SKIP_1) | instid1(SALU_CYCLE_1)
	v_cmp_eq_u64_e64 s0, s[12:13], v[4:5]
	s_or_b32 s16, s0, s16
	s_and_not1_b32 exec_lo, exec_lo, s16
	s_cbranch_execnz .LBB1_2659
; %bb.2665:                             ;   in Loop: Header=BB1_1755 Depth=1
	s_or_b32 exec_lo, exec_lo, s16
	s_add_co_i32 s14, s6, 0x82
	v_lshl_add_u64 v[4:5], s[4:5], 4, v[12:13]
	s_mul_hi_u32 s0, s14, 0x10624dd3
	s_mov_b32 s16, 0
	s_lshr_b32 s4, s0, 6
	s_mov_b32 s17, s12
	s_mulk_i32 s4, 0x3e8
	s_or_b64 s[0:1], s[16:17], s[12:13]
	s_sub_co_i32 s4, s14, s4
	v_dual_mov_b32 v0, s0 :: v_dual_mov_b32 v1, s1
	s_lshl_b32 s0, s4, 12
	s_mov_b32 s1, s5
	v_dual_mov_b32 v3, s12 :: v_dual_mov_b32 v14, 0
	v_add_nc_u64_e32 v[8:9], s[0:1], v[10:11]
	s_lshl_b32 s4, s4, 8
	s_mov_b32 s15, s5
	s_mov_b32 s7, s16
	global_store_b128 v[4:5], v[0:3], off th:TH_STORE_NT
.LBB1_2666:                             ;   Parent Loop BB1_1755 Depth=1
                                        ; =>  This Inner Loop Header: Depth=2
	s_wait_loadcnt 0x0
	global_load_b128 v[4:7], v[8:9], off th:TH_LOAD_NT
	v_add_nc_u32_e32 v14, 1, v14
	s_mov_b32 s1, -1
	s_mov_b32 s12, -1
	s_mov_b32 s13, exec_lo
	s_wait_xcnt 0x0
	v_cmpx_eq_u32_e32 0xf4240, v14
	s_cbranch_execz .LBB1_2668
; %bb.2667:                             ;   in Loop: Header=BB1_2666 Depth=2
	s_wait_loadcnt 0x0
	s_wait_storecnt 0x0
	global_load_b32 v0, v2, s[10:11] scope:SCOPE_SYS
	s_wait_loadcnt 0x0
	global_inv scope:SCOPE_SYS
	v_mov_b32_e32 v14, 0
	v_cmp_eq_u32_e64 s0, 0, v0
	s_or_not1_b32 s12, s0, exec_lo
.LBB1_2668:                             ;   in Loop: Header=BB1_2666 Depth=2
	s_wait_xcnt 0x0
	s_or_b32 exec_lo, exec_lo, s13
	s_and_saveexec_b32 s13, s12
	s_cbranch_execz .LBB1_2670
; %bb.2669:                             ;   in Loop: Header=BB1_2666 Depth=2
	s_wait_loadcnt 0x0
	v_cmp_eq_u32_e64 s0, s14, v5
	v_cmp_eq_u32_e64 s1, s14, v7
	s_and_b32 s0, s0, s1
	s_delay_alu instid0(SALU_CYCLE_1)
	s_or_not1_b32 s1, s0, exec_lo
.LBB1_2670:                             ;   in Loop: Header=BB1_2666 Depth=2
	s_or_b32 exec_lo, exec_lo, s13
	s_delay_alu instid0(SALU_CYCLE_1) | instskip(NEXT) | instid1(SALU_CYCLE_1)
	s_and_b32 s0, exec_lo, s1
	s_or_b32 s7, s0, s7
	s_delay_alu instid0(SALU_CYCLE_1)
	s_and_not1_b32 exec_lo, exec_lo, s7
	s_cbranch_execnz .LBB1_2666
; %bb.2671:                             ;   in Loop: Header=BB1_2666 Depth=2
	s_or_b32 exec_lo, exec_lo, s7
	s_wait_loadcnt 0x0
	v_dual_mov_b32 v5, v6 :: v_dual_mov_b32 v14, 0
	s_mov_b32 s7, 0
	s_delay_alu instid0(VALU_DEP_1) | instskip(SKIP_1) | instid1(SALU_CYCLE_1)
	v_cmp_eq_u64_e64 s0, s[14:15], v[4:5]
	s_or_b32 s16, s0, s16
	s_and_not1_b32 exec_lo, exec_lo, s16
	s_cbranch_execnz .LBB1_2666
; %bb.2672:                             ;   in Loop: Header=BB1_1755 Depth=1
	s_or_b32 exec_lo, exec_lo, s16
	s_add_co_i32 s12, s6, 0x83
	v_lshl_add_u64 v[4:5], s[4:5], 4, v[12:13]
	s_mul_hi_u32 s0, s12, 0x10624dd3
	s_mov_b32 s16, 0
	s_lshr_b32 s4, s0, 6
	s_mov_b32 s17, s14
	s_mulk_i32 s4, 0x3e8
	s_or_b64 s[0:1], s[16:17], s[14:15]
	s_sub_co_i32 s4, s12, s4
	v_dual_mov_b32 v0, s0 :: v_dual_mov_b32 v1, s1
	s_lshl_b32 s0, s4, 12
	s_mov_b32 s1, s5
	v_dual_mov_b32 v3, s14 :: v_dual_mov_b32 v14, 0
	v_add_nc_u64_e32 v[8:9], s[0:1], v[10:11]
	s_lshl_b32 s4, s4, 8
	s_mov_b32 s13, s5
	s_mov_b32 s7, s16
	global_store_b128 v[4:5], v[0:3], off th:TH_STORE_NT
.LBB1_2673:                             ;   Parent Loop BB1_1755 Depth=1
                                        ; =>  This Inner Loop Header: Depth=2
	s_wait_loadcnt 0x0
	global_load_b128 v[4:7], v[8:9], off th:TH_LOAD_NT
	v_add_nc_u32_e32 v14, 1, v14
	s_mov_b32 s1, -1
	s_mov_b32 s14, -1
	s_mov_b32 s15, exec_lo
	s_wait_xcnt 0x0
	v_cmpx_eq_u32_e32 0xf4240, v14
	s_cbranch_execz .LBB1_2675
; %bb.2674:                             ;   in Loop: Header=BB1_2673 Depth=2
	s_wait_loadcnt 0x0
	s_wait_storecnt 0x0
	global_load_b32 v0, v2, s[10:11] scope:SCOPE_SYS
	s_wait_loadcnt 0x0
	global_inv scope:SCOPE_SYS
	v_mov_b32_e32 v14, 0
	v_cmp_eq_u32_e64 s0, 0, v0
	s_or_not1_b32 s14, s0, exec_lo
.LBB1_2675:                             ;   in Loop: Header=BB1_2673 Depth=2
	s_wait_xcnt 0x0
	s_or_b32 exec_lo, exec_lo, s15
	s_and_saveexec_b32 s15, s14
	s_cbranch_execz .LBB1_2677
; %bb.2676:                             ;   in Loop: Header=BB1_2673 Depth=2
	s_wait_loadcnt 0x0
	v_cmp_eq_u32_e64 s0, s12, v5
	v_cmp_eq_u32_e64 s1, s12, v7
	s_and_b32 s0, s0, s1
	s_delay_alu instid0(SALU_CYCLE_1)
	s_or_not1_b32 s1, s0, exec_lo
.LBB1_2677:                             ;   in Loop: Header=BB1_2673 Depth=2
	s_or_b32 exec_lo, exec_lo, s15
	s_delay_alu instid0(SALU_CYCLE_1) | instskip(NEXT) | instid1(SALU_CYCLE_1)
	s_and_b32 s0, exec_lo, s1
	s_or_b32 s7, s0, s7
	s_delay_alu instid0(SALU_CYCLE_1)
	s_and_not1_b32 exec_lo, exec_lo, s7
	s_cbranch_execnz .LBB1_2673
; %bb.2678:                             ;   in Loop: Header=BB1_2673 Depth=2
	s_or_b32 exec_lo, exec_lo, s7
	s_wait_loadcnt 0x0
	v_dual_mov_b32 v5, v6 :: v_dual_mov_b32 v14, 0
	s_mov_b32 s7, 0
	s_delay_alu instid0(VALU_DEP_1) | instskip(SKIP_1) | instid1(SALU_CYCLE_1)
	v_cmp_eq_u64_e64 s0, s[12:13], v[4:5]
	s_or_b32 s16, s0, s16
	s_and_not1_b32 exec_lo, exec_lo, s16
	s_cbranch_execnz .LBB1_2673
; %bb.2679:                             ;   in Loop: Header=BB1_1755 Depth=1
	s_or_b32 exec_lo, exec_lo, s16
	s_add_co_i32 s14, s6, 0x84
	v_lshl_add_u64 v[4:5], s[4:5], 4, v[12:13]
	s_mul_hi_u32 s0, s14, 0x10624dd3
	s_mov_b32 s16, 0
	s_lshr_b32 s4, s0, 6
	s_mov_b32 s17, s12
	s_mulk_i32 s4, 0x3e8
	s_or_b64 s[0:1], s[16:17], s[12:13]
	s_sub_co_i32 s4, s14, s4
	v_dual_mov_b32 v0, s0 :: v_dual_mov_b32 v1, s1
	s_lshl_b32 s0, s4, 12
	s_mov_b32 s1, s5
	v_dual_mov_b32 v3, s12 :: v_dual_mov_b32 v14, 0
	v_add_nc_u64_e32 v[8:9], s[0:1], v[10:11]
	s_lshl_b32 s4, s4, 8
	s_mov_b32 s15, s5
	s_mov_b32 s7, s16
	global_store_b128 v[4:5], v[0:3], off th:TH_STORE_NT
.LBB1_2680:                             ;   Parent Loop BB1_1755 Depth=1
                                        ; =>  This Inner Loop Header: Depth=2
	s_wait_loadcnt 0x0
	global_load_b128 v[4:7], v[8:9], off th:TH_LOAD_NT
	v_add_nc_u32_e32 v14, 1, v14
	s_mov_b32 s1, -1
	s_mov_b32 s12, -1
	s_mov_b32 s13, exec_lo
	s_wait_xcnt 0x0
	v_cmpx_eq_u32_e32 0xf4240, v14
	s_cbranch_execz .LBB1_2682
; %bb.2681:                             ;   in Loop: Header=BB1_2680 Depth=2
	s_wait_loadcnt 0x0
	s_wait_storecnt 0x0
	global_load_b32 v0, v2, s[10:11] scope:SCOPE_SYS
	s_wait_loadcnt 0x0
	global_inv scope:SCOPE_SYS
	v_mov_b32_e32 v14, 0
	v_cmp_eq_u32_e64 s0, 0, v0
	s_or_not1_b32 s12, s0, exec_lo
.LBB1_2682:                             ;   in Loop: Header=BB1_2680 Depth=2
	s_wait_xcnt 0x0
	s_or_b32 exec_lo, exec_lo, s13
	s_and_saveexec_b32 s13, s12
	s_cbranch_execz .LBB1_2684
; %bb.2683:                             ;   in Loop: Header=BB1_2680 Depth=2
	s_wait_loadcnt 0x0
	v_cmp_eq_u32_e64 s0, s14, v5
	v_cmp_eq_u32_e64 s1, s14, v7
	s_and_b32 s0, s0, s1
	s_delay_alu instid0(SALU_CYCLE_1)
	s_or_not1_b32 s1, s0, exec_lo
.LBB1_2684:                             ;   in Loop: Header=BB1_2680 Depth=2
	s_or_b32 exec_lo, exec_lo, s13
	s_delay_alu instid0(SALU_CYCLE_1) | instskip(NEXT) | instid1(SALU_CYCLE_1)
	s_and_b32 s0, exec_lo, s1
	s_or_b32 s7, s0, s7
	s_delay_alu instid0(SALU_CYCLE_1)
	s_and_not1_b32 exec_lo, exec_lo, s7
	s_cbranch_execnz .LBB1_2680
; %bb.2685:                             ;   in Loop: Header=BB1_2680 Depth=2
	s_or_b32 exec_lo, exec_lo, s7
	s_wait_loadcnt 0x0
	v_dual_mov_b32 v5, v6 :: v_dual_mov_b32 v14, 0
	s_mov_b32 s7, 0
	s_delay_alu instid0(VALU_DEP_1) | instskip(SKIP_1) | instid1(SALU_CYCLE_1)
	v_cmp_eq_u64_e64 s0, s[14:15], v[4:5]
	s_or_b32 s16, s0, s16
	s_and_not1_b32 exec_lo, exec_lo, s16
	s_cbranch_execnz .LBB1_2680
; %bb.2686:                             ;   in Loop: Header=BB1_1755 Depth=1
	s_or_b32 exec_lo, exec_lo, s16
	s_add_co_i32 s12, s6, 0x85
	v_lshl_add_u64 v[4:5], s[4:5], 4, v[12:13]
	s_mul_hi_u32 s0, s12, 0x10624dd3
	s_mov_b32 s16, 0
	s_lshr_b32 s4, s0, 6
	s_mov_b32 s17, s14
	s_mulk_i32 s4, 0x3e8
	s_or_b64 s[0:1], s[16:17], s[14:15]
	s_sub_co_i32 s4, s12, s4
	v_dual_mov_b32 v0, s0 :: v_dual_mov_b32 v1, s1
	s_lshl_b32 s0, s4, 12
	s_mov_b32 s1, s5
	v_dual_mov_b32 v3, s14 :: v_dual_mov_b32 v14, 0
	v_add_nc_u64_e32 v[8:9], s[0:1], v[10:11]
	s_lshl_b32 s4, s4, 8
	s_mov_b32 s13, s5
	s_mov_b32 s7, s16
	global_store_b128 v[4:5], v[0:3], off th:TH_STORE_NT
.LBB1_2687:                             ;   Parent Loop BB1_1755 Depth=1
                                        ; =>  This Inner Loop Header: Depth=2
	s_wait_loadcnt 0x0
	global_load_b128 v[4:7], v[8:9], off th:TH_LOAD_NT
	v_add_nc_u32_e32 v14, 1, v14
	s_mov_b32 s1, -1
	s_mov_b32 s14, -1
	s_mov_b32 s15, exec_lo
	s_wait_xcnt 0x0
	v_cmpx_eq_u32_e32 0xf4240, v14
	s_cbranch_execz .LBB1_2689
; %bb.2688:                             ;   in Loop: Header=BB1_2687 Depth=2
	s_wait_loadcnt 0x0
	s_wait_storecnt 0x0
	global_load_b32 v0, v2, s[10:11] scope:SCOPE_SYS
	s_wait_loadcnt 0x0
	global_inv scope:SCOPE_SYS
	v_mov_b32_e32 v14, 0
	v_cmp_eq_u32_e64 s0, 0, v0
	s_or_not1_b32 s14, s0, exec_lo
.LBB1_2689:                             ;   in Loop: Header=BB1_2687 Depth=2
	s_wait_xcnt 0x0
	s_or_b32 exec_lo, exec_lo, s15
	s_and_saveexec_b32 s15, s14
	s_cbranch_execz .LBB1_2691
; %bb.2690:                             ;   in Loop: Header=BB1_2687 Depth=2
	s_wait_loadcnt 0x0
	v_cmp_eq_u32_e64 s0, s12, v5
	v_cmp_eq_u32_e64 s1, s12, v7
	s_and_b32 s0, s0, s1
	s_delay_alu instid0(SALU_CYCLE_1)
	s_or_not1_b32 s1, s0, exec_lo
.LBB1_2691:                             ;   in Loop: Header=BB1_2687 Depth=2
	s_or_b32 exec_lo, exec_lo, s15
	s_delay_alu instid0(SALU_CYCLE_1) | instskip(NEXT) | instid1(SALU_CYCLE_1)
	s_and_b32 s0, exec_lo, s1
	s_or_b32 s7, s0, s7
	s_delay_alu instid0(SALU_CYCLE_1)
	s_and_not1_b32 exec_lo, exec_lo, s7
	s_cbranch_execnz .LBB1_2687
; %bb.2692:                             ;   in Loop: Header=BB1_2687 Depth=2
	s_or_b32 exec_lo, exec_lo, s7
	s_wait_loadcnt 0x0
	v_dual_mov_b32 v5, v6 :: v_dual_mov_b32 v14, 0
	s_mov_b32 s7, 0
	s_delay_alu instid0(VALU_DEP_1) | instskip(SKIP_1) | instid1(SALU_CYCLE_1)
	v_cmp_eq_u64_e64 s0, s[12:13], v[4:5]
	s_or_b32 s16, s0, s16
	s_and_not1_b32 exec_lo, exec_lo, s16
	s_cbranch_execnz .LBB1_2687
; %bb.2693:                             ;   in Loop: Header=BB1_1755 Depth=1
	s_or_b32 exec_lo, exec_lo, s16
	s_add_co_i32 s14, s6, 0x86
	v_lshl_add_u64 v[4:5], s[4:5], 4, v[12:13]
	s_mul_hi_u32 s0, s14, 0x10624dd3
	s_mov_b32 s16, 0
	s_lshr_b32 s4, s0, 6
	s_mov_b32 s17, s12
	s_mulk_i32 s4, 0x3e8
	s_or_b64 s[0:1], s[16:17], s[12:13]
	s_sub_co_i32 s4, s14, s4
	v_dual_mov_b32 v0, s0 :: v_dual_mov_b32 v1, s1
	s_lshl_b32 s0, s4, 12
	s_mov_b32 s1, s5
	v_dual_mov_b32 v3, s12 :: v_dual_mov_b32 v14, 0
	v_add_nc_u64_e32 v[8:9], s[0:1], v[10:11]
	s_lshl_b32 s4, s4, 8
	s_mov_b32 s15, s5
	s_mov_b32 s7, s16
	global_store_b128 v[4:5], v[0:3], off th:TH_STORE_NT
.LBB1_2694:                             ;   Parent Loop BB1_1755 Depth=1
                                        ; =>  This Inner Loop Header: Depth=2
	s_wait_loadcnt 0x0
	global_load_b128 v[4:7], v[8:9], off th:TH_LOAD_NT
	v_add_nc_u32_e32 v14, 1, v14
	s_mov_b32 s1, -1
	s_mov_b32 s12, -1
	s_mov_b32 s13, exec_lo
	s_wait_xcnt 0x0
	v_cmpx_eq_u32_e32 0xf4240, v14
	s_cbranch_execz .LBB1_2696
; %bb.2695:                             ;   in Loop: Header=BB1_2694 Depth=2
	s_wait_loadcnt 0x0
	s_wait_storecnt 0x0
	global_load_b32 v0, v2, s[10:11] scope:SCOPE_SYS
	s_wait_loadcnt 0x0
	global_inv scope:SCOPE_SYS
	v_mov_b32_e32 v14, 0
	v_cmp_eq_u32_e64 s0, 0, v0
	s_or_not1_b32 s12, s0, exec_lo
.LBB1_2696:                             ;   in Loop: Header=BB1_2694 Depth=2
	s_wait_xcnt 0x0
	s_or_b32 exec_lo, exec_lo, s13
	s_and_saveexec_b32 s13, s12
	s_cbranch_execz .LBB1_2698
; %bb.2697:                             ;   in Loop: Header=BB1_2694 Depth=2
	s_wait_loadcnt 0x0
	v_cmp_eq_u32_e64 s0, s14, v5
	v_cmp_eq_u32_e64 s1, s14, v7
	s_and_b32 s0, s0, s1
	s_delay_alu instid0(SALU_CYCLE_1)
	s_or_not1_b32 s1, s0, exec_lo
.LBB1_2698:                             ;   in Loop: Header=BB1_2694 Depth=2
	s_or_b32 exec_lo, exec_lo, s13
	s_delay_alu instid0(SALU_CYCLE_1) | instskip(NEXT) | instid1(SALU_CYCLE_1)
	s_and_b32 s0, exec_lo, s1
	s_or_b32 s7, s0, s7
	s_delay_alu instid0(SALU_CYCLE_1)
	s_and_not1_b32 exec_lo, exec_lo, s7
	s_cbranch_execnz .LBB1_2694
; %bb.2699:                             ;   in Loop: Header=BB1_2694 Depth=2
	s_or_b32 exec_lo, exec_lo, s7
	s_wait_loadcnt 0x0
	v_dual_mov_b32 v5, v6 :: v_dual_mov_b32 v14, 0
	s_mov_b32 s7, 0
	s_delay_alu instid0(VALU_DEP_1) | instskip(SKIP_1) | instid1(SALU_CYCLE_1)
	v_cmp_eq_u64_e64 s0, s[14:15], v[4:5]
	s_or_b32 s16, s0, s16
	s_and_not1_b32 exec_lo, exec_lo, s16
	s_cbranch_execnz .LBB1_2694
; %bb.2700:                             ;   in Loop: Header=BB1_1755 Depth=1
	s_or_b32 exec_lo, exec_lo, s16
	s_add_co_i32 s12, s6, 0x87
	v_lshl_add_u64 v[4:5], s[4:5], 4, v[12:13]
	s_mul_hi_u32 s0, s12, 0x10624dd3
	s_mov_b32 s16, 0
	s_lshr_b32 s4, s0, 6
	s_mov_b32 s17, s14
	s_mulk_i32 s4, 0x3e8
	s_or_b64 s[0:1], s[16:17], s[14:15]
	s_sub_co_i32 s4, s12, s4
	v_dual_mov_b32 v0, s0 :: v_dual_mov_b32 v1, s1
	s_lshl_b32 s0, s4, 12
	s_mov_b32 s1, s5
	v_dual_mov_b32 v3, s14 :: v_dual_mov_b32 v14, 0
	v_add_nc_u64_e32 v[8:9], s[0:1], v[10:11]
	s_lshl_b32 s4, s4, 8
	s_mov_b32 s13, s5
	s_mov_b32 s7, s16
	global_store_b128 v[4:5], v[0:3], off th:TH_STORE_NT
.LBB1_2701:                             ;   Parent Loop BB1_1755 Depth=1
                                        ; =>  This Inner Loop Header: Depth=2
	s_wait_loadcnt 0x0
	global_load_b128 v[4:7], v[8:9], off th:TH_LOAD_NT
	v_add_nc_u32_e32 v14, 1, v14
	s_mov_b32 s1, -1
	s_mov_b32 s14, -1
	s_mov_b32 s15, exec_lo
	s_wait_xcnt 0x0
	v_cmpx_eq_u32_e32 0xf4240, v14
	s_cbranch_execz .LBB1_2703
; %bb.2702:                             ;   in Loop: Header=BB1_2701 Depth=2
	s_wait_loadcnt 0x0
	s_wait_storecnt 0x0
	global_load_b32 v0, v2, s[10:11] scope:SCOPE_SYS
	s_wait_loadcnt 0x0
	global_inv scope:SCOPE_SYS
	v_mov_b32_e32 v14, 0
	v_cmp_eq_u32_e64 s0, 0, v0
	s_or_not1_b32 s14, s0, exec_lo
.LBB1_2703:                             ;   in Loop: Header=BB1_2701 Depth=2
	s_wait_xcnt 0x0
	s_or_b32 exec_lo, exec_lo, s15
	s_and_saveexec_b32 s15, s14
	s_cbranch_execz .LBB1_2705
; %bb.2704:                             ;   in Loop: Header=BB1_2701 Depth=2
	s_wait_loadcnt 0x0
	v_cmp_eq_u32_e64 s0, s12, v5
	v_cmp_eq_u32_e64 s1, s12, v7
	s_and_b32 s0, s0, s1
	s_delay_alu instid0(SALU_CYCLE_1)
	s_or_not1_b32 s1, s0, exec_lo
.LBB1_2705:                             ;   in Loop: Header=BB1_2701 Depth=2
	s_or_b32 exec_lo, exec_lo, s15
	s_delay_alu instid0(SALU_CYCLE_1) | instskip(NEXT) | instid1(SALU_CYCLE_1)
	s_and_b32 s0, exec_lo, s1
	s_or_b32 s7, s0, s7
	s_delay_alu instid0(SALU_CYCLE_1)
	s_and_not1_b32 exec_lo, exec_lo, s7
	s_cbranch_execnz .LBB1_2701
; %bb.2706:                             ;   in Loop: Header=BB1_2701 Depth=2
	s_or_b32 exec_lo, exec_lo, s7
	s_wait_loadcnt 0x0
	v_dual_mov_b32 v5, v6 :: v_dual_mov_b32 v14, 0
	s_mov_b32 s7, 0
	s_delay_alu instid0(VALU_DEP_1) | instskip(SKIP_1) | instid1(SALU_CYCLE_1)
	v_cmp_eq_u64_e64 s0, s[12:13], v[4:5]
	s_or_b32 s16, s0, s16
	s_and_not1_b32 exec_lo, exec_lo, s16
	s_cbranch_execnz .LBB1_2701
; %bb.2707:                             ;   in Loop: Header=BB1_1755 Depth=1
	s_or_b32 exec_lo, exec_lo, s16
	s_add_co_i32 s14, s6, 0x88
	v_lshl_add_u64 v[4:5], s[4:5], 4, v[12:13]
	s_mul_hi_u32 s0, s14, 0x10624dd3
	s_mov_b32 s16, 0
	s_lshr_b32 s4, s0, 6
	s_mov_b32 s17, s12
	s_mulk_i32 s4, 0x3e8
	s_or_b64 s[0:1], s[16:17], s[12:13]
	s_sub_co_i32 s4, s14, s4
	v_dual_mov_b32 v0, s0 :: v_dual_mov_b32 v1, s1
	s_lshl_b32 s0, s4, 12
	s_mov_b32 s1, s5
	v_dual_mov_b32 v3, s12 :: v_dual_mov_b32 v14, 0
	v_add_nc_u64_e32 v[8:9], s[0:1], v[10:11]
	s_lshl_b32 s4, s4, 8
	s_mov_b32 s15, s5
	s_mov_b32 s7, s16
	global_store_b128 v[4:5], v[0:3], off th:TH_STORE_NT
.LBB1_2708:                             ;   Parent Loop BB1_1755 Depth=1
                                        ; =>  This Inner Loop Header: Depth=2
	s_wait_loadcnt 0x0
	global_load_b128 v[4:7], v[8:9], off th:TH_LOAD_NT
	v_add_nc_u32_e32 v14, 1, v14
	s_mov_b32 s1, -1
	s_mov_b32 s12, -1
	s_mov_b32 s13, exec_lo
	s_wait_xcnt 0x0
	v_cmpx_eq_u32_e32 0xf4240, v14
	s_cbranch_execz .LBB1_2710
; %bb.2709:                             ;   in Loop: Header=BB1_2708 Depth=2
	s_wait_loadcnt 0x0
	s_wait_storecnt 0x0
	global_load_b32 v0, v2, s[10:11] scope:SCOPE_SYS
	s_wait_loadcnt 0x0
	global_inv scope:SCOPE_SYS
	v_mov_b32_e32 v14, 0
	v_cmp_eq_u32_e64 s0, 0, v0
	s_or_not1_b32 s12, s0, exec_lo
.LBB1_2710:                             ;   in Loop: Header=BB1_2708 Depth=2
	s_wait_xcnt 0x0
	s_or_b32 exec_lo, exec_lo, s13
	s_and_saveexec_b32 s13, s12
	s_cbranch_execz .LBB1_2712
; %bb.2711:                             ;   in Loop: Header=BB1_2708 Depth=2
	s_wait_loadcnt 0x0
	v_cmp_eq_u32_e64 s0, s14, v5
	v_cmp_eq_u32_e64 s1, s14, v7
	s_and_b32 s0, s0, s1
	s_delay_alu instid0(SALU_CYCLE_1)
	s_or_not1_b32 s1, s0, exec_lo
.LBB1_2712:                             ;   in Loop: Header=BB1_2708 Depth=2
	s_or_b32 exec_lo, exec_lo, s13
	s_delay_alu instid0(SALU_CYCLE_1) | instskip(NEXT) | instid1(SALU_CYCLE_1)
	s_and_b32 s0, exec_lo, s1
	s_or_b32 s7, s0, s7
	s_delay_alu instid0(SALU_CYCLE_1)
	s_and_not1_b32 exec_lo, exec_lo, s7
	s_cbranch_execnz .LBB1_2708
; %bb.2713:                             ;   in Loop: Header=BB1_2708 Depth=2
	s_or_b32 exec_lo, exec_lo, s7
	s_wait_loadcnt 0x0
	v_dual_mov_b32 v5, v6 :: v_dual_mov_b32 v14, 0
	s_mov_b32 s7, 0
	s_delay_alu instid0(VALU_DEP_1) | instskip(SKIP_1) | instid1(SALU_CYCLE_1)
	v_cmp_eq_u64_e64 s0, s[14:15], v[4:5]
	s_or_b32 s16, s0, s16
	s_and_not1_b32 exec_lo, exec_lo, s16
	s_cbranch_execnz .LBB1_2708
; %bb.2714:                             ;   in Loop: Header=BB1_1755 Depth=1
	s_or_b32 exec_lo, exec_lo, s16
	s_add_co_i32 s12, s6, 0x89
	v_lshl_add_u64 v[4:5], s[4:5], 4, v[12:13]
	s_mul_hi_u32 s0, s12, 0x10624dd3
	s_mov_b32 s16, 0
	s_lshr_b32 s4, s0, 6
	s_mov_b32 s17, s14
	s_mulk_i32 s4, 0x3e8
	s_or_b64 s[0:1], s[16:17], s[14:15]
	s_sub_co_i32 s4, s12, s4
	v_dual_mov_b32 v0, s0 :: v_dual_mov_b32 v1, s1
	s_lshl_b32 s0, s4, 12
	s_mov_b32 s1, s5
	v_dual_mov_b32 v3, s14 :: v_dual_mov_b32 v14, 0
	v_add_nc_u64_e32 v[8:9], s[0:1], v[10:11]
	s_lshl_b32 s4, s4, 8
	s_mov_b32 s13, s5
	s_mov_b32 s7, s16
	global_store_b128 v[4:5], v[0:3], off th:TH_STORE_NT
.LBB1_2715:                             ;   Parent Loop BB1_1755 Depth=1
                                        ; =>  This Inner Loop Header: Depth=2
	s_wait_loadcnt 0x0
	global_load_b128 v[4:7], v[8:9], off th:TH_LOAD_NT
	v_add_nc_u32_e32 v14, 1, v14
	s_mov_b32 s1, -1
	s_mov_b32 s14, -1
	s_mov_b32 s15, exec_lo
	s_wait_xcnt 0x0
	v_cmpx_eq_u32_e32 0xf4240, v14
	s_cbranch_execz .LBB1_2717
; %bb.2716:                             ;   in Loop: Header=BB1_2715 Depth=2
	s_wait_loadcnt 0x0
	s_wait_storecnt 0x0
	global_load_b32 v0, v2, s[10:11] scope:SCOPE_SYS
	s_wait_loadcnt 0x0
	global_inv scope:SCOPE_SYS
	v_mov_b32_e32 v14, 0
	v_cmp_eq_u32_e64 s0, 0, v0
	s_or_not1_b32 s14, s0, exec_lo
.LBB1_2717:                             ;   in Loop: Header=BB1_2715 Depth=2
	s_wait_xcnt 0x0
	s_or_b32 exec_lo, exec_lo, s15
	s_and_saveexec_b32 s15, s14
	s_cbranch_execz .LBB1_2719
; %bb.2718:                             ;   in Loop: Header=BB1_2715 Depth=2
	s_wait_loadcnt 0x0
	v_cmp_eq_u32_e64 s0, s12, v5
	v_cmp_eq_u32_e64 s1, s12, v7
	s_and_b32 s0, s0, s1
	s_delay_alu instid0(SALU_CYCLE_1)
	s_or_not1_b32 s1, s0, exec_lo
.LBB1_2719:                             ;   in Loop: Header=BB1_2715 Depth=2
	s_or_b32 exec_lo, exec_lo, s15
	s_delay_alu instid0(SALU_CYCLE_1) | instskip(NEXT) | instid1(SALU_CYCLE_1)
	s_and_b32 s0, exec_lo, s1
	s_or_b32 s7, s0, s7
	s_delay_alu instid0(SALU_CYCLE_1)
	s_and_not1_b32 exec_lo, exec_lo, s7
	s_cbranch_execnz .LBB1_2715
; %bb.2720:                             ;   in Loop: Header=BB1_2715 Depth=2
	s_or_b32 exec_lo, exec_lo, s7
	s_wait_loadcnt 0x0
	v_dual_mov_b32 v5, v6 :: v_dual_mov_b32 v14, 0
	s_mov_b32 s7, 0
	s_delay_alu instid0(VALU_DEP_1) | instskip(SKIP_1) | instid1(SALU_CYCLE_1)
	v_cmp_eq_u64_e64 s0, s[12:13], v[4:5]
	s_or_b32 s16, s0, s16
	s_and_not1_b32 exec_lo, exec_lo, s16
	s_cbranch_execnz .LBB1_2715
; %bb.2721:                             ;   in Loop: Header=BB1_1755 Depth=1
	s_or_b32 exec_lo, exec_lo, s16
	s_add_co_i32 s14, s6, 0x8a
	v_lshl_add_u64 v[4:5], s[4:5], 4, v[12:13]
	s_mul_hi_u32 s0, s14, 0x10624dd3
	s_mov_b32 s16, 0
	s_lshr_b32 s4, s0, 6
	s_mov_b32 s17, s12
	s_mulk_i32 s4, 0x3e8
	s_or_b64 s[0:1], s[16:17], s[12:13]
	s_sub_co_i32 s4, s14, s4
	v_dual_mov_b32 v0, s0 :: v_dual_mov_b32 v1, s1
	s_lshl_b32 s0, s4, 12
	s_mov_b32 s1, s5
	v_dual_mov_b32 v3, s12 :: v_dual_mov_b32 v14, 0
	v_add_nc_u64_e32 v[8:9], s[0:1], v[10:11]
	s_lshl_b32 s4, s4, 8
	s_mov_b32 s15, s5
	s_mov_b32 s7, s16
	global_store_b128 v[4:5], v[0:3], off th:TH_STORE_NT
.LBB1_2722:                             ;   Parent Loop BB1_1755 Depth=1
                                        ; =>  This Inner Loop Header: Depth=2
	s_wait_loadcnt 0x0
	global_load_b128 v[4:7], v[8:9], off th:TH_LOAD_NT
	v_add_nc_u32_e32 v14, 1, v14
	s_mov_b32 s1, -1
	s_mov_b32 s12, -1
	s_mov_b32 s13, exec_lo
	s_wait_xcnt 0x0
	v_cmpx_eq_u32_e32 0xf4240, v14
	s_cbranch_execz .LBB1_2724
; %bb.2723:                             ;   in Loop: Header=BB1_2722 Depth=2
	s_wait_loadcnt 0x0
	s_wait_storecnt 0x0
	global_load_b32 v0, v2, s[10:11] scope:SCOPE_SYS
	s_wait_loadcnt 0x0
	global_inv scope:SCOPE_SYS
	v_mov_b32_e32 v14, 0
	v_cmp_eq_u32_e64 s0, 0, v0
	s_or_not1_b32 s12, s0, exec_lo
.LBB1_2724:                             ;   in Loop: Header=BB1_2722 Depth=2
	s_wait_xcnt 0x0
	s_or_b32 exec_lo, exec_lo, s13
	s_and_saveexec_b32 s13, s12
	s_cbranch_execz .LBB1_2726
; %bb.2725:                             ;   in Loop: Header=BB1_2722 Depth=2
	s_wait_loadcnt 0x0
	v_cmp_eq_u32_e64 s0, s14, v5
	v_cmp_eq_u32_e64 s1, s14, v7
	s_and_b32 s0, s0, s1
	s_delay_alu instid0(SALU_CYCLE_1)
	s_or_not1_b32 s1, s0, exec_lo
.LBB1_2726:                             ;   in Loop: Header=BB1_2722 Depth=2
	s_or_b32 exec_lo, exec_lo, s13
	s_delay_alu instid0(SALU_CYCLE_1) | instskip(NEXT) | instid1(SALU_CYCLE_1)
	s_and_b32 s0, exec_lo, s1
	s_or_b32 s7, s0, s7
	s_delay_alu instid0(SALU_CYCLE_1)
	s_and_not1_b32 exec_lo, exec_lo, s7
	s_cbranch_execnz .LBB1_2722
; %bb.2727:                             ;   in Loop: Header=BB1_2722 Depth=2
	s_or_b32 exec_lo, exec_lo, s7
	s_wait_loadcnt 0x0
	v_dual_mov_b32 v5, v6 :: v_dual_mov_b32 v14, 0
	s_mov_b32 s7, 0
	s_delay_alu instid0(VALU_DEP_1) | instskip(SKIP_1) | instid1(SALU_CYCLE_1)
	v_cmp_eq_u64_e64 s0, s[14:15], v[4:5]
	s_or_b32 s16, s0, s16
	s_and_not1_b32 exec_lo, exec_lo, s16
	s_cbranch_execnz .LBB1_2722
; %bb.2728:                             ;   in Loop: Header=BB1_1755 Depth=1
	s_or_b32 exec_lo, exec_lo, s16
	s_add_co_i32 s12, s6, 0x8b
	v_lshl_add_u64 v[4:5], s[4:5], 4, v[12:13]
	s_mul_hi_u32 s0, s12, 0x10624dd3
	s_mov_b32 s16, 0
	s_lshr_b32 s4, s0, 6
	s_mov_b32 s17, s14
	s_mulk_i32 s4, 0x3e8
	s_or_b64 s[0:1], s[16:17], s[14:15]
	s_sub_co_i32 s4, s12, s4
	v_dual_mov_b32 v0, s0 :: v_dual_mov_b32 v1, s1
	s_lshl_b32 s0, s4, 12
	s_mov_b32 s1, s5
	v_dual_mov_b32 v3, s14 :: v_dual_mov_b32 v14, 0
	v_add_nc_u64_e32 v[8:9], s[0:1], v[10:11]
	s_lshl_b32 s4, s4, 8
	s_mov_b32 s13, s5
	s_mov_b32 s7, s16
	global_store_b128 v[4:5], v[0:3], off th:TH_STORE_NT
.LBB1_2729:                             ;   Parent Loop BB1_1755 Depth=1
                                        ; =>  This Inner Loop Header: Depth=2
	s_wait_loadcnt 0x0
	global_load_b128 v[4:7], v[8:9], off th:TH_LOAD_NT
	v_add_nc_u32_e32 v14, 1, v14
	s_mov_b32 s1, -1
	s_mov_b32 s14, -1
	s_mov_b32 s15, exec_lo
	s_wait_xcnt 0x0
	v_cmpx_eq_u32_e32 0xf4240, v14
	s_cbranch_execz .LBB1_2731
; %bb.2730:                             ;   in Loop: Header=BB1_2729 Depth=2
	s_wait_loadcnt 0x0
	s_wait_storecnt 0x0
	global_load_b32 v0, v2, s[10:11] scope:SCOPE_SYS
	s_wait_loadcnt 0x0
	global_inv scope:SCOPE_SYS
	v_mov_b32_e32 v14, 0
	v_cmp_eq_u32_e64 s0, 0, v0
	s_or_not1_b32 s14, s0, exec_lo
.LBB1_2731:                             ;   in Loop: Header=BB1_2729 Depth=2
	s_wait_xcnt 0x0
	s_or_b32 exec_lo, exec_lo, s15
	s_and_saveexec_b32 s15, s14
	s_cbranch_execz .LBB1_2733
; %bb.2732:                             ;   in Loop: Header=BB1_2729 Depth=2
	s_wait_loadcnt 0x0
	v_cmp_eq_u32_e64 s0, s12, v5
	v_cmp_eq_u32_e64 s1, s12, v7
	s_and_b32 s0, s0, s1
	s_delay_alu instid0(SALU_CYCLE_1)
	s_or_not1_b32 s1, s0, exec_lo
.LBB1_2733:                             ;   in Loop: Header=BB1_2729 Depth=2
	s_or_b32 exec_lo, exec_lo, s15
	s_delay_alu instid0(SALU_CYCLE_1) | instskip(NEXT) | instid1(SALU_CYCLE_1)
	s_and_b32 s0, exec_lo, s1
	s_or_b32 s7, s0, s7
	s_delay_alu instid0(SALU_CYCLE_1)
	s_and_not1_b32 exec_lo, exec_lo, s7
	s_cbranch_execnz .LBB1_2729
; %bb.2734:                             ;   in Loop: Header=BB1_2729 Depth=2
	s_or_b32 exec_lo, exec_lo, s7
	s_wait_loadcnt 0x0
	v_dual_mov_b32 v5, v6 :: v_dual_mov_b32 v14, 0
	s_mov_b32 s7, 0
	s_delay_alu instid0(VALU_DEP_1) | instskip(SKIP_1) | instid1(SALU_CYCLE_1)
	v_cmp_eq_u64_e64 s0, s[12:13], v[4:5]
	s_or_b32 s16, s0, s16
	s_and_not1_b32 exec_lo, exec_lo, s16
	s_cbranch_execnz .LBB1_2729
; %bb.2735:                             ;   in Loop: Header=BB1_1755 Depth=1
	s_or_b32 exec_lo, exec_lo, s16
	s_add_co_i32 s14, s6, 0x8c
	v_lshl_add_u64 v[4:5], s[4:5], 4, v[12:13]
	s_mul_hi_u32 s0, s14, 0x10624dd3
	s_mov_b32 s16, 0
	s_lshr_b32 s4, s0, 6
	s_mov_b32 s17, s12
	s_mulk_i32 s4, 0x3e8
	s_or_b64 s[0:1], s[16:17], s[12:13]
	s_sub_co_i32 s4, s14, s4
	v_dual_mov_b32 v0, s0 :: v_dual_mov_b32 v1, s1
	s_lshl_b32 s0, s4, 12
	s_mov_b32 s1, s5
	v_dual_mov_b32 v3, s12 :: v_dual_mov_b32 v14, 0
	v_add_nc_u64_e32 v[8:9], s[0:1], v[10:11]
	s_lshl_b32 s4, s4, 8
	s_mov_b32 s15, s5
	s_mov_b32 s7, s16
	global_store_b128 v[4:5], v[0:3], off th:TH_STORE_NT
.LBB1_2736:                             ;   Parent Loop BB1_1755 Depth=1
                                        ; =>  This Inner Loop Header: Depth=2
	s_wait_loadcnt 0x0
	global_load_b128 v[4:7], v[8:9], off th:TH_LOAD_NT
	v_add_nc_u32_e32 v14, 1, v14
	s_mov_b32 s1, -1
	s_mov_b32 s12, -1
	s_mov_b32 s13, exec_lo
	s_wait_xcnt 0x0
	v_cmpx_eq_u32_e32 0xf4240, v14
	s_cbranch_execz .LBB1_2738
; %bb.2737:                             ;   in Loop: Header=BB1_2736 Depth=2
	s_wait_loadcnt 0x0
	s_wait_storecnt 0x0
	global_load_b32 v0, v2, s[10:11] scope:SCOPE_SYS
	s_wait_loadcnt 0x0
	global_inv scope:SCOPE_SYS
	v_mov_b32_e32 v14, 0
	v_cmp_eq_u32_e64 s0, 0, v0
	s_or_not1_b32 s12, s0, exec_lo
.LBB1_2738:                             ;   in Loop: Header=BB1_2736 Depth=2
	s_wait_xcnt 0x0
	s_or_b32 exec_lo, exec_lo, s13
	s_and_saveexec_b32 s13, s12
	s_cbranch_execz .LBB1_2740
; %bb.2739:                             ;   in Loop: Header=BB1_2736 Depth=2
	s_wait_loadcnt 0x0
	v_cmp_eq_u32_e64 s0, s14, v5
	v_cmp_eq_u32_e64 s1, s14, v7
	s_and_b32 s0, s0, s1
	s_delay_alu instid0(SALU_CYCLE_1)
	s_or_not1_b32 s1, s0, exec_lo
.LBB1_2740:                             ;   in Loop: Header=BB1_2736 Depth=2
	s_or_b32 exec_lo, exec_lo, s13
	s_delay_alu instid0(SALU_CYCLE_1) | instskip(NEXT) | instid1(SALU_CYCLE_1)
	s_and_b32 s0, exec_lo, s1
	s_or_b32 s7, s0, s7
	s_delay_alu instid0(SALU_CYCLE_1)
	s_and_not1_b32 exec_lo, exec_lo, s7
	s_cbranch_execnz .LBB1_2736
; %bb.2741:                             ;   in Loop: Header=BB1_2736 Depth=2
	s_or_b32 exec_lo, exec_lo, s7
	s_wait_loadcnt 0x0
	v_dual_mov_b32 v5, v6 :: v_dual_mov_b32 v14, 0
	s_mov_b32 s7, 0
	s_delay_alu instid0(VALU_DEP_1) | instskip(SKIP_1) | instid1(SALU_CYCLE_1)
	v_cmp_eq_u64_e64 s0, s[14:15], v[4:5]
	s_or_b32 s16, s0, s16
	s_and_not1_b32 exec_lo, exec_lo, s16
	s_cbranch_execnz .LBB1_2736
; %bb.2742:                             ;   in Loop: Header=BB1_1755 Depth=1
	s_or_b32 exec_lo, exec_lo, s16
	s_add_co_i32 s12, s6, 0x8d
	v_lshl_add_u64 v[4:5], s[4:5], 4, v[12:13]
	s_mul_hi_u32 s0, s12, 0x10624dd3
	s_mov_b32 s16, 0
	s_lshr_b32 s4, s0, 6
	s_mov_b32 s17, s14
	s_mulk_i32 s4, 0x3e8
	s_or_b64 s[0:1], s[16:17], s[14:15]
	s_sub_co_i32 s4, s12, s4
	v_dual_mov_b32 v0, s0 :: v_dual_mov_b32 v1, s1
	s_lshl_b32 s0, s4, 12
	s_mov_b32 s1, s5
	v_dual_mov_b32 v3, s14 :: v_dual_mov_b32 v14, 0
	v_add_nc_u64_e32 v[8:9], s[0:1], v[10:11]
	s_lshl_b32 s4, s4, 8
	s_mov_b32 s13, s5
	s_mov_b32 s7, s16
	global_store_b128 v[4:5], v[0:3], off th:TH_STORE_NT
.LBB1_2743:                             ;   Parent Loop BB1_1755 Depth=1
                                        ; =>  This Inner Loop Header: Depth=2
	s_wait_loadcnt 0x0
	global_load_b128 v[4:7], v[8:9], off th:TH_LOAD_NT
	v_add_nc_u32_e32 v14, 1, v14
	s_mov_b32 s1, -1
	s_mov_b32 s14, -1
	s_mov_b32 s15, exec_lo
	s_wait_xcnt 0x0
	v_cmpx_eq_u32_e32 0xf4240, v14
	s_cbranch_execz .LBB1_2745
; %bb.2744:                             ;   in Loop: Header=BB1_2743 Depth=2
	s_wait_loadcnt 0x0
	s_wait_storecnt 0x0
	global_load_b32 v0, v2, s[10:11] scope:SCOPE_SYS
	s_wait_loadcnt 0x0
	global_inv scope:SCOPE_SYS
	v_mov_b32_e32 v14, 0
	v_cmp_eq_u32_e64 s0, 0, v0
	s_or_not1_b32 s14, s0, exec_lo
.LBB1_2745:                             ;   in Loop: Header=BB1_2743 Depth=2
	s_wait_xcnt 0x0
	s_or_b32 exec_lo, exec_lo, s15
	s_and_saveexec_b32 s15, s14
	s_cbranch_execz .LBB1_2747
; %bb.2746:                             ;   in Loop: Header=BB1_2743 Depth=2
	s_wait_loadcnt 0x0
	v_cmp_eq_u32_e64 s0, s12, v5
	v_cmp_eq_u32_e64 s1, s12, v7
	s_and_b32 s0, s0, s1
	s_delay_alu instid0(SALU_CYCLE_1)
	s_or_not1_b32 s1, s0, exec_lo
.LBB1_2747:                             ;   in Loop: Header=BB1_2743 Depth=2
	s_or_b32 exec_lo, exec_lo, s15
	s_delay_alu instid0(SALU_CYCLE_1) | instskip(NEXT) | instid1(SALU_CYCLE_1)
	s_and_b32 s0, exec_lo, s1
	s_or_b32 s7, s0, s7
	s_delay_alu instid0(SALU_CYCLE_1)
	s_and_not1_b32 exec_lo, exec_lo, s7
	s_cbranch_execnz .LBB1_2743
; %bb.2748:                             ;   in Loop: Header=BB1_2743 Depth=2
	s_or_b32 exec_lo, exec_lo, s7
	s_wait_loadcnt 0x0
	v_dual_mov_b32 v5, v6 :: v_dual_mov_b32 v14, 0
	s_mov_b32 s7, 0
	s_delay_alu instid0(VALU_DEP_1) | instskip(SKIP_1) | instid1(SALU_CYCLE_1)
	v_cmp_eq_u64_e64 s0, s[12:13], v[4:5]
	s_or_b32 s16, s0, s16
	s_and_not1_b32 exec_lo, exec_lo, s16
	s_cbranch_execnz .LBB1_2743
; %bb.2749:                             ;   in Loop: Header=BB1_1755 Depth=1
	s_or_b32 exec_lo, exec_lo, s16
	s_add_co_i32 s14, s6, 0x8e
	v_lshl_add_u64 v[4:5], s[4:5], 4, v[12:13]
	s_mul_hi_u32 s0, s14, 0x10624dd3
	s_mov_b32 s16, 0
	s_lshr_b32 s4, s0, 6
	s_mov_b32 s17, s12
	s_mulk_i32 s4, 0x3e8
	s_or_b64 s[0:1], s[16:17], s[12:13]
	s_sub_co_i32 s4, s14, s4
	v_dual_mov_b32 v0, s0 :: v_dual_mov_b32 v1, s1
	s_lshl_b32 s0, s4, 12
	s_mov_b32 s1, s5
	v_dual_mov_b32 v3, s12 :: v_dual_mov_b32 v14, 0
	v_add_nc_u64_e32 v[8:9], s[0:1], v[10:11]
	s_lshl_b32 s4, s4, 8
	s_mov_b32 s15, s5
	s_mov_b32 s7, s16
	global_store_b128 v[4:5], v[0:3], off th:TH_STORE_NT
.LBB1_2750:                             ;   Parent Loop BB1_1755 Depth=1
                                        ; =>  This Inner Loop Header: Depth=2
	s_wait_loadcnt 0x0
	global_load_b128 v[4:7], v[8:9], off th:TH_LOAD_NT
	v_add_nc_u32_e32 v14, 1, v14
	s_mov_b32 s1, -1
	s_mov_b32 s12, -1
	s_mov_b32 s13, exec_lo
	s_wait_xcnt 0x0
	v_cmpx_eq_u32_e32 0xf4240, v14
	s_cbranch_execz .LBB1_2752
; %bb.2751:                             ;   in Loop: Header=BB1_2750 Depth=2
	s_wait_loadcnt 0x0
	s_wait_storecnt 0x0
	global_load_b32 v0, v2, s[10:11] scope:SCOPE_SYS
	s_wait_loadcnt 0x0
	global_inv scope:SCOPE_SYS
	v_mov_b32_e32 v14, 0
	v_cmp_eq_u32_e64 s0, 0, v0
	s_or_not1_b32 s12, s0, exec_lo
.LBB1_2752:                             ;   in Loop: Header=BB1_2750 Depth=2
	s_wait_xcnt 0x0
	s_or_b32 exec_lo, exec_lo, s13
	s_and_saveexec_b32 s13, s12
	s_cbranch_execz .LBB1_2754
; %bb.2753:                             ;   in Loop: Header=BB1_2750 Depth=2
	s_wait_loadcnt 0x0
	v_cmp_eq_u32_e64 s0, s14, v5
	v_cmp_eq_u32_e64 s1, s14, v7
	s_and_b32 s0, s0, s1
	s_delay_alu instid0(SALU_CYCLE_1)
	s_or_not1_b32 s1, s0, exec_lo
.LBB1_2754:                             ;   in Loop: Header=BB1_2750 Depth=2
	s_or_b32 exec_lo, exec_lo, s13
	s_delay_alu instid0(SALU_CYCLE_1) | instskip(NEXT) | instid1(SALU_CYCLE_1)
	s_and_b32 s0, exec_lo, s1
	s_or_b32 s7, s0, s7
	s_delay_alu instid0(SALU_CYCLE_1)
	s_and_not1_b32 exec_lo, exec_lo, s7
	s_cbranch_execnz .LBB1_2750
; %bb.2755:                             ;   in Loop: Header=BB1_2750 Depth=2
	s_or_b32 exec_lo, exec_lo, s7
	s_wait_loadcnt 0x0
	v_dual_mov_b32 v5, v6 :: v_dual_mov_b32 v14, 0
	s_mov_b32 s7, 0
	s_delay_alu instid0(VALU_DEP_1) | instskip(SKIP_1) | instid1(SALU_CYCLE_1)
	v_cmp_eq_u64_e64 s0, s[14:15], v[4:5]
	s_or_b32 s16, s0, s16
	s_and_not1_b32 exec_lo, exec_lo, s16
	s_cbranch_execnz .LBB1_2750
; %bb.2756:                             ;   in Loop: Header=BB1_1755 Depth=1
	s_or_b32 exec_lo, exec_lo, s16
	s_add_co_i32 s12, s6, 0x8f
	v_lshl_add_u64 v[4:5], s[4:5], 4, v[12:13]
	s_mul_hi_u32 s0, s12, 0x10624dd3
	s_mov_b32 s16, 0
	s_lshr_b32 s4, s0, 6
	s_mov_b32 s17, s14
	s_mulk_i32 s4, 0x3e8
	s_or_b64 s[0:1], s[16:17], s[14:15]
	s_sub_co_i32 s4, s12, s4
	v_dual_mov_b32 v0, s0 :: v_dual_mov_b32 v1, s1
	s_lshl_b32 s0, s4, 12
	s_mov_b32 s1, s5
	v_dual_mov_b32 v3, s14 :: v_dual_mov_b32 v14, 0
	v_add_nc_u64_e32 v[8:9], s[0:1], v[10:11]
	s_lshl_b32 s4, s4, 8
	s_mov_b32 s13, s5
	s_mov_b32 s7, s16
	global_store_b128 v[4:5], v[0:3], off th:TH_STORE_NT
.LBB1_2757:                             ;   Parent Loop BB1_1755 Depth=1
                                        ; =>  This Inner Loop Header: Depth=2
	s_wait_loadcnt 0x0
	global_load_b128 v[4:7], v[8:9], off th:TH_LOAD_NT
	v_add_nc_u32_e32 v14, 1, v14
	s_mov_b32 s1, -1
	s_mov_b32 s14, -1
	s_mov_b32 s15, exec_lo
	s_wait_xcnt 0x0
	v_cmpx_eq_u32_e32 0xf4240, v14
	s_cbranch_execz .LBB1_2759
; %bb.2758:                             ;   in Loop: Header=BB1_2757 Depth=2
	s_wait_loadcnt 0x0
	s_wait_storecnt 0x0
	global_load_b32 v0, v2, s[10:11] scope:SCOPE_SYS
	s_wait_loadcnt 0x0
	global_inv scope:SCOPE_SYS
	v_mov_b32_e32 v14, 0
	v_cmp_eq_u32_e64 s0, 0, v0
	s_or_not1_b32 s14, s0, exec_lo
.LBB1_2759:                             ;   in Loop: Header=BB1_2757 Depth=2
	s_wait_xcnt 0x0
	s_or_b32 exec_lo, exec_lo, s15
	s_and_saveexec_b32 s15, s14
	s_cbranch_execz .LBB1_2761
; %bb.2760:                             ;   in Loop: Header=BB1_2757 Depth=2
	s_wait_loadcnt 0x0
	v_cmp_eq_u32_e64 s0, s12, v5
	v_cmp_eq_u32_e64 s1, s12, v7
	s_and_b32 s0, s0, s1
	s_delay_alu instid0(SALU_CYCLE_1)
	s_or_not1_b32 s1, s0, exec_lo
.LBB1_2761:                             ;   in Loop: Header=BB1_2757 Depth=2
	s_or_b32 exec_lo, exec_lo, s15
	s_delay_alu instid0(SALU_CYCLE_1) | instskip(NEXT) | instid1(SALU_CYCLE_1)
	s_and_b32 s0, exec_lo, s1
	s_or_b32 s7, s0, s7
	s_delay_alu instid0(SALU_CYCLE_1)
	s_and_not1_b32 exec_lo, exec_lo, s7
	s_cbranch_execnz .LBB1_2757
; %bb.2762:                             ;   in Loop: Header=BB1_2757 Depth=2
	s_or_b32 exec_lo, exec_lo, s7
	s_wait_loadcnt 0x0
	v_dual_mov_b32 v5, v6 :: v_dual_mov_b32 v14, 0
	s_mov_b32 s7, 0
	s_delay_alu instid0(VALU_DEP_1) | instskip(SKIP_1) | instid1(SALU_CYCLE_1)
	v_cmp_eq_u64_e64 s0, s[12:13], v[4:5]
	s_or_b32 s16, s0, s16
	s_and_not1_b32 exec_lo, exec_lo, s16
	s_cbranch_execnz .LBB1_2757
; %bb.2763:                             ;   in Loop: Header=BB1_1755 Depth=1
	s_or_b32 exec_lo, exec_lo, s16
	s_add_co_i32 s14, s6, 0x90
	v_lshl_add_u64 v[4:5], s[4:5], 4, v[12:13]
	s_mul_hi_u32 s0, s14, 0x10624dd3
	s_mov_b32 s16, 0
	s_lshr_b32 s4, s0, 6
	s_mov_b32 s17, s12
	s_mulk_i32 s4, 0x3e8
	s_or_b64 s[0:1], s[16:17], s[12:13]
	s_sub_co_i32 s4, s14, s4
	v_dual_mov_b32 v0, s0 :: v_dual_mov_b32 v1, s1
	s_lshl_b32 s0, s4, 12
	s_mov_b32 s1, s5
	v_dual_mov_b32 v3, s12 :: v_dual_mov_b32 v14, 0
	v_add_nc_u64_e32 v[8:9], s[0:1], v[10:11]
	s_lshl_b32 s4, s4, 8
	s_mov_b32 s15, s5
	s_mov_b32 s7, s16
	global_store_b128 v[4:5], v[0:3], off th:TH_STORE_NT
.LBB1_2764:                             ;   Parent Loop BB1_1755 Depth=1
                                        ; =>  This Inner Loop Header: Depth=2
	s_wait_loadcnt 0x0
	global_load_b128 v[4:7], v[8:9], off th:TH_LOAD_NT
	v_add_nc_u32_e32 v14, 1, v14
	s_mov_b32 s1, -1
	s_mov_b32 s12, -1
	s_mov_b32 s13, exec_lo
	s_wait_xcnt 0x0
	v_cmpx_eq_u32_e32 0xf4240, v14
	s_cbranch_execz .LBB1_2766
; %bb.2765:                             ;   in Loop: Header=BB1_2764 Depth=2
	s_wait_loadcnt 0x0
	s_wait_storecnt 0x0
	global_load_b32 v0, v2, s[10:11] scope:SCOPE_SYS
	s_wait_loadcnt 0x0
	global_inv scope:SCOPE_SYS
	v_mov_b32_e32 v14, 0
	v_cmp_eq_u32_e64 s0, 0, v0
	s_or_not1_b32 s12, s0, exec_lo
.LBB1_2766:                             ;   in Loop: Header=BB1_2764 Depth=2
	s_wait_xcnt 0x0
	s_or_b32 exec_lo, exec_lo, s13
	s_and_saveexec_b32 s13, s12
	s_cbranch_execz .LBB1_2768
; %bb.2767:                             ;   in Loop: Header=BB1_2764 Depth=2
	s_wait_loadcnt 0x0
	v_cmp_eq_u32_e64 s0, s14, v5
	v_cmp_eq_u32_e64 s1, s14, v7
	s_and_b32 s0, s0, s1
	s_delay_alu instid0(SALU_CYCLE_1)
	s_or_not1_b32 s1, s0, exec_lo
.LBB1_2768:                             ;   in Loop: Header=BB1_2764 Depth=2
	s_or_b32 exec_lo, exec_lo, s13
	s_delay_alu instid0(SALU_CYCLE_1) | instskip(NEXT) | instid1(SALU_CYCLE_1)
	s_and_b32 s0, exec_lo, s1
	s_or_b32 s7, s0, s7
	s_delay_alu instid0(SALU_CYCLE_1)
	s_and_not1_b32 exec_lo, exec_lo, s7
	s_cbranch_execnz .LBB1_2764
; %bb.2769:                             ;   in Loop: Header=BB1_2764 Depth=2
	s_or_b32 exec_lo, exec_lo, s7
	s_wait_loadcnt 0x0
	v_dual_mov_b32 v5, v6 :: v_dual_mov_b32 v14, 0
	s_mov_b32 s7, 0
	s_delay_alu instid0(VALU_DEP_1) | instskip(SKIP_1) | instid1(SALU_CYCLE_1)
	v_cmp_eq_u64_e64 s0, s[14:15], v[4:5]
	s_or_b32 s16, s0, s16
	s_and_not1_b32 exec_lo, exec_lo, s16
	s_cbranch_execnz .LBB1_2764
; %bb.2770:                             ;   in Loop: Header=BB1_1755 Depth=1
	s_or_b32 exec_lo, exec_lo, s16
	s_add_co_i32 s12, s6, 0x91
	v_lshl_add_u64 v[4:5], s[4:5], 4, v[12:13]
	s_mul_hi_u32 s0, s12, 0x10624dd3
	s_mov_b32 s16, 0
	s_lshr_b32 s4, s0, 6
	s_mov_b32 s17, s14
	s_mulk_i32 s4, 0x3e8
	s_or_b64 s[0:1], s[16:17], s[14:15]
	s_sub_co_i32 s4, s12, s4
	v_dual_mov_b32 v0, s0 :: v_dual_mov_b32 v1, s1
	s_lshl_b32 s0, s4, 12
	s_mov_b32 s1, s5
	v_dual_mov_b32 v3, s14 :: v_dual_mov_b32 v14, 0
	v_add_nc_u64_e32 v[8:9], s[0:1], v[10:11]
	s_lshl_b32 s4, s4, 8
	s_mov_b32 s13, s5
	s_mov_b32 s7, s16
	global_store_b128 v[4:5], v[0:3], off th:TH_STORE_NT
.LBB1_2771:                             ;   Parent Loop BB1_1755 Depth=1
                                        ; =>  This Inner Loop Header: Depth=2
	s_wait_loadcnt 0x0
	global_load_b128 v[4:7], v[8:9], off th:TH_LOAD_NT
	v_add_nc_u32_e32 v14, 1, v14
	s_mov_b32 s1, -1
	s_mov_b32 s14, -1
	s_mov_b32 s15, exec_lo
	s_wait_xcnt 0x0
	v_cmpx_eq_u32_e32 0xf4240, v14
	s_cbranch_execz .LBB1_2773
; %bb.2772:                             ;   in Loop: Header=BB1_2771 Depth=2
	s_wait_loadcnt 0x0
	s_wait_storecnt 0x0
	global_load_b32 v0, v2, s[10:11] scope:SCOPE_SYS
	s_wait_loadcnt 0x0
	global_inv scope:SCOPE_SYS
	v_mov_b32_e32 v14, 0
	v_cmp_eq_u32_e64 s0, 0, v0
	s_or_not1_b32 s14, s0, exec_lo
.LBB1_2773:                             ;   in Loop: Header=BB1_2771 Depth=2
	s_wait_xcnt 0x0
	s_or_b32 exec_lo, exec_lo, s15
	s_and_saveexec_b32 s15, s14
	s_cbranch_execz .LBB1_2775
; %bb.2774:                             ;   in Loop: Header=BB1_2771 Depth=2
	s_wait_loadcnt 0x0
	v_cmp_eq_u32_e64 s0, s12, v5
	v_cmp_eq_u32_e64 s1, s12, v7
	s_and_b32 s0, s0, s1
	s_delay_alu instid0(SALU_CYCLE_1)
	s_or_not1_b32 s1, s0, exec_lo
.LBB1_2775:                             ;   in Loop: Header=BB1_2771 Depth=2
	s_or_b32 exec_lo, exec_lo, s15
	s_delay_alu instid0(SALU_CYCLE_1) | instskip(NEXT) | instid1(SALU_CYCLE_1)
	s_and_b32 s0, exec_lo, s1
	s_or_b32 s7, s0, s7
	s_delay_alu instid0(SALU_CYCLE_1)
	s_and_not1_b32 exec_lo, exec_lo, s7
	s_cbranch_execnz .LBB1_2771
; %bb.2776:                             ;   in Loop: Header=BB1_2771 Depth=2
	s_or_b32 exec_lo, exec_lo, s7
	s_wait_loadcnt 0x0
	v_dual_mov_b32 v5, v6 :: v_dual_mov_b32 v14, 0
	s_mov_b32 s7, 0
	s_delay_alu instid0(VALU_DEP_1) | instskip(SKIP_1) | instid1(SALU_CYCLE_1)
	v_cmp_eq_u64_e64 s0, s[12:13], v[4:5]
	s_or_b32 s16, s0, s16
	s_and_not1_b32 exec_lo, exec_lo, s16
	s_cbranch_execnz .LBB1_2771
; %bb.2777:                             ;   in Loop: Header=BB1_1755 Depth=1
	s_or_b32 exec_lo, exec_lo, s16
	s_add_co_i32 s14, s6, 0x92
	v_lshl_add_u64 v[4:5], s[4:5], 4, v[12:13]
	s_mul_hi_u32 s0, s14, 0x10624dd3
	s_mov_b32 s16, 0
	s_lshr_b32 s4, s0, 6
	s_mov_b32 s17, s12
	s_mulk_i32 s4, 0x3e8
	s_or_b64 s[0:1], s[16:17], s[12:13]
	s_sub_co_i32 s4, s14, s4
	v_dual_mov_b32 v0, s0 :: v_dual_mov_b32 v1, s1
	s_lshl_b32 s0, s4, 12
	s_mov_b32 s1, s5
	v_dual_mov_b32 v3, s12 :: v_dual_mov_b32 v14, 0
	v_add_nc_u64_e32 v[8:9], s[0:1], v[10:11]
	s_lshl_b32 s4, s4, 8
	s_mov_b32 s15, s5
	s_mov_b32 s7, s16
	global_store_b128 v[4:5], v[0:3], off th:TH_STORE_NT
.LBB1_2778:                             ;   Parent Loop BB1_1755 Depth=1
                                        ; =>  This Inner Loop Header: Depth=2
	s_wait_loadcnt 0x0
	global_load_b128 v[4:7], v[8:9], off th:TH_LOAD_NT
	v_add_nc_u32_e32 v14, 1, v14
	s_mov_b32 s1, -1
	s_mov_b32 s12, -1
	s_mov_b32 s13, exec_lo
	s_wait_xcnt 0x0
	v_cmpx_eq_u32_e32 0xf4240, v14
	s_cbranch_execz .LBB1_2780
; %bb.2779:                             ;   in Loop: Header=BB1_2778 Depth=2
	s_wait_loadcnt 0x0
	s_wait_storecnt 0x0
	global_load_b32 v0, v2, s[10:11] scope:SCOPE_SYS
	s_wait_loadcnt 0x0
	global_inv scope:SCOPE_SYS
	v_mov_b32_e32 v14, 0
	v_cmp_eq_u32_e64 s0, 0, v0
	s_or_not1_b32 s12, s0, exec_lo
.LBB1_2780:                             ;   in Loop: Header=BB1_2778 Depth=2
	s_wait_xcnt 0x0
	s_or_b32 exec_lo, exec_lo, s13
	s_and_saveexec_b32 s13, s12
	s_cbranch_execz .LBB1_2782
; %bb.2781:                             ;   in Loop: Header=BB1_2778 Depth=2
	s_wait_loadcnt 0x0
	v_cmp_eq_u32_e64 s0, s14, v5
	v_cmp_eq_u32_e64 s1, s14, v7
	s_and_b32 s0, s0, s1
	s_delay_alu instid0(SALU_CYCLE_1)
	s_or_not1_b32 s1, s0, exec_lo
.LBB1_2782:                             ;   in Loop: Header=BB1_2778 Depth=2
	s_or_b32 exec_lo, exec_lo, s13
	s_delay_alu instid0(SALU_CYCLE_1) | instskip(NEXT) | instid1(SALU_CYCLE_1)
	s_and_b32 s0, exec_lo, s1
	s_or_b32 s7, s0, s7
	s_delay_alu instid0(SALU_CYCLE_1)
	s_and_not1_b32 exec_lo, exec_lo, s7
	s_cbranch_execnz .LBB1_2778
; %bb.2783:                             ;   in Loop: Header=BB1_2778 Depth=2
	s_or_b32 exec_lo, exec_lo, s7
	s_wait_loadcnt 0x0
	v_dual_mov_b32 v5, v6 :: v_dual_mov_b32 v14, 0
	s_mov_b32 s7, 0
	s_delay_alu instid0(VALU_DEP_1) | instskip(SKIP_1) | instid1(SALU_CYCLE_1)
	v_cmp_eq_u64_e64 s0, s[14:15], v[4:5]
	s_or_b32 s16, s0, s16
	s_and_not1_b32 exec_lo, exec_lo, s16
	s_cbranch_execnz .LBB1_2778
; %bb.2784:                             ;   in Loop: Header=BB1_1755 Depth=1
	s_or_b32 exec_lo, exec_lo, s16
	s_add_co_i32 s12, s6, 0x93
	v_lshl_add_u64 v[4:5], s[4:5], 4, v[12:13]
	s_mul_hi_u32 s0, s12, 0x10624dd3
	s_mov_b32 s16, 0
	s_lshr_b32 s4, s0, 6
	s_mov_b32 s17, s14
	s_mulk_i32 s4, 0x3e8
	s_or_b64 s[0:1], s[16:17], s[14:15]
	s_sub_co_i32 s4, s12, s4
	v_dual_mov_b32 v0, s0 :: v_dual_mov_b32 v1, s1
	s_lshl_b32 s0, s4, 12
	s_mov_b32 s1, s5
	v_dual_mov_b32 v3, s14 :: v_dual_mov_b32 v14, 0
	v_add_nc_u64_e32 v[8:9], s[0:1], v[10:11]
	s_lshl_b32 s4, s4, 8
	s_mov_b32 s13, s5
	s_mov_b32 s7, s16
	global_store_b128 v[4:5], v[0:3], off th:TH_STORE_NT
.LBB1_2785:                             ;   Parent Loop BB1_1755 Depth=1
                                        ; =>  This Inner Loop Header: Depth=2
	s_wait_loadcnt 0x0
	global_load_b128 v[4:7], v[8:9], off th:TH_LOAD_NT
	v_add_nc_u32_e32 v14, 1, v14
	s_mov_b32 s1, -1
	s_mov_b32 s14, -1
	s_mov_b32 s15, exec_lo
	s_wait_xcnt 0x0
	v_cmpx_eq_u32_e32 0xf4240, v14
	s_cbranch_execz .LBB1_2787
; %bb.2786:                             ;   in Loop: Header=BB1_2785 Depth=2
	s_wait_loadcnt 0x0
	s_wait_storecnt 0x0
	global_load_b32 v0, v2, s[10:11] scope:SCOPE_SYS
	s_wait_loadcnt 0x0
	global_inv scope:SCOPE_SYS
	v_mov_b32_e32 v14, 0
	v_cmp_eq_u32_e64 s0, 0, v0
	s_or_not1_b32 s14, s0, exec_lo
.LBB1_2787:                             ;   in Loop: Header=BB1_2785 Depth=2
	s_wait_xcnt 0x0
	s_or_b32 exec_lo, exec_lo, s15
	s_and_saveexec_b32 s15, s14
	s_cbranch_execz .LBB1_2789
; %bb.2788:                             ;   in Loop: Header=BB1_2785 Depth=2
	s_wait_loadcnt 0x0
	v_cmp_eq_u32_e64 s0, s12, v5
	v_cmp_eq_u32_e64 s1, s12, v7
	s_and_b32 s0, s0, s1
	s_delay_alu instid0(SALU_CYCLE_1)
	s_or_not1_b32 s1, s0, exec_lo
.LBB1_2789:                             ;   in Loop: Header=BB1_2785 Depth=2
	s_or_b32 exec_lo, exec_lo, s15
	s_delay_alu instid0(SALU_CYCLE_1) | instskip(NEXT) | instid1(SALU_CYCLE_1)
	s_and_b32 s0, exec_lo, s1
	s_or_b32 s7, s0, s7
	s_delay_alu instid0(SALU_CYCLE_1)
	s_and_not1_b32 exec_lo, exec_lo, s7
	s_cbranch_execnz .LBB1_2785
; %bb.2790:                             ;   in Loop: Header=BB1_2785 Depth=2
	s_or_b32 exec_lo, exec_lo, s7
	s_wait_loadcnt 0x0
	v_dual_mov_b32 v5, v6 :: v_dual_mov_b32 v14, 0
	s_mov_b32 s7, 0
	s_delay_alu instid0(VALU_DEP_1) | instskip(SKIP_1) | instid1(SALU_CYCLE_1)
	v_cmp_eq_u64_e64 s0, s[12:13], v[4:5]
	s_or_b32 s16, s0, s16
	s_and_not1_b32 exec_lo, exec_lo, s16
	s_cbranch_execnz .LBB1_2785
; %bb.2791:                             ;   in Loop: Header=BB1_1755 Depth=1
	s_or_b32 exec_lo, exec_lo, s16
	s_add_co_i32 s14, s6, 0x94
	v_lshl_add_u64 v[4:5], s[4:5], 4, v[12:13]
	s_mul_hi_u32 s0, s14, 0x10624dd3
	s_mov_b32 s16, 0
	s_lshr_b32 s4, s0, 6
	s_mov_b32 s17, s12
	s_mulk_i32 s4, 0x3e8
	s_or_b64 s[0:1], s[16:17], s[12:13]
	s_sub_co_i32 s4, s14, s4
	v_dual_mov_b32 v0, s0 :: v_dual_mov_b32 v1, s1
	s_lshl_b32 s0, s4, 12
	s_mov_b32 s1, s5
	v_dual_mov_b32 v3, s12 :: v_dual_mov_b32 v14, 0
	v_add_nc_u64_e32 v[8:9], s[0:1], v[10:11]
	s_lshl_b32 s4, s4, 8
	s_mov_b32 s15, s5
	s_mov_b32 s7, s16
	global_store_b128 v[4:5], v[0:3], off th:TH_STORE_NT
.LBB1_2792:                             ;   Parent Loop BB1_1755 Depth=1
                                        ; =>  This Inner Loop Header: Depth=2
	s_wait_loadcnt 0x0
	global_load_b128 v[4:7], v[8:9], off th:TH_LOAD_NT
	v_add_nc_u32_e32 v14, 1, v14
	s_mov_b32 s1, -1
	s_mov_b32 s12, -1
	s_mov_b32 s13, exec_lo
	s_wait_xcnt 0x0
	v_cmpx_eq_u32_e32 0xf4240, v14
	s_cbranch_execz .LBB1_2794
; %bb.2793:                             ;   in Loop: Header=BB1_2792 Depth=2
	s_wait_loadcnt 0x0
	s_wait_storecnt 0x0
	global_load_b32 v0, v2, s[10:11] scope:SCOPE_SYS
	s_wait_loadcnt 0x0
	global_inv scope:SCOPE_SYS
	v_mov_b32_e32 v14, 0
	v_cmp_eq_u32_e64 s0, 0, v0
	s_or_not1_b32 s12, s0, exec_lo
.LBB1_2794:                             ;   in Loop: Header=BB1_2792 Depth=2
	s_wait_xcnt 0x0
	s_or_b32 exec_lo, exec_lo, s13
	s_and_saveexec_b32 s13, s12
	s_cbranch_execz .LBB1_2796
; %bb.2795:                             ;   in Loop: Header=BB1_2792 Depth=2
	s_wait_loadcnt 0x0
	v_cmp_eq_u32_e64 s0, s14, v5
	v_cmp_eq_u32_e64 s1, s14, v7
	s_and_b32 s0, s0, s1
	s_delay_alu instid0(SALU_CYCLE_1)
	s_or_not1_b32 s1, s0, exec_lo
.LBB1_2796:                             ;   in Loop: Header=BB1_2792 Depth=2
	s_or_b32 exec_lo, exec_lo, s13
	s_delay_alu instid0(SALU_CYCLE_1) | instskip(NEXT) | instid1(SALU_CYCLE_1)
	s_and_b32 s0, exec_lo, s1
	s_or_b32 s7, s0, s7
	s_delay_alu instid0(SALU_CYCLE_1)
	s_and_not1_b32 exec_lo, exec_lo, s7
	s_cbranch_execnz .LBB1_2792
; %bb.2797:                             ;   in Loop: Header=BB1_2792 Depth=2
	s_or_b32 exec_lo, exec_lo, s7
	s_wait_loadcnt 0x0
	v_dual_mov_b32 v5, v6 :: v_dual_mov_b32 v14, 0
	s_mov_b32 s7, 0
	s_delay_alu instid0(VALU_DEP_1) | instskip(SKIP_1) | instid1(SALU_CYCLE_1)
	v_cmp_eq_u64_e64 s0, s[14:15], v[4:5]
	s_or_b32 s16, s0, s16
	s_and_not1_b32 exec_lo, exec_lo, s16
	s_cbranch_execnz .LBB1_2792
; %bb.2798:                             ;   in Loop: Header=BB1_1755 Depth=1
	s_or_b32 exec_lo, exec_lo, s16
	s_add_co_i32 s12, s6, 0x95
	v_lshl_add_u64 v[4:5], s[4:5], 4, v[12:13]
	s_mul_hi_u32 s0, s12, 0x10624dd3
	s_mov_b32 s16, 0
	s_lshr_b32 s4, s0, 6
	s_mov_b32 s17, s14
	s_mulk_i32 s4, 0x3e8
	s_or_b64 s[0:1], s[16:17], s[14:15]
	s_sub_co_i32 s4, s12, s4
	v_dual_mov_b32 v0, s0 :: v_dual_mov_b32 v1, s1
	s_lshl_b32 s0, s4, 12
	s_mov_b32 s1, s5
	v_dual_mov_b32 v3, s14 :: v_dual_mov_b32 v14, 0
	v_add_nc_u64_e32 v[8:9], s[0:1], v[10:11]
	s_lshl_b32 s4, s4, 8
	s_mov_b32 s13, s5
	s_mov_b32 s7, s16
	global_store_b128 v[4:5], v[0:3], off th:TH_STORE_NT
.LBB1_2799:                             ;   Parent Loop BB1_1755 Depth=1
                                        ; =>  This Inner Loop Header: Depth=2
	s_wait_loadcnt 0x0
	global_load_b128 v[4:7], v[8:9], off th:TH_LOAD_NT
	v_add_nc_u32_e32 v14, 1, v14
	s_mov_b32 s1, -1
	s_mov_b32 s14, -1
	s_mov_b32 s15, exec_lo
	s_wait_xcnt 0x0
	v_cmpx_eq_u32_e32 0xf4240, v14
	s_cbranch_execz .LBB1_2801
; %bb.2800:                             ;   in Loop: Header=BB1_2799 Depth=2
	s_wait_loadcnt 0x0
	s_wait_storecnt 0x0
	global_load_b32 v0, v2, s[10:11] scope:SCOPE_SYS
	s_wait_loadcnt 0x0
	global_inv scope:SCOPE_SYS
	v_mov_b32_e32 v14, 0
	v_cmp_eq_u32_e64 s0, 0, v0
	s_or_not1_b32 s14, s0, exec_lo
.LBB1_2801:                             ;   in Loop: Header=BB1_2799 Depth=2
	s_wait_xcnt 0x0
	s_or_b32 exec_lo, exec_lo, s15
	s_and_saveexec_b32 s15, s14
	s_cbranch_execz .LBB1_2803
; %bb.2802:                             ;   in Loop: Header=BB1_2799 Depth=2
	s_wait_loadcnt 0x0
	v_cmp_eq_u32_e64 s0, s12, v5
	v_cmp_eq_u32_e64 s1, s12, v7
	s_and_b32 s0, s0, s1
	s_delay_alu instid0(SALU_CYCLE_1)
	s_or_not1_b32 s1, s0, exec_lo
.LBB1_2803:                             ;   in Loop: Header=BB1_2799 Depth=2
	s_or_b32 exec_lo, exec_lo, s15
	s_delay_alu instid0(SALU_CYCLE_1) | instskip(NEXT) | instid1(SALU_CYCLE_1)
	s_and_b32 s0, exec_lo, s1
	s_or_b32 s7, s0, s7
	s_delay_alu instid0(SALU_CYCLE_1)
	s_and_not1_b32 exec_lo, exec_lo, s7
	s_cbranch_execnz .LBB1_2799
; %bb.2804:                             ;   in Loop: Header=BB1_2799 Depth=2
	s_or_b32 exec_lo, exec_lo, s7
	s_wait_loadcnt 0x0
	v_dual_mov_b32 v5, v6 :: v_dual_mov_b32 v14, 0
	s_mov_b32 s7, 0
	s_delay_alu instid0(VALU_DEP_1) | instskip(SKIP_1) | instid1(SALU_CYCLE_1)
	v_cmp_eq_u64_e64 s0, s[12:13], v[4:5]
	s_or_b32 s16, s0, s16
	s_and_not1_b32 exec_lo, exec_lo, s16
	s_cbranch_execnz .LBB1_2799
; %bb.2805:                             ;   in Loop: Header=BB1_1755 Depth=1
	s_or_b32 exec_lo, exec_lo, s16
	s_add_co_i32 s14, s6, 0x96
	v_lshl_add_u64 v[4:5], s[4:5], 4, v[12:13]
	s_mul_hi_u32 s0, s14, 0x10624dd3
	s_mov_b32 s16, 0
	s_lshr_b32 s4, s0, 6
	s_mov_b32 s17, s12
	s_mulk_i32 s4, 0x3e8
	s_or_b64 s[0:1], s[16:17], s[12:13]
	s_sub_co_i32 s4, s14, s4
	v_dual_mov_b32 v0, s0 :: v_dual_mov_b32 v1, s1
	s_lshl_b32 s0, s4, 12
	s_mov_b32 s1, s5
	v_dual_mov_b32 v3, s12 :: v_dual_mov_b32 v14, 0
	v_add_nc_u64_e32 v[8:9], s[0:1], v[10:11]
	s_lshl_b32 s4, s4, 8
	s_mov_b32 s15, s5
	s_mov_b32 s7, s16
	global_store_b128 v[4:5], v[0:3], off th:TH_STORE_NT
.LBB1_2806:                             ;   Parent Loop BB1_1755 Depth=1
                                        ; =>  This Inner Loop Header: Depth=2
	s_wait_loadcnt 0x0
	global_load_b128 v[4:7], v[8:9], off th:TH_LOAD_NT
	v_add_nc_u32_e32 v14, 1, v14
	s_mov_b32 s1, -1
	s_mov_b32 s12, -1
	s_mov_b32 s13, exec_lo
	s_wait_xcnt 0x0
	v_cmpx_eq_u32_e32 0xf4240, v14
	s_cbranch_execz .LBB1_2808
; %bb.2807:                             ;   in Loop: Header=BB1_2806 Depth=2
	s_wait_loadcnt 0x0
	s_wait_storecnt 0x0
	global_load_b32 v0, v2, s[10:11] scope:SCOPE_SYS
	s_wait_loadcnt 0x0
	global_inv scope:SCOPE_SYS
	v_mov_b32_e32 v14, 0
	v_cmp_eq_u32_e64 s0, 0, v0
	s_or_not1_b32 s12, s0, exec_lo
.LBB1_2808:                             ;   in Loop: Header=BB1_2806 Depth=2
	s_wait_xcnt 0x0
	s_or_b32 exec_lo, exec_lo, s13
	s_and_saveexec_b32 s13, s12
	s_cbranch_execz .LBB1_2810
; %bb.2809:                             ;   in Loop: Header=BB1_2806 Depth=2
	s_wait_loadcnt 0x0
	v_cmp_eq_u32_e64 s0, s14, v5
	v_cmp_eq_u32_e64 s1, s14, v7
	s_and_b32 s0, s0, s1
	s_delay_alu instid0(SALU_CYCLE_1)
	s_or_not1_b32 s1, s0, exec_lo
.LBB1_2810:                             ;   in Loop: Header=BB1_2806 Depth=2
	s_or_b32 exec_lo, exec_lo, s13
	s_delay_alu instid0(SALU_CYCLE_1) | instskip(NEXT) | instid1(SALU_CYCLE_1)
	s_and_b32 s0, exec_lo, s1
	s_or_b32 s7, s0, s7
	s_delay_alu instid0(SALU_CYCLE_1)
	s_and_not1_b32 exec_lo, exec_lo, s7
	s_cbranch_execnz .LBB1_2806
; %bb.2811:                             ;   in Loop: Header=BB1_2806 Depth=2
	s_or_b32 exec_lo, exec_lo, s7
	s_wait_loadcnt 0x0
	v_dual_mov_b32 v5, v6 :: v_dual_mov_b32 v14, 0
	s_mov_b32 s7, 0
	s_delay_alu instid0(VALU_DEP_1) | instskip(SKIP_1) | instid1(SALU_CYCLE_1)
	v_cmp_eq_u64_e64 s0, s[14:15], v[4:5]
	s_or_b32 s16, s0, s16
	s_and_not1_b32 exec_lo, exec_lo, s16
	s_cbranch_execnz .LBB1_2806
; %bb.2812:                             ;   in Loop: Header=BB1_1755 Depth=1
	s_or_b32 exec_lo, exec_lo, s16
	s_add_co_i32 s12, s6, 0x97
	v_lshl_add_u64 v[4:5], s[4:5], 4, v[12:13]
	s_mul_hi_u32 s0, s12, 0x10624dd3
	s_mov_b32 s16, 0
	s_lshr_b32 s4, s0, 6
	s_mov_b32 s17, s14
	s_mulk_i32 s4, 0x3e8
	s_or_b64 s[0:1], s[16:17], s[14:15]
	s_sub_co_i32 s4, s12, s4
	v_dual_mov_b32 v0, s0 :: v_dual_mov_b32 v1, s1
	s_lshl_b32 s0, s4, 12
	s_mov_b32 s1, s5
	v_dual_mov_b32 v3, s14 :: v_dual_mov_b32 v14, 0
	v_add_nc_u64_e32 v[8:9], s[0:1], v[10:11]
	s_lshl_b32 s4, s4, 8
	s_mov_b32 s13, s5
	s_mov_b32 s7, s16
	global_store_b128 v[4:5], v[0:3], off th:TH_STORE_NT
.LBB1_2813:                             ;   Parent Loop BB1_1755 Depth=1
                                        ; =>  This Inner Loop Header: Depth=2
	s_wait_loadcnt 0x0
	global_load_b128 v[4:7], v[8:9], off th:TH_LOAD_NT
	v_add_nc_u32_e32 v14, 1, v14
	s_mov_b32 s1, -1
	s_mov_b32 s14, -1
	s_mov_b32 s15, exec_lo
	s_wait_xcnt 0x0
	v_cmpx_eq_u32_e32 0xf4240, v14
	s_cbranch_execz .LBB1_2815
; %bb.2814:                             ;   in Loop: Header=BB1_2813 Depth=2
	s_wait_loadcnt 0x0
	s_wait_storecnt 0x0
	global_load_b32 v0, v2, s[10:11] scope:SCOPE_SYS
	s_wait_loadcnt 0x0
	global_inv scope:SCOPE_SYS
	v_mov_b32_e32 v14, 0
	v_cmp_eq_u32_e64 s0, 0, v0
	s_or_not1_b32 s14, s0, exec_lo
.LBB1_2815:                             ;   in Loop: Header=BB1_2813 Depth=2
	s_wait_xcnt 0x0
	s_or_b32 exec_lo, exec_lo, s15
	s_and_saveexec_b32 s15, s14
	s_cbranch_execz .LBB1_2817
; %bb.2816:                             ;   in Loop: Header=BB1_2813 Depth=2
	s_wait_loadcnt 0x0
	v_cmp_eq_u32_e64 s0, s12, v5
	v_cmp_eq_u32_e64 s1, s12, v7
	s_and_b32 s0, s0, s1
	s_delay_alu instid0(SALU_CYCLE_1)
	s_or_not1_b32 s1, s0, exec_lo
.LBB1_2817:                             ;   in Loop: Header=BB1_2813 Depth=2
	s_or_b32 exec_lo, exec_lo, s15
	s_delay_alu instid0(SALU_CYCLE_1) | instskip(NEXT) | instid1(SALU_CYCLE_1)
	s_and_b32 s0, exec_lo, s1
	s_or_b32 s7, s0, s7
	s_delay_alu instid0(SALU_CYCLE_1)
	s_and_not1_b32 exec_lo, exec_lo, s7
	s_cbranch_execnz .LBB1_2813
; %bb.2818:                             ;   in Loop: Header=BB1_2813 Depth=2
	s_or_b32 exec_lo, exec_lo, s7
	s_wait_loadcnt 0x0
	v_dual_mov_b32 v5, v6 :: v_dual_mov_b32 v14, 0
	s_mov_b32 s7, 0
	s_delay_alu instid0(VALU_DEP_1) | instskip(SKIP_1) | instid1(SALU_CYCLE_1)
	v_cmp_eq_u64_e64 s0, s[12:13], v[4:5]
	s_or_b32 s16, s0, s16
	s_and_not1_b32 exec_lo, exec_lo, s16
	s_cbranch_execnz .LBB1_2813
; %bb.2819:                             ;   in Loop: Header=BB1_1755 Depth=1
	s_or_b32 exec_lo, exec_lo, s16
	s_add_co_i32 s14, s6, 0x98
	v_lshl_add_u64 v[4:5], s[4:5], 4, v[12:13]
	s_mul_hi_u32 s0, s14, 0x10624dd3
	s_mov_b32 s16, 0
	s_lshr_b32 s4, s0, 6
	s_mov_b32 s17, s12
	s_mulk_i32 s4, 0x3e8
	s_or_b64 s[0:1], s[16:17], s[12:13]
	s_sub_co_i32 s4, s14, s4
	v_dual_mov_b32 v0, s0 :: v_dual_mov_b32 v1, s1
	s_lshl_b32 s0, s4, 12
	s_mov_b32 s1, s5
	v_dual_mov_b32 v3, s12 :: v_dual_mov_b32 v14, 0
	v_add_nc_u64_e32 v[8:9], s[0:1], v[10:11]
	s_lshl_b32 s4, s4, 8
	s_mov_b32 s15, s5
	s_mov_b32 s7, s16
	global_store_b128 v[4:5], v[0:3], off th:TH_STORE_NT
.LBB1_2820:                             ;   Parent Loop BB1_1755 Depth=1
                                        ; =>  This Inner Loop Header: Depth=2
	s_wait_loadcnt 0x0
	global_load_b128 v[4:7], v[8:9], off th:TH_LOAD_NT
	v_add_nc_u32_e32 v14, 1, v14
	s_mov_b32 s1, -1
	s_mov_b32 s12, -1
	s_mov_b32 s13, exec_lo
	s_wait_xcnt 0x0
	v_cmpx_eq_u32_e32 0xf4240, v14
	s_cbranch_execz .LBB1_2822
; %bb.2821:                             ;   in Loop: Header=BB1_2820 Depth=2
	s_wait_loadcnt 0x0
	s_wait_storecnt 0x0
	global_load_b32 v0, v2, s[10:11] scope:SCOPE_SYS
	s_wait_loadcnt 0x0
	global_inv scope:SCOPE_SYS
	v_mov_b32_e32 v14, 0
	v_cmp_eq_u32_e64 s0, 0, v0
	s_or_not1_b32 s12, s0, exec_lo
.LBB1_2822:                             ;   in Loop: Header=BB1_2820 Depth=2
	s_wait_xcnt 0x0
	s_or_b32 exec_lo, exec_lo, s13
	s_and_saveexec_b32 s13, s12
	s_cbranch_execz .LBB1_2824
; %bb.2823:                             ;   in Loop: Header=BB1_2820 Depth=2
	s_wait_loadcnt 0x0
	v_cmp_eq_u32_e64 s0, s14, v5
	v_cmp_eq_u32_e64 s1, s14, v7
	s_and_b32 s0, s0, s1
	s_delay_alu instid0(SALU_CYCLE_1)
	s_or_not1_b32 s1, s0, exec_lo
.LBB1_2824:                             ;   in Loop: Header=BB1_2820 Depth=2
	s_or_b32 exec_lo, exec_lo, s13
	s_delay_alu instid0(SALU_CYCLE_1) | instskip(NEXT) | instid1(SALU_CYCLE_1)
	s_and_b32 s0, exec_lo, s1
	s_or_b32 s7, s0, s7
	s_delay_alu instid0(SALU_CYCLE_1)
	s_and_not1_b32 exec_lo, exec_lo, s7
	s_cbranch_execnz .LBB1_2820
; %bb.2825:                             ;   in Loop: Header=BB1_2820 Depth=2
	s_or_b32 exec_lo, exec_lo, s7
	s_wait_loadcnt 0x0
	v_dual_mov_b32 v5, v6 :: v_dual_mov_b32 v14, 0
	s_mov_b32 s7, 0
	s_delay_alu instid0(VALU_DEP_1) | instskip(SKIP_1) | instid1(SALU_CYCLE_1)
	v_cmp_eq_u64_e64 s0, s[14:15], v[4:5]
	s_or_b32 s16, s0, s16
	s_and_not1_b32 exec_lo, exec_lo, s16
	s_cbranch_execnz .LBB1_2820
; %bb.2826:                             ;   in Loop: Header=BB1_1755 Depth=1
	s_or_b32 exec_lo, exec_lo, s16
	s_add_co_i32 s12, s6, 0x99
	v_lshl_add_u64 v[4:5], s[4:5], 4, v[12:13]
	s_mul_hi_u32 s0, s12, 0x10624dd3
	s_mov_b32 s16, 0
	s_lshr_b32 s4, s0, 6
	s_mov_b32 s17, s14
	s_mulk_i32 s4, 0x3e8
	s_or_b64 s[0:1], s[16:17], s[14:15]
	s_sub_co_i32 s4, s12, s4
	v_dual_mov_b32 v0, s0 :: v_dual_mov_b32 v1, s1
	s_lshl_b32 s0, s4, 12
	s_mov_b32 s1, s5
	v_dual_mov_b32 v3, s14 :: v_dual_mov_b32 v14, 0
	v_add_nc_u64_e32 v[8:9], s[0:1], v[10:11]
	s_lshl_b32 s4, s4, 8
	s_mov_b32 s13, s5
	s_mov_b32 s7, s16
	global_store_b128 v[4:5], v[0:3], off th:TH_STORE_NT
.LBB1_2827:                             ;   Parent Loop BB1_1755 Depth=1
                                        ; =>  This Inner Loop Header: Depth=2
	s_wait_loadcnt 0x0
	global_load_b128 v[4:7], v[8:9], off th:TH_LOAD_NT
	v_add_nc_u32_e32 v14, 1, v14
	s_mov_b32 s1, -1
	s_mov_b32 s14, -1
	s_mov_b32 s15, exec_lo
	s_wait_xcnt 0x0
	v_cmpx_eq_u32_e32 0xf4240, v14
	s_cbranch_execz .LBB1_2829
; %bb.2828:                             ;   in Loop: Header=BB1_2827 Depth=2
	s_wait_loadcnt 0x0
	s_wait_storecnt 0x0
	global_load_b32 v0, v2, s[10:11] scope:SCOPE_SYS
	s_wait_loadcnt 0x0
	global_inv scope:SCOPE_SYS
	v_mov_b32_e32 v14, 0
	v_cmp_eq_u32_e64 s0, 0, v0
	s_or_not1_b32 s14, s0, exec_lo
.LBB1_2829:                             ;   in Loop: Header=BB1_2827 Depth=2
	s_wait_xcnt 0x0
	s_or_b32 exec_lo, exec_lo, s15
	s_and_saveexec_b32 s15, s14
	s_cbranch_execz .LBB1_2831
; %bb.2830:                             ;   in Loop: Header=BB1_2827 Depth=2
	s_wait_loadcnt 0x0
	v_cmp_eq_u32_e64 s0, s12, v5
	v_cmp_eq_u32_e64 s1, s12, v7
	s_and_b32 s0, s0, s1
	s_delay_alu instid0(SALU_CYCLE_1)
	s_or_not1_b32 s1, s0, exec_lo
.LBB1_2831:                             ;   in Loop: Header=BB1_2827 Depth=2
	s_or_b32 exec_lo, exec_lo, s15
	s_delay_alu instid0(SALU_CYCLE_1) | instskip(NEXT) | instid1(SALU_CYCLE_1)
	s_and_b32 s0, exec_lo, s1
	s_or_b32 s7, s0, s7
	s_delay_alu instid0(SALU_CYCLE_1)
	s_and_not1_b32 exec_lo, exec_lo, s7
	s_cbranch_execnz .LBB1_2827
; %bb.2832:                             ;   in Loop: Header=BB1_2827 Depth=2
	s_or_b32 exec_lo, exec_lo, s7
	s_wait_loadcnt 0x0
	v_dual_mov_b32 v5, v6 :: v_dual_mov_b32 v14, 0
	s_mov_b32 s7, 0
	s_delay_alu instid0(VALU_DEP_1) | instskip(SKIP_1) | instid1(SALU_CYCLE_1)
	v_cmp_eq_u64_e64 s0, s[12:13], v[4:5]
	s_or_b32 s16, s0, s16
	s_and_not1_b32 exec_lo, exec_lo, s16
	s_cbranch_execnz .LBB1_2827
; %bb.2833:                             ;   in Loop: Header=BB1_1755 Depth=1
	s_or_b32 exec_lo, exec_lo, s16
	s_add_co_i32 s14, s6, 0x9a
	v_lshl_add_u64 v[4:5], s[4:5], 4, v[12:13]
	s_mul_hi_u32 s0, s14, 0x10624dd3
	s_mov_b32 s16, 0
	s_lshr_b32 s4, s0, 6
	s_mov_b32 s17, s12
	s_mulk_i32 s4, 0x3e8
	s_or_b64 s[0:1], s[16:17], s[12:13]
	s_sub_co_i32 s4, s14, s4
	v_dual_mov_b32 v0, s0 :: v_dual_mov_b32 v1, s1
	s_lshl_b32 s0, s4, 12
	s_mov_b32 s1, s5
	v_dual_mov_b32 v3, s12 :: v_dual_mov_b32 v14, 0
	v_add_nc_u64_e32 v[8:9], s[0:1], v[10:11]
	s_lshl_b32 s4, s4, 8
	s_mov_b32 s15, s5
	s_mov_b32 s7, s16
	global_store_b128 v[4:5], v[0:3], off th:TH_STORE_NT
.LBB1_2834:                             ;   Parent Loop BB1_1755 Depth=1
                                        ; =>  This Inner Loop Header: Depth=2
	s_wait_loadcnt 0x0
	global_load_b128 v[4:7], v[8:9], off th:TH_LOAD_NT
	v_add_nc_u32_e32 v14, 1, v14
	s_mov_b32 s1, -1
	s_mov_b32 s12, -1
	s_mov_b32 s13, exec_lo
	s_wait_xcnt 0x0
	v_cmpx_eq_u32_e32 0xf4240, v14
	s_cbranch_execz .LBB1_2836
; %bb.2835:                             ;   in Loop: Header=BB1_2834 Depth=2
	s_wait_loadcnt 0x0
	s_wait_storecnt 0x0
	global_load_b32 v0, v2, s[10:11] scope:SCOPE_SYS
	s_wait_loadcnt 0x0
	global_inv scope:SCOPE_SYS
	v_mov_b32_e32 v14, 0
	v_cmp_eq_u32_e64 s0, 0, v0
	s_or_not1_b32 s12, s0, exec_lo
.LBB1_2836:                             ;   in Loop: Header=BB1_2834 Depth=2
	s_wait_xcnt 0x0
	s_or_b32 exec_lo, exec_lo, s13
	s_and_saveexec_b32 s13, s12
	s_cbranch_execz .LBB1_2838
; %bb.2837:                             ;   in Loop: Header=BB1_2834 Depth=2
	s_wait_loadcnt 0x0
	v_cmp_eq_u32_e64 s0, s14, v5
	v_cmp_eq_u32_e64 s1, s14, v7
	s_and_b32 s0, s0, s1
	s_delay_alu instid0(SALU_CYCLE_1)
	s_or_not1_b32 s1, s0, exec_lo
.LBB1_2838:                             ;   in Loop: Header=BB1_2834 Depth=2
	s_or_b32 exec_lo, exec_lo, s13
	s_delay_alu instid0(SALU_CYCLE_1) | instskip(NEXT) | instid1(SALU_CYCLE_1)
	s_and_b32 s0, exec_lo, s1
	s_or_b32 s7, s0, s7
	s_delay_alu instid0(SALU_CYCLE_1)
	s_and_not1_b32 exec_lo, exec_lo, s7
	s_cbranch_execnz .LBB1_2834
; %bb.2839:                             ;   in Loop: Header=BB1_2834 Depth=2
	s_or_b32 exec_lo, exec_lo, s7
	s_wait_loadcnt 0x0
	v_dual_mov_b32 v5, v6 :: v_dual_mov_b32 v14, 0
	s_mov_b32 s7, 0
	s_delay_alu instid0(VALU_DEP_1) | instskip(SKIP_1) | instid1(SALU_CYCLE_1)
	v_cmp_eq_u64_e64 s0, s[14:15], v[4:5]
	s_or_b32 s16, s0, s16
	s_and_not1_b32 exec_lo, exec_lo, s16
	s_cbranch_execnz .LBB1_2834
; %bb.2840:                             ;   in Loop: Header=BB1_1755 Depth=1
	s_or_b32 exec_lo, exec_lo, s16
	s_add_co_i32 s12, s6, 0x9b
	v_lshl_add_u64 v[4:5], s[4:5], 4, v[12:13]
	s_mul_hi_u32 s0, s12, 0x10624dd3
	s_mov_b32 s16, 0
	s_lshr_b32 s4, s0, 6
	s_mov_b32 s17, s14
	s_mulk_i32 s4, 0x3e8
	s_or_b64 s[0:1], s[16:17], s[14:15]
	s_sub_co_i32 s4, s12, s4
	v_dual_mov_b32 v0, s0 :: v_dual_mov_b32 v1, s1
	s_lshl_b32 s0, s4, 12
	s_mov_b32 s1, s5
	v_dual_mov_b32 v3, s14 :: v_dual_mov_b32 v14, 0
	v_add_nc_u64_e32 v[8:9], s[0:1], v[10:11]
	s_lshl_b32 s4, s4, 8
	s_mov_b32 s13, s5
	s_mov_b32 s7, s16
	global_store_b128 v[4:5], v[0:3], off th:TH_STORE_NT
.LBB1_2841:                             ;   Parent Loop BB1_1755 Depth=1
                                        ; =>  This Inner Loop Header: Depth=2
	s_wait_loadcnt 0x0
	global_load_b128 v[4:7], v[8:9], off th:TH_LOAD_NT
	v_add_nc_u32_e32 v14, 1, v14
	s_mov_b32 s1, -1
	s_mov_b32 s14, -1
	s_mov_b32 s15, exec_lo
	s_wait_xcnt 0x0
	v_cmpx_eq_u32_e32 0xf4240, v14
	s_cbranch_execz .LBB1_2843
; %bb.2842:                             ;   in Loop: Header=BB1_2841 Depth=2
	s_wait_loadcnt 0x0
	s_wait_storecnt 0x0
	global_load_b32 v0, v2, s[10:11] scope:SCOPE_SYS
	s_wait_loadcnt 0x0
	global_inv scope:SCOPE_SYS
	v_mov_b32_e32 v14, 0
	v_cmp_eq_u32_e64 s0, 0, v0
	s_or_not1_b32 s14, s0, exec_lo
.LBB1_2843:                             ;   in Loop: Header=BB1_2841 Depth=2
	s_wait_xcnt 0x0
	s_or_b32 exec_lo, exec_lo, s15
	s_and_saveexec_b32 s15, s14
	s_cbranch_execz .LBB1_2845
; %bb.2844:                             ;   in Loop: Header=BB1_2841 Depth=2
	s_wait_loadcnt 0x0
	v_cmp_eq_u32_e64 s0, s12, v5
	v_cmp_eq_u32_e64 s1, s12, v7
	s_and_b32 s0, s0, s1
	s_delay_alu instid0(SALU_CYCLE_1)
	s_or_not1_b32 s1, s0, exec_lo
.LBB1_2845:                             ;   in Loop: Header=BB1_2841 Depth=2
	s_or_b32 exec_lo, exec_lo, s15
	s_delay_alu instid0(SALU_CYCLE_1) | instskip(NEXT) | instid1(SALU_CYCLE_1)
	s_and_b32 s0, exec_lo, s1
	s_or_b32 s7, s0, s7
	s_delay_alu instid0(SALU_CYCLE_1)
	s_and_not1_b32 exec_lo, exec_lo, s7
	s_cbranch_execnz .LBB1_2841
; %bb.2846:                             ;   in Loop: Header=BB1_2841 Depth=2
	s_or_b32 exec_lo, exec_lo, s7
	s_wait_loadcnt 0x0
	v_dual_mov_b32 v5, v6 :: v_dual_mov_b32 v14, 0
	s_mov_b32 s7, 0
	s_delay_alu instid0(VALU_DEP_1) | instskip(SKIP_1) | instid1(SALU_CYCLE_1)
	v_cmp_eq_u64_e64 s0, s[12:13], v[4:5]
	s_or_b32 s16, s0, s16
	s_and_not1_b32 exec_lo, exec_lo, s16
	s_cbranch_execnz .LBB1_2841
; %bb.2847:                             ;   in Loop: Header=BB1_1755 Depth=1
	s_or_b32 exec_lo, exec_lo, s16
	s_add_co_i32 s14, s6, 0x9c
	v_lshl_add_u64 v[4:5], s[4:5], 4, v[12:13]
	s_mul_hi_u32 s0, s14, 0x10624dd3
	s_mov_b32 s16, 0
	s_lshr_b32 s4, s0, 6
	s_mov_b32 s17, s12
	s_mulk_i32 s4, 0x3e8
	s_or_b64 s[0:1], s[16:17], s[12:13]
	s_sub_co_i32 s4, s14, s4
	v_dual_mov_b32 v0, s0 :: v_dual_mov_b32 v1, s1
	s_lshl_b32 s0, s4, 12
	s_mov_b32 s1, s5
	v_dual_mov_b32 v3, s12 :: v_dual_mov_b32 v14, 0
	v_add_nc_u64_e32 v[8:9], s[0:1], v[10:11]
	s_lshl_b32 s4, s4, 8
	s_mov_b32 s15, s5
	s_mov_b32 s7, s16
	global_store_b128 v[4:5], v[0:3], off th:TH_STORE_NT
.LBB1_2848:                             ;   Parent Loop BB1_1755 Depth=1
                                        ; =>  This Inner Loop Header: Depth=2
	s_wait_loadcnt 0x0
	global_load_b128 v[4:7], v[8:9], off th:TH_LOAD_NT
	v_add_nc_u32_e32 v14, 1, v14
	s_mov_b32 s1, -1
	s_mov_b32 s12, -1
	s_mov_b32 s13, exec_lo
	s_wait_xcnt 0x0
	v_cmpx_eq_u32_e32 0xf4240, v14
	s_cbranch_execz .LBB1_2850
; %bb.2849:                             ;   in Loop: Header=BB1_2848 Depth=2
	s_wait_loadcnt 0x0
	s_wait_storecnt 0x0
	global_load_b32 v0, v2, s[10:11] scope:SCOPE_SYS
	s_wait_loadcnt 0x0
	global_inv scope:SCOPE_SYS
	v_mov_b32_e32 v14, 0
	v_cmp_eq_u32_e64 s0, 0, v0
	s_or_not1_b32 s12, s0, exec_lo
.LBB1_2850:                             ;   in Loop: Header=BB1_2848 Depth=2
	s_wait_xcnt 0x0
	s_or_b32 exec_lo, exec_lo, s13
	s_and_saveexec_b32 s13, s12
	s_cbranch_execz .LBB1_2852
; %bb.2851:                             ;   in Loop: Header=BB1_2848 Depth=2
	s_wait_loadcnt 0x0
	v_cmp_eq_u32_e64 s0, s14, v5
	v_cmp_eq_u32_e64 s1, s14, v7
	s_and_b32 s0, s0, s1
	s_delay_alu instid0(SALU_CYCLE_1)
	s_or_not1_b32 s1, s0, exec_lo
.LBB1_2852:                             ;   in Loop: Header=BB1_2848 Depth=2
	s_or_b32 exec_lo, exec_lo, s13
	s_delay_alu instid0(SALU_CYCLE_1) | instskip(NEXT) | instid1(SALU_CYCLE_1)
	s_and_b32 s0, exec_lo, s1
	s_or_b32 s7, s0, s7
	s_delay_alu instid0(SALU_CYCLE_1)
	s_and_not1_b32 exec_lo, exec_lo, s7
	s_cbranch_execnz .LBB1_2848
; %bb.2853:                             ;   in Loop: Header=BB1_2848 Depth=2
	s_or_b32 exec_lo, exec_lo, s7
	s_wait_loadcnt 0x0
	v_dual_mov_b32 v5, v6 :: v_dual_mov_b32 v14, 0
	s_mov_b32 s7, 0
	s_delay_alu instid0(VALU_DEP_1) | instskip(SKIP_1) | instid1(SALU_CYCLE_1)
	v_cmp_eq_u64_e64 s0, s[14:15], v[4:5]
	s_or_b32 s16, s0, s16
	s_and_not1_b32 exec_lo, exec_lo, s16
	s_cbranch_execnz .LBB1_2848
; %bb.2854:                             ;   in Loop: Header=BB1_1755 Depth=1
	s_or_b32 exec_lo, exec_lo, s16
	s_add_co_i32 s12, s6, 0x9d
	v_lshl_add_u64 v[4:5], s[4:5], 4, v[12:13]
	s_mul_hi_u32 s0, s12, 0x10624dd3
	s_mov_b32 s16, 0
	s_lshr_b32 s4, s0, 6
	s_mov_b32 s17, s14
	s_mulk_i32 s4, 0x3e8
	s_or_b64 s[0:1], s[16:17], s[14:15]
	s_sub_co_i32 s4, s12, s4
	v_dual_mov_b32 v0, s0 :: v_dual_mov_b32 v1, s1
	s_lshl_b32 s0, s4, 12
	s_mov_b32 s1, s5
	v_dual_mov_b32 v3, s14 :: v_dual_mov_b32 v14, 0
	v_add_nc_u64_e32 v[8:9], s[0:1], v[10:11]
	s_lshl_b32 s4, s4, 8
	s_mov_b32 s13, s5
	s_mov_b32 s7, s16
	global_store_b128 v[4:5], v[0:3], off th:TH_STORE_NT
.LBB1_2855:                             ;   Parent Loop BB1_1755 Depth=1
                                        ; =>  This Inner Loop Header: Depth=2
	s_wait_loadcnt 0x0
	global_load_b128 v[4:7], v[8:9], off th:TH_LOAD_NT
	v_add_nc_u32_e32 v14, 1, v14
	s_mov_b32 s1, -1
	s_mov_b32 s14, -1
	s_mov_b32 s15, exec_lo
	s_wait_xcnt 0x0
	v_cmpx_eq_u32_e32 0xf4240, v14
	s_cbranch_execz .LBB1_2857
; %bb.2856:                             ;   in Loop: Header=BB1_2855 Depth=2
	s_wait_loadcnt 0x0
	s_wait_storecnt 0x0
	global_load_b32 v0, v2, s[10:11] scope:SCOPE_SYS
	s_wait_loadcnt 0x0
	global_inv scope:SCOPE_SYS
	v_mov_b32_e32 v14, 0
	v_cmp_eq_u32_e64 s0, 0, v0
	s_or_not1_b32 s14, s0, exec_lo
.LBB1_2857:                             ;   in Loop: Header=BB1_2855 Depth=2
	s_wait_xcnt 0x0
	s_or_b32 exec_lo, exec_lo, s15
	s_and_saveexec_b32 s15, s14
	s_cbranch_execz .LBB1_2859
; %bb.2858:                             ;   in Loop: Header=BB1_2855 Depth=2
	s_wait_loadcnt 0x0
	v_cmp_eq_u32_e64 s0, s12, v5
	v_cmp_eq_u32_e64 s1, s12, v7
	s_and_b32 s0, s0, s1
	s_delay_alu instid0(SALU_CYCLE_1)
	s_or_not1_b32 s1, s0, exec_lo
.LBB1_2859:                             ;   in Loop: Header=BB1_2855 Depth=2
	s_or_b32 exec_lo, exec_lo, s15
	s_delay_alu instid0(SALU_CYCLE_1) | instskip(NEXT) | instid1(SALU_CYCLE_1)
	s_and_b32 s0, exec_lo, s1
	s_or_b32 s7, s0, s7
	s_delay_alu instid0(SALU_CYCLE_1)
	s_and_not1_b32 exec_lo, exec_lo, s7
	s_cbranch_execnz .LBB1_2855
; %bb.2860:                             ;   in Loop: Header=BB1_2855 Depth=2
	s_or_b32 exec_lo, exec_lo, s7
	s_wait_loadcnt 0x0
	v_dual_mov_b32 v5, v6 :: v_dual_mov_b32 v14, 0
	s_mov_b32 s7, 0
	s_delay_alu instid0(VALU_DEP_1) | instskip(SKIP_1) | instid1(SALU_CYCLE_1)
	v_cmp_eq_u64_e64 s0, s[12:13], v[4:5]
	s_or_b32 s16, s0, s16
	s_and_not1_b32 exec_lo, exec_lo, s16
	s_cbranch_execnz .LBB1_2855
; %bb.2861:                             ;   in Loop: Header=BB1_1755 Depth=1
	s_or_b32 exec_lo, exec_lo, s16
	s_add_co_i32 s14, s6, 0x9e
	v_lshl_add_u64 v[4:5], s[4:5], 4, v[12:13]
	s_mul_hi_u32 s0, s14, 0x10624dd3
	s_mov_b32 s16, 0
	s_lshr_b32 s4, s0, 6
	s_mov_b32 s17, s12
	s_mulk_i32 s4, 0x3e8
	s_or_b64 s[0:1], s[16:17], s[12:13]
	s_sub_co_i32 s4, s14, s4
	v_dual_mov_b32 v0, s0 :: v_dual_mov_b32 v1, s1
	s_lshl_b32 s0, s4, 12
	s_mov_b32 s1, s5
	v_dual_mov_b32 v3, s12 :: v_dual_mov_b32 v14, 0
	v_add_nc_u64_e32 v[8:9], s[0:1], v[10:11]
	s_lshl_b32 s4, s4, 8
	s_mov_b32 s15, s5
	s_mov_b32 s7, s16
	global_store_b128 v[4:5], v[0:3], off th:TH_STORE_NT
.LBB1_2862:                             ;   Parent Loop BB1_1755 Depth=1
                                        ; =>  This Inner Loop Header: Depth=2
	s_wait_loadcnt 0x0
	global_load_b128 v[4:7], v[8:9], off th:TH_LOAD_NT
	v_add_nc_u32_e32 v14, 1, v14
	s_mov_b32 s1, -1
	s_mov_b32 s12, -1
	s_mov_b32 s13, exec_lo
	s_wait_xcnt 0x0
	v_cmpx_eq_u32_e32 0xf4240, v14
	s_cbranch_execz .LBB1_2864
; %bb.2863:                             ;   in Loop: Header=BB1_2862 Depth=2
	s_wait_loadcnt 0x0
	s_wait_storecnt 0x0
	global_load_b32 v0, v2, s[10:11] scope:SCOPE_SYS
	s_wait_loadcnt 0x0
	global_inv scope:SCOPE_SYS
	v_mov_b32_e32 v14, 0
	v_cmp_eq_u32_e64 s0, 0, v0
	s_or_not1_b32 s12, s0, exec_lo
.LBB1_2864:                             ;   in Loop: Header=BB1_2862 Depth=2
	s_wait_xcnt 0x0
	s_or_b32 exec_lo, exec_lo, s13
	s_and_saveexec_b32 s13, s12
	s_cbranch_execz .LBB1_2866
; %bb.2865:                             ;   in Loop: Header=BB1_2862 Depth=2
	s_wait_loadcnt 0x0
	v_cmp_eq_u32_e64 s0, s14, v5
	v_cmp_eq_u32_e64 s1, s14, v7
	s_and_b32 s0, s0, s1
	s_delay_alu instid0(SALU_CYCLE_1)
	s_or_not1_b32 s1, s0, exec_lo
.LBB1_2866:                             ;   in Loop: Header=BB1_2862 Depth=2
	s_or_b32 exec_lo, exec_lo, s13
	s_delay_alu instid0(SALU_CYCLE_1) | instskip(NEXT) | instid1(SALU_CYCLE_1)
	s_and_b32 s0, exec_lo, s1
	s_or_b32 s7, s0, s7
	s_delay_alu instid0(SALU_CYCLE_1)
	s_and_not1_b32 exec_lo, exec_lo, s7
	s_cbranch_execnz .LBB1_2862
; %bb.2867:                             ;   in Loop: Header=BB1_2862 Depth=2
	s_or_b32 exec_lo, exec_lo, s7
	s_wait_loadcnt 0x0
	v_dual_mov_b32 v5, v6 :: v_dual_mov_b32 v14, 0
	s_mov_b32 s7, 0
	s_delay_alu instid0(VALU_DEP_1) | instskip(SKIP_1) | instid1(SALU_CYCLE_1)
	v_cmp_eq_u64_e64 s0, s[14:15], v[4:5]
	s_or_b32 s16, s0, s16
	s_and_not1_b32 exec_lo, exec_lo, s16
	s_cbranch_execnz .LBB1_2862
; %bb.2868:                             ;   in Loop: Header=BB1_1755 Depth=1
	s_or_b32 exec_lo, exec_lo, s16
	s_add_co_i32 s12, s6, 0x9f
	v_lshl_add_u64 v[4:5], s[4:5], 4, v[12:13]
	s_mul_hi_u32 s0, s12, 0x10624dd3
	s_mov_b32 s16, 0
	s_lshr_b32 s4, s0, 6
	s_mov_b32 s17, s14
	s_mulk_i32 s4, 0x3e8
	s_or_b64 s[0:1], s[16:17], s[14:15]
	s_sub_co_i32 s4, s12, s4
	v_dual_mov_b32 v0, s0 :: v_dual_mov_b32 v1, s1
	s_lshl_b32 s0, s4, 12
	s_mov_b32 s1, s5
	v_dual_mov_b32 v3, s14 :: v_dual_mov_b32 v14, 0
	v_add_nc_u64_e32 v[8:9], s[0:1], v[10:11]
	s_lshl_b32 s4, s4, 8
	s_mov_b32 s13, s5
	s_mov_b32 s7, s16
	global_store_b128 v[4:5], v[0:3], off th:TH_STORE_NT
.LBB1_2869:                             ;   Parent Loop BB1_1755 Depth=1
                                        ; =>  This Inner Loop Header: Depth=2
	s_wait_loadcnt 0x0
	global_load_b128 v[4:7], v[8:9], off th:TH_LOAD_NT
	v_add_nc_u32_e32 v14, 1, v14
	s_mov_b32 s1, -1
	s_mov_b32 s14, -1
	s_mov_b32 s15, exec_lo
	s_wait_xcnt 0x0
	v_cmpx_eq_u32_e32 0xf4240, v14
	s_cbranch_execz .LBB1_2871
; %bb.2870:                             ;   in Loop: Header=BB1_2869 Depth=2
	s_wait_loadcnt 0x0
	s_wait_storecnt 0x0
	global_load_b32 v0, v2, s[10:11] scope:SCOPE_SYS
	s_wait_loadcnt 0x0
	global_inv scope:SCOPE_SYS
	v_mov_b32_e32 v14, 0
	v_cmp_eq_u32_e64 s0, 0, v0
	s_or_not1_b32 s14, s0, exec_lo
.LBB1_2871:                             ;   in Loop: Header=BB1_2869 Depth=2
	s_wait_xcnt 0x0
	s_or_b32 exec_lo, exec_lo, s15
	s_and_saveexec_b32 s15, s14
	s_cbranch_execz .LBB1_2873
; %bb.2872:                             ;   in Loop: Header=BB1_2869 Depth=2
	s_wait_loadcnt 0x0
	v_cmp_eq_u32_e64 s0, s12, v5
	v_cmp_eq_u32_e64 s1, s12, v7
	s_and_b32 s0, s0, s1
	s_delay_alu instid0(SALU_CYCLE_1)
	s_or_not1_b32 s1, s0, exec_lo
.LBB1_2873:                             ;   in Loop: Header=BB1_2869 Depth=2
	s_or_b32 exec_lo, exec_lo, s15
	s_delay_alu instid0(SALU_CYCLE_1) | instskip(NEXT) | instid1(SALU_CYCLE_1)
	s_and_b32 s0, exec_lo, s1
	s_or_b32 s7, s0, s7
	s_delay_alu instid0(SALU_CYCLE_1)
	s_and_not1_b32 exec_lo, exec_lo, s7
	s_cbranch_execnz .LBB1_2869
; %bb.2874:                             ;   in Loop: Header=BB1_2869 Depth=2
	s_or_b32 exec_lo, exec_lo, s7
	s_wait_loadcnt 0x0
	v_dual_mov_b32 v5, v6 :: v_dual_mov_b32 v14, 0
	s_mov_b32 s7, 0
	s_delay_alu instid0(VALU_DEP_1) | instskip(SKIP_1) | instid1(SALU_CYCLE_1)
	v_cmp_eq_u64_e64 s0, s[12:13], v[4:5]
	s_or_b32 s16, s0, s16
	s_and_not1_b32 exec_lo, exec_lo, s16
	s_cbranch_execnz .LBB1_2869
; %bb.2875:                             ;   in Loop: Header=BB1_1755 Depth=1
	s_or_b32 exec_lo, exec_lo, s16
	s_add_co_i32 s14, s6, 0xa0
	v_lshl_add_u64 v[4:5], s[4:5], 4, v[12:13]
	s_mul_hi_u32 s0, s14, 0x10624dd3
	s_mov_b32 s16, 0
	s_lshr_b32 s4, s0, 6
	s_mov_b32 s17, s12
	s_mulk_i32 s4, 0x3e8
	s_or_b64 s[0:1], s[16:17], s[12:13]
	s_sub_co_i32 s4, s14, s4
	v_dual_mov_b32 v0, s0 :: v_dual_mov_b32 v1, s1
	s_lshl_b32 s0, s4, 12
	s_mov_b32 s1, s5
	v_dual_mov_b32 v3, s12 :: v_dual_mov_b32 v14, 0
	v_add_nc_u64_e32 v[8:9], s[0:1], v[10:11]
	s_lshl_b32 s4, s4, 8
	s_mov_b32 s15, s5
	s_mov_b32 s7, s16
	global_store_b128 v[4:5], v[0:3], off th:TH_STORE_NT
.LBB1_2876:                             ;   Parent Loop BB1_1755 Depth=1
                                        ; =>  This Inner Loop Header: Depth=2
	s_wait_loadcnt 0x0
	global_load_b128 v[4:7], v[8:9], off th:TH_LOAD_NT
	v_add_nc_u32_e32 v14, 1, v14
	s_mov_b32 s1, -1
	s_mov_b32 s12, -1
	s_mov_b32 s13, exec_lo
	s_wait_xcnt 0x0
	v_cmpx_eq_u32_e32 0xf4240, v14
	s_cbranch_execz .LBB1_2878
; %bb.2877:                             ;   in Loop: Header=BB1_2876 Depth=2
	s_wait_loadcnt 0x0
	s_wait_storecnt 0x0
	global_load_b32 v0, v2, s[10:11] scope:SCOPE_SYS
	s_wait_loadcnt 0x0
	global_inv scope:SCOPE_SYS
	v_mov_b32_e32 v14, 0
	v_cmp_eq_u32_e64 s0, 0, v0
	s_or_not1_b32 s12, s0, exec_lo
.LBB1_2878:                             ;   in Loop: Header=BB1_2876 Depth=2
	s_wait_xcnt 0x0
	s_or_b32 exec_lo, exec_lo, s13
	s_and_saveexec_b32 s13, s12
	s_cbranch_execz .LBB1_2880
; %bb.2879:                             ;   in Loop: Header=BB1_2876 Depth=2
	s_wait_loadcnt 0x0
	v_cmp_eq_u32_e64 s0, s14, v5
	v_cmp_eq_u32_e64 s1, s14, v7
	s_and_b32 s0, s0, s1
	s_delay_alu instid0(SALU_CYCLE_1)
	s_or_not1_b32 s1, s0, exec_lo
.LBB1_2880:                             ;   in Loop: Header=BB1_2876 Depth=2
	s_or_b32 exec_lo, exec_lo, s13
	s_delay_alu instid0(SALU_CYCLE_1) | instskip(NEXT) | instid1(SALU_CYCLE_1)
	s_and_b32 s0, exec_lo, s1
	s_or_b32 s7, s0, s7
	s_delay_alu instid0(SALU_CYCLE_1)
	s_and_not1_b32 exec_lo, exec_lo, s7
	s_cbranch_execnz .LBB1_2876
; %bb.2881:                             ;   in Loop: Header=BB1_2876 Depth=2
	s_or_b32 exec_lo, exec_lo, s7
	s_wait_loadcnt 0x0
	v_dual_mov_b32 v5, v6 :: v_dual_mov_b32 v14, 0
	s_mov_b32 s7, 0
	s_delay_alu instid0(VALU_DEP_1) | instskip(SKIP_1) | instid1(SALU_CYCLE_1)
	v_cmp_eq_u64_e64 s0, s[14:15], v[4:5]
	s_or_b32 s16, s0, s16
	s_and_not1_b32 exec_lo, exec_lo, s16
	s_cbranch_execnz .LBB1_2876
; %bb.2882:                             ;   in Loop: Header=BB1_1755 Depth=1
	s_or_b32 exec_lo, exec_lo, s16
	s_add_co_i32 s12, s6, 0xa1
	v_lshl_add_u64 v[4:5], s[4:5], 4, v[12:13]
	s_mul_hi_u32 s0, s12, 0x10624dd3
	s_mov_b32 s16, 0
	s_lshr_b32 s4, s0, 6
	s_mov_b32 s17, s14
	s_mulk_i32 s4, 0x3e8
	s_or_b64 s[0:1], s[16:17], s[14:15]
	s_sub_co_i32 s4, s12, s4
	v_dual_mov_b32 v0, s0 :: v_dual_mov_b32 v1, s1
	s_lshl_b32 s0, s4, 12
	s_mov_b32 s1, s5
	v_dual_mov_b32 v3, s14 :: v_dual_mov_b32 v14, 0
	v_add_nc_u64_e32 v[8:9], s[0:1], v[10:11]
	s_lshl_b32 s4, s4, 8
	s_mov_b32 s13, s5
	s_mov_b32 s7, s16
	global_store_b128 v[4:5], v[0:3], off th:TH_STORE_NT
.LBB1_2883:                             ;   Parent Loop BB1_1755 Depth=1
                                        ; =>  This Inner Loop Header: Depth=2
	s_wait_loadcnt 0x0
	global_load_b128 v[4:7], v[8:9], off th:TH_LOAD_NT
	v_add_nc_u32_e32 v14, 1, v14
	s_mov_b32 s1, -1
	s_mov_b32 s14, -1
	s_mov_b32 s15, exec_lo
	s_wait_xcnt 0x0
	v_cmpx_eq_u32_e32 0xf4240, v14
	s_cbranch_execz .LBB1_2885
; %bb.2884:                             ;   in Loop: Header=BB1_2883 Depth=2
	s_wait_loadcnt 0x0
	s_wait_storecnt 0x0
	global_load_b32 v0, v2, s[10:11] scope:SCOPE_SYS
	s_wait_loadcnt 0x0
	global_inv scope:SCOPE_SYS
	v_mov_b32_e32 v14, 0
	v_cmp_eq_u32_e64 s0, 0, v0
	s_or_not1_b32 s14, s0, exec_lo
.LBB1_2885:                             ;   in Loop: Header=BB1_2883 Depth=2
	s_wait_xcnt 0x0
	s_or_b32 exec_lo, exec_lo, s15
	s_and_saveexec_b32 s15, s14
	s_cbranch_execz .LBB1_2887
; %bb.2886:                             ;   in Loop: Header=BB1_2883 Depth=2
	s_wait_loadcnt 0x0
	v_cmp_eq_u32_e64 s0, s12, v5
	v_cmp_eq_u32_e64 s1, s12, v7
	s_and_b32 s0, s0, s1
	s_delay_alu instid0(SALU_CYCLE_1)
	s_or_not1_b32 s1, s0, exec_lo
.LBB1_2887:                             ;   in Loop: Header=BB1_2883 Depth=2
	s_or_b32 exec_lo, exec_lo, s15
	s_delay_alu instid0(SALU_CYCLE_1) | instskip(NEXT) | instid1(SALU_CYCLE_1)
	s_and_b32 s0, exec_lo, s1
	s_or_b32 s7, s0, s7
	s_delay_alu instid0(SALU_CYCLE_1)
	s_and_not1_b32 exec_lo, exec_lo, s7
	s_cbranch_execnz .LBB1_2883
; %bb.2888:                             ;   in Loop: Header=BB1_2883 Depth=2
	s_or_b32 exec_lo, exec_lo, s7
	s_wait_loadcnt 0x0
	v_dual_mov_b32 v5, v6 :: v_dual_mov_b32 v14, 0
	s_mov_b32 s7, 0
	s_delay_alu instid0(VALU_DEP_1) | instskip(SKIP_1) | instid1(SALU_CYCLE_1)
	v_cmp_eq_u64_e64 s0, s[12:13], v[4:5]
	s_or_b32 s16, s0, s16
	s_and_not1_b32 exec_lo, exec_lo, s16
	s_cbranch_execnz .LBB1_2883
; %bb.2889:                             ;   in Loop: Header=BB1_1755 Depth=1
	s_or_b32 exec_lo, exec_lo, s16
	s_add_co_i32 s14, s6, 0xa2
	v_lshl_add_u64 v[4:5], s[4:5], 4, v[12:13]
	s_mul_hi_u32 s0, s14, 0x10624dd3
	s_mov_b32 s16, 0
	s_lshr_b32 s4, s0, 6
	s_mov_b32 s17, s12
	s_mulk_i32 s4, 0x3e8
	s_or_b64 s[0:1], s[16:17], s[12:13]
	s_sub_co_i32 s4, s14, s4
	v_dual_mov_b32 v0, s0 :: v_dual_mov_b32 v1, s1
	s_lshl_b32 s0, s4, 12
	s_mov_b32 s1, s5
	v_dual_mov_b32 v3, s12 :: v_dual_mov_b32 v14, 0
	v_add_nc_u64_e32 v[8:9], s[0:1], v[10:11]
	s_lshl_b32 s4, s4, 8
	s_mov_b32 s15, s5
	s_mov_b32 s7, s16
	global_store_b128 v[4:5], v[0:3], off th:TH_STORE_NT
.LBB1_2890:                             ;   Parent Loop BB1_1755 Depth=1
                                        ; =>  This Inner Loop Header: Depth=2
	s_wait_loadcnt 0x0
	global_load_b128 v[4:7], v[8:9], off th:TH_LOAD_NT
	v_add_nc_u32_e32 v14, 1, v14
	s_mov_b32 s1, -1
	s_mov_b32 s12, -1
	s_mov_b32 s13, exec_lo
	s_wait_xcnt 0x0
	v_cmpx_eq_u32_e32 0xf4240, v14
	s_cbranch_execz .LBB1_2892
; %bb.2891:                             ;   in Loop: Header=BB1_2890 Depth=2
	s_wait_loadcnt 0x0
	s_wait_storecnt 0x0
	global_load_b32 v0, v2, s[10:11] scope:SCOPE_SYS
	s_wait_loadcnt 0x0
	global_inv scope:SCOPE_SYS
	v_mov_b32_e32 v14, 0
	v_cmp_eq_u32_e64 s0, 0, v0
	s_or_not1_b32 s12, s0, exec_lo
.LBB1_2892:                             ;   in Loop: Header=BB1_2890 Depth=2
	s_wait_xcnt 0x0
	s_or_b32 exec_lo, exec_lo, s13
	s_and_saveexec_b32 s13, s12
	s_cbranch_execz .LBB1_2894
; %bb.2893:                             ;   in Loop: Header=BB1_2890 Depth=2
	s_wait_loadcnt 0x0
	v_cmp_eq_u32_e64 s0, s14, v5
	v_cmp_eq_u32_e64 s1, s14, v7
	s_and_b32 s0, s0, s1
	s_delay_alu instid0(SALU_CYCLE_1)
	s_or_not1_b32 s1, s0, exec_lo
.LBB1_2894:                             ;   in Loop: Header=BB1_2890 Depth=2
	s_or_b32 exec_lo, exec_lo, s13
	s_delay_alu instid0(SALU_CYCLE_1) | instskip(NEXT) | instid1(SALU_CYCLE_1)
	s_and_b32 s0, exec_lo, s1
	s_or_b32 s7, s0, s7
	s_delay_alu instid0(SALU_CYCLE_1)
	s_and_not1_b32 exec_lo, exec_lo, s7
	s_cbranch_execnz .LBB1_2890
; %bb.2895:                             ;   in Loop: Header=BB1_2890 Depth=2
	s_or_b32 exec_lo, exec_lo, s7
	s_wait_loadcnt 0x0
	v_dual_mov_b32 v5, v6 :: v_dual_mov_b32 v14, 0
	s_mov_b32 s7, 0
	s_delay_alu instid0(VALU_DEP_1) | instskip(SKIP_1) | instid1(SALU_CYCLE_1)
	v_cmp_eq_u64_e64 s0, s[14:15], v[4:5]
	s_or_b32 s16, s0, s16
	s_and_not1_b32 exec_lo, exec_lo, s16
	s_cbranch_execnz .LBB1_2890
; %bb.2896:                             ;   in Loop: Header=BB1_1755 Depth=1
	s_or_b32 exec_lo, exec_lo, s16
	s_add_co_i32 s12, s6, 0xa3
	v_lshl_add_u64 v[4:5], s[4:5], 4, v[12:13]
	s_mul_hi_u32 s0, s12, 0x10624dd3
	s_mov_b32 s16, 0
	s_lshr_b32 s4, s0, 6
	s_mov_b32 s17, s14
	s_mulk_i32 s4, 0x3e8
	s_or_b64 s[0:1], s[16:17], s[14:15]
	s_sub_co_i32 s4, s12, s4
	v_dual_mov_b32 v0, s0 :: v_dual_mov_b32 v1, s1
	s_lshl_b32 s0, s4, 12
	s_mov_b32 s1, s5
	v_dual_mov_b32 v3, s14 :: v_dual_mov_b32 v14, 0
	v_add_nc_u64_e32 v[8:9], s[0:1], v[10:11]
	s_lshl_b32 s4, s4, 8
	s_mov_b32 s13, s5
	s_mov_b32 s7, s16
	global_store_b128 v[4:5], v[0:3], off th:TH_STORE_NT
.LBB1_2897:                             ;   Parent Loop BB1_1755 Depth=1
                                        ; =>  This Inner Loop Header: Depth=2
	s_wait_loadcnt 0x0
	global_load_b128 v[4:7], v[8:9], off th:TH_LOAD_NT
	v_add_nc_u32_e32 v14, 1, v14
	s_mov_b32 s1, -1
	s_mov_b32 s14, -1
	s_mov_b32 s15, exec_lo
	s_wait_xcnt 0x0
	v_cmpx_eq_u32_e32 0xf4240, v14
	s_cbranch_execz .LBB1_2899
; %bb.2898:                             ;   in Loop: Header=BB1_2897 Depth=2
	s_wait_loadcnt 0x0
	s_wait_storecnt 0x0
	global_load_b32 v0, v2, s[10:11] scope:SCOPE_SYS
	s_wait_loadcnt 0x0
	global_inv scope:SCOPE_SYS
	v_mov_b32_e32 v14, 0
	v_cmp_eq_u32_e64 s0, 0, v0
	s_or_not1_b32 s14, s0, exec_lo
.LBB1_2899:                             ;   in Loop: Header=BB1_2897 Depth=2
	s_wait_xcnt 0x0
	s_or_b32 exec_lo, exec_lo, s15
	s_and_saveexec_b32 s15, s14
	s_cbranch_execz .LBB1_2901
; %bb.2900:                             ;   in Loop: Header=BB1_2897 Depth=2
	s_wait_loadcnt 0x0
	v_cmp_eq_u32_e64 s0, s12, v5
	v_cmp_eq_u32_e64 s1, s12, v7
	s_and_b32 s0, s0, s1
	s_delay_alu instid0(SALU_CYCLE_1)
	s_or_not1_b32 s1, s0, exec_lo
.LBB1_2901:                             ;   in Loop: Header=BB1_2897 Depth=2
	s_or_b32 exec_lo, exec_lo, s15
	s_delay_alu instid0(SALU_CYCLE_1) | instskip(NEXT) | instid1(SALU_CYCLE_1)
	s_and_b32 s0, exec_lo, s1
	s_or_b32 s7, s0, s7
	s_delay_alu instid0(SALU_CYCLE_1)
	s_and_not1_b32 exec_lo, exec_lo, s7
	s_cbranch_execnz .LBB1_2897
; %bb.2902:                             ;   in Loop: Header=BB1_2897 Depth=2
	s_or_b32 exec_lo, exec_lo, s7
	s_wait_loadcnt 0x0
	v_dual_mov_b32 v5, v6 :: v_dual_mov_b32 v14, 0
	s_mov_b32 s7, 0
	s_delay_alu instid0(VALU_DEP_1) | instskip(SKIP_1) | instid1(SALU_CYCLE_1)
	v_cmp_eq_u64_e64 s0, s[12:13], v[4:5]
	s_or_b32 s16, s0, s16
	s_and_not1_b32 exec_lo, exec_lo, s16
	s_cbranch_execnz .LBB1_2897
; %bb.2903:                             ;   in Loop: Header=BB1_1755 Depth=1
	s_or_b32 exec_lo, exec_lo, s16
	s_add_co_i32 s14, s6, 0xa4
	v_lshl_add_u64 v[4:5], s[4:5], 4, v[12:13]
	s_mul_hi_u32 s0, s14, 0x10624dd3
	s_mov_b32 s16, 0
	s_lshr_b32 s4, s0, 6
	s_mov_b32 s17, s12
	s_mulk_i32 s4, 0x3e8
	s_or_b64 s[0:1], s[16:17], s[12:13]
	s_sub_co_i32 s4, s14, s4
	v_dual_mov_b32 v0, s0 :: v_dual_mov_b32 v1, s1
	s_lshl_b32 s0, s4, 12
	s_mov_b32 s1, s5
	v_dual_mov_b32 v3, s12 :: v_dual_mov_b32 v14, 0
	v_add_nc_u64_e32 v[8:9], s[0:1], v[10:11]
	s_lshl_b32 s4, s4, 8
	s_mov_b32 s15, s5
	s_mov_b32 s7, s16
	global_store_b128 v[4:5], v[0:3], off th:TH_STORE_NT
.LBB1_2904:                             ;   Parent Loop BB1_1755 Depth=1
                                        ; =>  This Inner Loop Header: Depth=2
	s_wait_loadcnt 0x0
	global_load_b128 v[4:7], v[8:9], off th:TH_LOAD_NT
	v_add_nc_u32_e32 v14, 1, v14
	s_mov_b32 s1, -1
	s_mov_b32 s12, -1
	s_mov_b32 s13, exec_lo
	s_wait_xcnt 0x0
	v_cmpx_eq_u32_e32 0xf4240, v14
	s_cbranch_execz .LBB1_2906
; %bb.2905:                             ;   in Loop: Header=BB1_2904 Depth=2
	s_wait_loadcnt 0x0
	s_wait_storecnt 0x0
	global_load_b32 v0, v2, s[10:11] scope:SCOPE_SYS
	s_wait_loadcnt 0x0
	global_inv scope:SCOPE_SYS
	v_mov_b32_e32 v14, 0
	v_cmp_eq_u32_e64 s0, 0, v0
	s_or_not1_b32 s12, s0, exec_lo
.LBB1_2906:                             ;   in Loop: Header=BB1_2904 Depth=2
	s_wait_xcnt 0x0
	s_or_b32 exec_lo, exec_lo, s13
	s_and_saveexec_b32 s13, s12
	s_cbranch_execz .LBB1_2908
; %bb.2907:                             ;   in Loop: Header=BB1_2904 Depth=2
	s_wait_loadcnt 0x0
	v_cmp_eq_u32_e64 s0, s14, v5
	v_cmp_eq_u32_e64 s1, s14, v7
	s_and_b32 s0, s0, s1
	s_delay_alu instid0(SALU_CYCLE_1)
	s_or_not1_b32 s1, s0, exec_lo
.LBB1_2908:                             ;   in Loop: Header=BB1_2904 Depth=2
	s_or_b32 exec_lo, exec_lo, s13
	s_delay_alu instid0(SALU_CYCLE_1) | instskip(NEXT) | instid1(SALU_CYCLE_1)
	s_and_b32 s0, exec_lo, s1
	s_or_b32 s7, s0, s7
	s_delay_alu instid0(SALU_CYCLE_1)
	s_and_not1_b32 exec_lo, exec_lo, s7
	s_cbranch_execnz .LBB1_2904
; %bb.2909:                             ;   in Loop: Header=BB1_2904 Depth=2
	s_or_b32 exec_lo, exec_lo, s7
	s_wait_loadcnt 0x0
	v_dual_mov_b32 v5, v6 :: v_dual_mov_b32 v14, 0
	s_mov_b32 s7, 0
	s_delay_alu instid0(VALU_DEP_1) | instskip(SKIP_1) | instid1(SALU_CYCLE_1)
	v_cmp_eq_u64_e64 s0, s[14:15], v[4:5]
	s_or_b32 s16, s0, s16
	s_and_not1_b32 exec_lo, exec_lo, s16
	s_cbranch_execnz .LBB1_2904
; %bb.2910:                             ;   in Loop: Header=BB1_1755 Depth=1
	s_or_b32 exec_lo, exec_lo, s16
	s_add_co_i32 s12, s6, 0xa5
	v_lshl_add_u64 v[4:5], s[4:5], 4, v[12:13]
	s_mul_hi_u32 s0, s12, 0x10624dd3
	s_mov_b32 s16, 0
	s_lshr_b32 s4, s0, 6
	s_mov_b32 s17, s14
	s_mulk_i32 s4, 0x3e8
	s_or_b64 s[0:1], s[16:17], s[14:15]
	s_sub_co_i32 s4, s12, s4
	v_dual_mov_b32 v0, s0 :: v_dual_mov_b32 v1, s1
	s_lshl_b32 s0, s4, 12
	s_mov_b32 s1, s5
	v_dual_mov_b32 v3, s14 :: v_dual_mov_b32 v14, 0
	v_add_nc_u64_e32 v[8:9], s[0:1], v[10:11]
	s_lshl_b32 s4, s4, 8
	s_mov_b32 s13, s5
	s_mov_b32 s7, s16
	global_store_b128 v[4:5], v[0:3], off th:TH_STORE_NT
.LBB1_2911:                             ;   Parent Loop BB1_1755 Depth=1
                                        ; =>  This Inner Loop Header: Depth=2
	s_wait_loadcnt 0x0
	global_load_b128 v[4:7], v[8:9], off th:TH_LOAD_NT
	v_add_nc_u32_e32 v14, 1, v14
	s_mov_b32 s1, -1
	s_mov_b32 s14, -1
	s_mov_b32 s15, exec_lo
	s_wait_xcnt 0x0
	v_cmpx_eq_u32_e32 0xf4240, v14
	s_cbranch_execz .LBB1_2913
; %bb.2912:                             ;   in Loop: Header=BB1_2911 Depth=2
	s_wait_loadcnt 0x0
	s_wait_storecnt 0x0
	global_load_b32 v0, v2, s[10:11] scope:SCOPE_SYS
	s_wait_loadcnt 0x0
	global_inv scope:SCOPE_SYS
	v_mov_b32_e32 v14, 0
	v_cmp_eq_u32_e64 s0, 0, v0
	s_or_not1_b32 s14, s0, exec_lo
.LBB1_2913:                             ;   in Loop: Header=BB1_2911 Depth=2
	s_wait_xcnt 0x0
	s_or_b32 exec_lo, exec_lo, s15
	s_and_saveexec_b32 s15, s14
	s_cbranch_execz .LBB1_2915
; %bb.2914:                             ;   in Loop: Header=BB1_2911 Depth=2
	s_wait_loadcnt 0x0
	v_cmp_eq_u32_e64 s0, s12, v5
	v_cmp_eq_u32_e64 s1, s12, v7
	s_and_b32 s0, s0, s1
	s_delay_alu instid0(SALU_CYCLE_1)
	s_or_not1_b32 s1, s0, exec_lo
.LBB1_2915:                             ;   in Loop: Header=BB1_2911 Depth=2
	s_or_b32 exec_lo, exec_lo, s15
	s_delay_alu instid0(SALU_CYCLE_1) | instskip(NEXT) | instid1(SALU_CYCLE_1)
	s_and_b32 s0, exec_lo, s1
	s_or_b32 s7, s0, s7
	s_delay_alu instid0(SALU_CYCLE_1)
	s_and_not1_b32 exec_lo, exec_lo, s7
	s_cbranch_execnz .LBB1_2911
; %bb.2916:                             ;   in Loop: Header=BB1_2911 Depth=2
	s_or_b32 exec_lo, exec_lo, s7
	s_wait_loadcnt 0x0
	v_dual_mov_b32 v5, v6 :: v_dual_mov_b32 v14, 0
	s_mov_b32 s7, 0
	s_delay_alu instid0(VALU_DEP_1) | instskip(SKIP_1) | instid1(SALU_CYCLE_1)
	v_cmp_eq_u64_e64 s0, s[12:13], v[4:5]
	s_or_b32 s16, s0, s16
	s_and_not1_b32 exec_lo, exec_lo, s16
	s_cbranch_execnz .LBB1_2911
; %bb.2917:                             ;   in Loop: Header=BB1_1755 Depth=1
	s_or_b32 exec_lo, exec_lo, s16
	s_add_co_i32 s14, s6, 0xa6
	v_lshl_add_u64 v[4:5], s[4:5], 4, v[12:13]
	s_mul_hi_u32 s0, s14, 0x10624dd3
	s_mov_b32 s16, 0
	s_lshr_b32 s4, s0, 6
	s_mov_b32 s17, s12
	s_mulk_i32 s4, 0x3e8
	s_or_b64 s[0:1], s[16:17], s[12:13]
	s_sub_co_i32 s4, s14, s4
	v_dual_mov_b32 v0, s0 :: v_dual_mov_b32 v1, s1
	s_lshl_b32 s0, s4, 12
	s_mov_b32 s1, s5
	v_dual_mov_b32 v3, s12 :: v_dual_mov_b32 v14, 0
	v_add_nc_u64_e32 v[8:9], s[0:1], v[10:11]
	s_lshl_b32 s4, s4, 8
	s_mov_b32 s15, s5
	s_mov_b32 s7, s16
	global_store_b128 v[4:5], v[0:3], off th:TH_STORE_NT
.LBB1_2918:                             ;   Parent Loop BB1_1755 Depth=1
                                        ; =>  This Inner Loop Header: Depth=2
	s_wait_loadcnt 0x0
	global_load_b128 v[4:7], v[8:9], off th:TH_LOAD_NT
	v_add_nc_u32_e32 v14, 1, v14
	s_mov_b32 s1, -1
	s_mov_b32 s12, -1
	s_mov_b32 s13, exec_lo
	s_wait_xcnt 0x0
	v_cmpx_eq_u32_e32 0xf4240, v14
	s_cbranch_execz .LBB1_2920
; %bb.2919:                             ;   in Loop: Header=BB1_2918 Depth=2
	s_wait_loadcnt 0x0
	s_wait_storecnt 0x0
	global_load_b32 v0, v2, s[10:11] scope:SCOPE_SYS
	s_wait_loadcnt 0x0
	global_inv scope:SCOPE_SYS
	v_mov_b32_e32 v14, 0
	v_cmp_eq_u32_e64 s0, 0, v0
	s_or_not1_b32 s12, s0, exec_lo
.LBB1_2920:                             ;   in Loop: Header=BB1_2918 Depth=2
	s_wait_xcnt 0x0
	s_or_b32 exec_lo, exec_lo, s13
	s_and_saveexec_b32 s13, s12
	s_cbranch_execz .LBB1_2922
; %bb.2921:                             ;   in Loop: Header=BB1_2918 Depth=2
	s_wait_loadcnt 0x0
	v_cmp_eq_u32_e64 s0, s14, v5
	v_cmp_eq_u32_e64 s1, s14, v7
	s_and_b32 s0, s0, s1
	s_delay_alu instid0(SALU_CYCLE_1)
	s_or_not1_b32 s1, s0, exec_lo
.LBB1_2922:                             ;   in Loop: Header=BB1_2918 Depth=2
	s_or_b32 exec_lo, exec_lo, s13
	s_delay_alu instid0(SALU_CYCLE_1) | instskip(NEXT) | instid1(SALU_CYCLE_1)
	s_and_b32 s0, exec_lo, s1
	s_or_b32 s7, s0, s7
	s_delay_alu instid0(SALU_CYCLE_1)
	s_and_not1_b32 exec_lo, exec_lo, s7
	s_cbranch_execnz .LBB1_2918
; %bb.2923:                             ;   in Loop: Header=BB1_2918 Depth=2
	s_or_b32 exec_lo, exec_lo, s7
	s_wait_loadcnt 0x0
	v_dual_mov_b32 v5, v6 :: v_dual_mov_b32 v14, 0
	s_mov_b32 s7, 0
	s_delay_alu instid0(VALU_DEP_1) | instskip(SKIP_1) | instid1(SALU_CYCLE_1)
	v_cmp_eq_u64_e64 s0, s[14:15], v[4:5]
	s_or_b32 s16, s0, s16
	s_and_not1_b32 exec_lo, exec_lo, s16
	s_cbranch_execnz .LBB1_2918
; %bb.2924:                             ;   in Loop: Header=BB1_1755 Depth=1
	s_or_b32 exec_lo, exec_lo, s16
	s_add_co_i32 s12, s6, 0xa7
	v_lshl_add_u64 v[4:5], s[4:5], 4, v[12:13]
	s_mul_hi_u32 s0, s12, 0x10624dd3
	s_mov_b32 s16, 0
	s_lshr_b32 s4, s0, 6
	s_mov_b32 s17, s14
	s_mulk_i32 s4, 0x3e8
	s_or_b64 s[0:1], s[16:17], s[14:15]
	s_sub_co_i32 s4, s12, s4
	v_dual_mov_b32 v0, s0 :: v_dual_mov_b32 v1, s1
	s_lshl_b32 s0, s4, 12
	s_mov_b32 s1, s5
	v_dual_mov_b32 v3, s14 :: v_dual_mov_b32 v14, 0
	v_add_nc_u64_e32 v[8:9], s[0:1], v[10:11]
	s_lshl_b32 s4, s4, 8
	s_mov_b32 s13, s5
	s_mov_b32 s7, s16
	global_store_b128 v[4:5], v[0:3], off th:TH_STORE_NT
.LBB1_2925:                             ;   Parent Loop BB1_1755 Depth=1
                                        ; =>  This Inner Loop Header: Depth=2
	s_wait_loadcnt 0x0
	global_load_b128 v[4:7], v[8:9], off th:TH_LOAD_NT
	v_add_nc_u32_e32 v14, 1, v14
	s_mov_b32 s1, -1
	s_mov_b32 s14, -1
	s_mov_b32 s15, exec_lo
	s_wait_xcnt 0x0
	v_cmpx_eq_u32_e32 0xf4240, v14
	s_cbranch_execz .LBB1_2927
; %bb.2926:                             ;   in Loop: Header=BB1_2925 Depth=2
	s_wait_loadcnt 0x0
	s_wait_storecnt 0x0
	global_load_b32 v0, v2, s[10:11] scope:SCOPE_SYS
	s_wait_loadcnt 0x0
	global_inv scope:SCOPE_SYS
	v_mov_b32_e32 v14, 0
	v_cmp_eq_u32_e64 s0, 0, v0
	s_or_not1_b32 s14, s0, exec_lo
.LBB1_2927:                             ;   in Loop: Header=BB1_2925 Depth=2
	s_wait_xcnt 0x0
	s_or_b32 exec_lo, exec_lo, s15
	s_and_saveexec_b32 s15, s14
	s_cbranch_execz .LBB1_2929
; %bb.2928:                             ;   in Loop: Header=BB1_2925 Depth=2
	s_wait_loadcnt 0x0
	v_cmp_eq_u32_e64 s0, s12, v5
	v_cmp_eq_u32_e64 s1, s12, v7
	s_and_b32 s0, s0, s1
	s_delay_alu instid0(SALU_CYCLE_1)
	s_or_not1_b32 s1, s0, exec_lo
.LBB1_2929:                             ;   in Loop: Header=BB1_2925 Depth=2
	s_or_b32 exec_lo, exec_lo, s15
	s_delay_alu instid0(SALU_CYCLE_1) | instskip(NEXT) | instid1(SALU_CYCLE_1)
	s_and_b32 s0, exec_lo, s1
	s_or_b32 s7, s0, s7
	s_delay_alu instid0(SALU_CYCLE_1)
	s_and_not1_b32 exec_lo, exec_lo, s7
	s_cbranch_execnz .LBB1_2925
; %bb.2930:                             ;   in Loop: Header=BB1_2925 Depth=2
	s_or_b32 exec_lo, exec_lo, s7
	s_wait_loadcnt 0x0
	v_dual_mov_b32 v5, v6 :: v_dual_mov_b32 v14, 0
	s_mov_b32 s7, 0
	s_delay_alu instid0(VALU_DEP_1) | instskip(SKIP_1) | instid1(SALU_CYCLE_1)
	v_cmp_eq_u64_e64 s0, s[12:13], v[4:5]
	s_or_b32 s16, s0, s16
	s_and_not1_b32 exec_lo, exec_lo, s16
	s_cbranch_execnz .LBB1_2925
; %bb.2931:                             ;   in Loop: Header=BB1_1755 Depth=1
	s_or_b32 exec_lo, exec_lo, s16
	s_add_co_i32 s14, s6, 0xa8
	v_lshl_add_u64 v[4:5], s[4:5], 4, v[12:13]
	s_mul_hi_u32 s0, s14, 0x10624dd3
	s_mov_b32 s16, 0
	s_lshr_b32 s4, s0, 6
	s_mov_b32 s17, s12
	s_mulk_i32 s4, 0x3e8
	s_or_b64 s[0:1], s[16:17], s[12:13]
	s_sub_co_i32 s4, s14, s4
	v_dual_mov_b32 v0, s0 :: v_dual_mov_b32 v1, s1
	s_lshl_b32 s0, s4, 12
	s_mov_b32 s1, s5
	v_dual_mov_b32 v3, s12 :: v_dual_mov_b32 v14, 0
	v_add_nc_u64_e32 v[8:9], s[0:1], v[10:11]
	s_lshl_b32 s4, s4, 8
	s_mov_b32 s15, s5
	s_mov_b32 s7, s16
	global_store_b128 v[4:5], v[0:3], off th:TH_STORE_NT
.LBB1_2932:                             ;   Parent Loop BB1_1755 Depth=1
                                        ; =>  This Inner Loop Header: Depth=2
	s_wait_loadcnt 0x0
	global_load_b128 v[4:7], v[8:9], off th:TH_LOAD_NT
	v_add_nc_u32_e32 v14, 1, v14
	s_mov_b32 s1, -1
	s_mov_b32 s12, -1
	s_mov_b32 s13, exec_lo
	s_wait_xcnt 0x0
	v_cmpx_eq_u32_e32 0xf4240, v14
	s_cbranch_execz .LBB1_2934
; %bb.2933:                             ;   in Loop: Header=BB1_2932 Depth=2
	s_wait_loadcnt 0x0
	s_wait_storecnt 0x0
	global_load_b32 v0, v2, s[10:11] scope:SCOPE_SYS
	s_wait_loadcnt 0x0
	global_inv scope:SCOPE_SYS
	v_mov_b32_e32 v14, 0
	v_cmp_eq_u32_e64 s0, 0, v0
	s_or_not1_b32 s12, s0, exec_lo
.LBB1_2934:                             ;   in Loop: Header=BB1_2932 Depth=2
	s_wait_xcnt 0x0
	s_or_b32 exec_lo, exec_lo, s13
	s_and_saveexec_b32 s13, s12
	s_cbranch_execz .LBB1_2936
; %bb.2935:                             ;   in Loop: Header=BB1_2932 Depth=2
	s_wait_loadcnt 0x0
	v_cmp_eq_u32_e64 s0, s14, v5
	v_cmp_eq_u32_e64 s1, s14, v7
	s_and_b32 s0, s0, s1
	s_delay_alu instid0(SALU_CYCLE_1)
	s_or_not1_b32 s1, s0, exec_lo
.LBB1_2936:                             ;   in Loop: Header=BB1_2932 Depth=2
	s_or_b32 exec_lo, exec_lo, s13
	s_delay_alu instid0(SALU_CYCLE_1) | instskip(NEXT) | instid1(SALU_CYCLE_1)
	s_and_b32 s0, exec_lo, s1
	s_or_b32 s7, s0, s7
	s_delay_alu instid0(SALU_CYCLE_1)
	s_and_not1_b32 exec_lo, exec_lo, s7
	s_cbranch_execnz .LBB1_2932
; %bb.2937:                             ;   in Loop: Header=BB1_2932 Depth=2
	s_or_b32 exec_lo, exec_lo, s7
	s_wait_loadcnt 0x0
	v_dual_mov_b32 v5, v6 :: v_dual_mov_b32 v14, 0
	s_mov_b32 s7, 0
	s_delay_alu instid0(VALU_DEP_1) | instskip(SKIP_1) | instid1(SALU_CYCLE_1)
	v_cmp_eq_u64_e64 s0, s[14:15], v[4:5]
	s_or_b32 s16, s0, s16
	s_and_not1_b32 exec_lo, exec_lo, s16
	s_cbranch_execnz .LBB1_2932
; %bb.2938:                             ;   in Loop: Header=BB1_1755 Depth=1
	s_or_b32 exec_lo, exec_lo, s16
	s_add_co_i32 s12, s6, 0xa9
	v_lshl_add_u64 v[4:5], s[4:5], 4, v[12:13]
	s_mul_hi_u32 s0, s12, 0x10624dd3
	s_mov_b32 s16, 0
	s_lshr_b32 s4, s0, 6
	s_mov_b32 s17, s14
	s_mulk_i32 s4, 0x3e8
	s_or_b64 s[0:1], s[16:17], s[14:15]
	s_sub_co_i32 s4, s12, s4
	v_dual_mov_b32 v0, s0 :: v_dual_mov_b32 v1, s1
	s_lshl_b32 s0, s4, 12
	s_mov_b32 s1, s5
	v_dual_mov_b32 v3, s14 :: v_dual_mov_b32 v14, 0
	v_add_nc_u64_e32 v[8:9], s[0:1], v[10:11]
	s_lshl_b32 s4, s4, 8
	s_mov_b32 s13, s5
	s_mov_b32 s7, s16
	global_store_b128 v[4:5], v[0:3], off th:TH_STORE_NT
.LBB1_2939:                             ;   Parent Loop BB1_1755 Depth=1
                                        ; =>  This Inner Loop Header: Depth=2
	s_wait_loadcnt 0x0
	global_load_b128 v[4:7], v[8:9], off th:TH_LOAD_NT
	v_add_nc_u32_e32 v14, 1, v14
	s_mov_b32 s1, -1
	s_mov_b32 s14, -1
	s_mov_b32 s15, exec_lo
	s_wait_xcnt 0x0
	v_cmpx_eq_u32_e32 0xf4240, v14
	s_cbranch_execz .LBB1_2941
; %bb.2940:                             ;   in Loop: Header=BB1_2939 Depth=2
	s_wait_loadcnt 0x0
	s_wait_storecnt 0x0
	global_load_b32 v0, v2, s[10:11] scope:SCOPE_SYS
	s_wait_loadcnt 0x0
	global_inv scope:SCOPE_SYS
	v_mov_b32_e32 v14, 0
	v_cmp_eq_u32_e64 s0, 0, v0
	s_or_not1_b32 s14, s0, exec_lo
.LBB1_2941:                             ;   in Loop: Header=BB1_2939 Depth=2
	s_wait_xcnt 0x0
	s_or_b32 exec_lo, exec_lo, s15
	s_and_saveexec_b32 s15, s14
	s_cbranch_execz .LBB1_2943
; %bb.2942:                             ;   in Loop: Header=BB1_2939 Depth=2
	s_wait_loadcnt 0x0
	v_cmp_eq_u32_e64 s0, s12, v5
	v_cmp_eq_u32_e64 s1, s12, v7
	s_and_b32 s0, s0, s1
	s_delay_alu instid0(SALU_CYCLE_1)
	s_or_not1_b32 s1, s0, exec_lo
.LBB1_2943:                             ;   in Loop: Header=BB1_2939 Depth=2
	s_or_b32 exec_lo, exec_lo, s15
	s_delay_alu instid0(SALU_CYCLE_1) | instskip(NEXT) | instid1(SALU_CYCLE_1)
	s_and_b32 s0, exec_lo, s1
	s_or_b32 s7, s0, s7
	s_delay_alu instid0(SALU_CYCLE_1)
	s_and_not1_b32 exec_lo, exec_lo, s7
	s_cbranch_execnz .LBB1_2939
; %bb.2944:                             ;   in Loop: Header=BB1_2939 Depth=2
	s_or_b32 exec_lo, exec_lo, s7
	s_wait_loadcnt 0x0
	v_dual_mov_b32 v5, v6 :: v_dual_mov_b32 v14, 0
	s_mov_b32 s7, 0
	s_delay_alu instid0(VALU_DEP_1) | instskip(SKIP_1) | instid1(SALU_CYCLE_1)
	v_cmp_eq_u64_e64 s0, s[12:13], v[4:5]
	s_or_b32 s16, s0, s16
	s_and_not1_b32 exec_lo, exec_lo, s16
	s_cbranch_execnz .LBB1_2939
; %bb.2945:                             ;   in Loop: Header=BB1_1755 Depth=1
	s_or_b32 exec_lo, exec_lo, s16
	s_add_co_i32 s14, s6, 0xaa
	v_lshl_add_u64 v[4:5], s[4:5], 4, v[12:13]
	s_mul_hi_u32 s0, s14, 0x10624dd3
	s_mov_b32 s16, 0
	s_lshr_b32 s4, s0, 6
	s_mov_b32 s17, s12
	s_mulk_i32 s4, 0x3e8
	s_or_b64 s[0:1], s[16:17], s[12:13]
	s_sub_co_i32 s4, s14, s4
	v_dual_mov_b32 v0, s0 :: v_dual_mov_b32 v1, s1
	s_lshl_b32 s0, s4, 12
	s_mov_b32 s1, s5
	v_dual_mov_b32 v3, s12 :: v_dual_mov_b32 v14, 0
	v_add_nc_u64_e32 v[8:9], s[0:1], v[10:11]
	s_lshl_b32 s4, s4, 8
	s_mov_b32 s15, s5
	s_mov_b32 s7, s16
	global_store_b128 v[4:5], v[0:3], off th:TH_STORE_NT
.LBB1_2946:                             ;   Parent Loop BB1_1755 Depth=1
                                        ; =>  This Inner Loop Header: Depth=2
	s_wait_loadcnt 0x0
	global_load_b128 v[4:7], v[8:9], off th:TH_LOAD_NT
	v_add_nc_u32_e32 v14, 1, v14
	s_mov_b32 s1, -1
	s_mov_b32 s12, -1
	s_mov_b32 s13, exec_lo
	s_wait_xcnt 0x0
	v_cmpx_eq_u32_e32 0xf4240, v14
	s_cbranch_execz .LBB1_2948
; %bb.2947:                             ;   in Loop: Header=BB1_2946 Depth=2
	s_wait_loadcnt 0x0
	s_wait_storecnt 0x0
	global_load_b32 v0, v2, s[10:11] scope:SCOPE_SYS
	s_wait_loadcnt 0x0
	global_inv scope:SCOPE_SYS
	v_mov_b32_e32 v14, 0
	v_cmp_eq_u32_e64 s0, 0, v0
	s_or_not1_b32 s12, s0, exec_lo
.LBB1_2948:                             ;   in Loop: Header=BB1_2946 Depth=2
	s_wait_xcnt 0x0
	s_or_b32 exec_lo, exec_lo, s13
	s_and_saveexec_b32 s13, s12
	s_cbranch_execz .LBB1_2950
; %bb.2949:                             ;   in Loop: Header=BB1_2946 Depth=2
	s_wait_loadcnt 0x0
	v_cmp_eq_u32_e64 s0, s14, v5
	v_cmp_eq_u32_e64 s1, s14, v7
	s_and_b32 s0, s0, s1
	s_delay_alu instid0(SALU_CYCLE_1)
	s_or_not1_b32 s1, s0, exec_lo
.LBB1_2950:                             ;   in Loop: Header=BB1_2946 Depth=2
	s_or_b32 exec_lo, exec_lo, s13
	s_delay_alu instid0(SALU_CYCLE_1) | instskip(NEXT) | instid1(SALU_CYCLE_1)
	s_and_b32 s0, exec_lo, s1
	s_or_b32 s7, s0, s7
	s_delay_alu instid0(SALU_CYCLE_1)
	s_and_not1_b32 exec_lo, exec_lo, s7
	s_cbranch_execnz .LBB1_2946
; %bb.2951:                             ;   in Loop: Header=BB1_2946 Depth=2
	s_or_b32 exec_lo, exec_lo, s7
	s_wait_loadcnt 0x0
	v_dual_mov_b32 v5, v6 :: v_dual_mov_b32 v14, 0
	s_mov_b32 s7, 0
	s_delay_alu instid0(VALU_DEP_1) | instskip(SKIP_1) | instid1(SALU_CYCLE_1)
	v_cmp_eq_u64_e64 s0, s[14:15], v[4:5]
	s_or_b32 s16, s0, s16
	s_and_not1_b32 exec_lo, exec_lo, s16
	s_cbranch_execnz .LBB1_2946
; %bb.2952:                             ;   in Loop: Header=BB1_1755 Depth=1
	s_or_b32 exec_lo, exec_lo, s16
	s_add_co_i32 s12, s6, 0xab
	v_lshl_add_u64 v[4:5], s[4:5], 4, v[12:13]
	s_mul_hi_u32 s0, s12, 0x10624dd3
	s_mov_b32 s16, 0
	s_lshr_b32 s4, s0, 6
	s_mov_b32 s17, s14
	s_mulk_i32 s4, 0x3e8
	s_or_b64 s[0:1], s[16:17], s[14:15]
	s_sub_co_i32 s4, s12, s4
	v_dual_mov_b32 v0, s0 :: v_dual_mov_b32 v1, s1
	s_lshl_b32 s0, s4, 12
	s_mov_b32 s1, s5
	v_dual_mov_b32 v3, s14 :: v_dual_mov_b32 v14, 0
	v_add_nc_u64_e32 v[8:9], s[0:1], v[10:11]
	s_lshl_b32 s4, s4, 8
	s_mov_b32 s13, s5
	s_mov_b32 s7, s16
	global_store_b128 v[4:5], v[0:3], off th:TH_STORE_NT
.LBB1_2953:                             ;   Parent Loop BB1_1755 Depth=1
                                        ; =>  This Inner Loop Header: Depth=2
	s_wait_loadcnt 0x0
	global_load_b128 v[4:7], v[8:9], off th:TH_LOAD_NT
	v_add_nc_u32_e32 v14, 1, v14
	s_mov_b32 s1, -1
	s_mov_b32 s14, -1
	s_mov_b32 s15, exec_lo
	s_wait_xcnt 0x0
	v_cmpx_eq_u32_e32 0xf4240, v14
	s_cbranch_execz .LBB1_2955
; %bb.2954:                             ;   in Loop: Header=BB1_2953 Depth=2
	s_wait_loadcnt 0x0
	s_wait_storecnt 0x0
	global_load_b32 v0, v2, s[10:11] scope:SCOPE_SYS
	s_wait_loadcnt 0x0
	global_inv scope:SCOPE_SYS
	v_mov_b32_e32 v14, 0
	v_cmp_eq_u32_e64 s0, 0, v0
	s_or_not1_b32 s14, s0, exec_lo
.LBB1_2955:                             ;   in Loop: Header=BB1_2953 Depth=2
	s_wait_xcnt 0x0
	s_or_b32 exec_lo, exec_lo, s15
	s_and_saveexec_b32 s15, s14
	s_cbranch_execz .LBB1_2957
; %bb.2956:                             ;   in Loop: Header=BB1_2953 Depth=2
	s_wait_loadcnt 0x0
	v_cmp_eq_u32_e64 s0, s12, v5
	v_cmp_eq_u32_e64 s1, s12, v7
	s_and_b32 s0, s0, s1
	s_delay_alu instid0(SALU_CYCLE_1)
	s_or_not1_b32 s1, s0, exec_lo
.LBB1_2957:                             ;   in Loop: Header=BB1_2953 Depth=2
	s_or_b32 exec_lo, exec_lo, s15
	s_delay_alu instid0(SALU_CYCLE_1) | instskip(NEXT) | instid1(SALU_CYCLE_1)
	s_and_b32 s0, exec_lo, s1
	s_or_b32 s7, s0, s7
	s_delay_alu instid0(SALU_CYCLE_1)
	s_and_not1_b32 exec_lo, exec_lo, s7
	s_cbranch_execnz .LBB1_2953
; %bb.2958:                             ;   in Loop: Header=BB1_2953 Depth=2
	s_or_b32 exec_lo, exec_lo, s7
	s_wait_loadcnt 0x0
	v_dual_mov_b32 v5, v6 :: v_dual_mov_b32 v14, 0
	s_mov_b32 s7, 0
	s_delay_alu instid0(VALU_DEP_1) | instskip(SKIP_1) | instid1(SALU_CYCLE_1)
	v_cmp_eq_u64_e64 s0, s[12:13], v[4:5]
	s_or_b32 s16, s0, s16
	s_and_not1_b32 exec_lo, exec_lo, s16
	s_cbranch_execnz .LBB1_2953
; %bb.2959:                             ;   in Loop: Header=BB1_1755 Depth=1
	s_or_b32 exec_lo, exec_lo, s16
	s_add_co_i32 s14, s6, 0xac
	v_lshl_add_u64 v[4:5], s[4:5], 4, v[12:13]
	s_mul_hi_u32 s0, s14, 0x10624dd3
	s_mov_b32 s16, 0
	s_lshr_b32 s4, s0, 6
	s_mov_b32 s17, s12
	s_mulk_i32 s4, 0x3e8
	s_or_b64 s[0:1], s[16:17], s[12:13]
	s_sub_co_i32 s4, s14, s4
	v_dual_mov_b32 v0, s0 :: v_dual_mov_b32 v1, s1
	s_lshl_b32 s0, s4, 12
	s_mov_b32 s1, s5
	v_dual_mov_b32 v3, s12 :: v_dual_mov_b32 v14, 0
	v_add_nc_u64_e32 v[8:9], s[0:1], v[10:11]
	s_lshl_b32 s4, s4, 8
	s_mov_b32 s15, s5
	s_mov_b32 s7, s16
	global_store_b128 v[4:5], v[0:3], off th:TH_STORE_NT
.LBB1_2960:                             ;   Parent Loop BB1_1755 Depth=1
                                        ; =>  This Inner Loop Header: Depth=2
	s_wait_loadcnt 0x0
	global_load_b128 v[4:7], v[8:9], off th:TH_LOAD_NT
	v_add_nc_u32_e32 v14, 1, v14
	s_mov_b32 s1, -1
	s_mov_b32 s12, -1
	s_mov_b32 s13, exec_lo
	s_wait_xcnt 0x0
	v_cmpx_eq_u32_e32 0xf4240, v14
	s_cbranch_execz .LBB1_2962
; %bb.2961:                             ;   in Loop: Header=BB1_2960 Depth=2
	s_wait_loadcnt 0x0
	s_wait_storecnt 0x0
	global_load_b32 v0, v2, s[10:11] scope:SCOPE_SYS
	s_wait_loadcnt 0x0
	global_inv scope:SCOPE_SYS
	v_mov_b32_e32 v14, 0
	v_cmp_eq_u32_e64 s0, 0, v0
	s_or_not1_b32 s12, s0, exec_lo
.LBB1_2962:                             ;   in Loop: Header=BB1_2960 Depth=2
	s_wait_xcnt 0x0
	s_or_b32 exec_lo, exec_lo, s13
	s_and_saveexec_b32 s13, s12
	s_cbranch_execz .LBB1_2964
; %bb.2963:                             ;   in Loop: Header=BB1_2960 Depth=2
	s_wait_loadcnt 0x0
	v_cmp_eq_u32_e64 s0, s14, v5
	v_cmp_eq_u32_e64 s1, s14, v7
	s_and_b32 s0, s0, s1
	s_delay_alu instid0(SALU_CYCLE_1)
	s_or_not1_b32 s1, s0, exec_lo
.LBB1_2964:                             ;   in Loop: Header=BB1_2960 Depth=2
	s_or_b32 exec_lo, exec_lo, s13
	s_delay_alu instid0(SALU_CYCLE_1) | instskip(NEXT) | instid1(SALU_CYCLE_1)
	s_and_b32 s0, exec_lo, s1
	s_or_b32 s7, s0, s7
	s_delay_alu instid0(SALU_CYCLE_1)
	s_and_not1_b32 exec_lo, exec_lo, s7
	s_cbranch_execnz .LBB1_2960
; %bb.2965:                             ;   in Loop: Header=BB1_2960 Depth=2
	s_or_b32 exec_lo, exec_lo, s7
	s_wait_loadcnt 0x0
	v_dual_mov_b32 v5, v6 :: v_dual_mov_b32 v14, 0
	s_mov_b32 s7, 0
	s_delay_alu instid0(VALU_DEP_1) | instskip(SKIP_1) | instid1(SALU_CYCLE_1)
	v_cmp_eq_u64_e64 s0, s[14:15], v[4:5]
	s_or_b32 s16, s0, s16
	s_and_not1_b32 exec_lo, exec_lo, s16
	s_cbranch_execnz .LBB1_2960
; %bb.2966:                             ;   in Loop: Header=BB1_1755 Depth=1
	s_or_b32 exec_lo, exec_lo, s16
	s_add_co_i32 s12, s6, 0xad
	v_lshl_add_u64 v[4:5], s[4:5], 4, v[12:13]
	s_mul_hi_u32 s0, s12, 0x10624dd3
	s_mov_b32 s16, 0
	s_lshr_b32 s4, s0, 6
	s_mov_b32 s17, s14
	s_mulk_i32 s4, 0x3e8
	s_or_b64 s[0:1], s[16:17], s[14:15]
	s_sub_co_i32 s4, s12, s4
	v_dual_mov_b32 v0, s0 :: v_dual_mov_b32 v1, s1
	s_lshl_b32 s0, s4, 12
	s_mov_b32 s1, s5
	v_dual_mov_b32 v3, s14 :: v_dual_mov_b32 v14, 0
	v_add_nc_u64_e32 v[8:9], s[0:1], v[10:11]
	s_lshl_b32 s4, s4, 8
	s_mov_b32 s13, s5
	s_mov_b32 s7, s16
	global_store_b128 v[4:5], v[0:3], off th:TH_STORE_NT
.LBB1_2967:                             ;   Parent Loop BB1_1755 Depth=1
                                        ; =>  This Inner Loop Header: Depth=2
	s_wait_loadcnt 0x0
	global_load_b128 v[4:7], v[8:9], off th:TH_LOAD_NT
	v_add_nc_u32_e32 v14, 1, v14
	s_mov_b32 s1, -1
	s_mov_b32 s14, -1
	s_mov_b32 s15, exec_lo
	s_wait_xcnt 0x0
	v_cmpx_eq_u32_e32 0xf4240, v14
	s_cbranch_execz .LBB1_2969
; %bb.2968:                             ;   in Loop: Header=BB1_2967 Depth=2
	s_wait_loadcnt 0x0
	s_wait_storecnt 0x0
	global_load_b32 v0, v2, s[10:11] scope:SCOPE_SYS
	s_wait_loadcnt 0x0
	global_inv scope:SCOPE_SYS
	v_mov_b32_e32 v14, 0
	v_cmp_eq_u32_e64 s0, 0, v0
	s_or_not1_b32 s14, s0, exec_lo
.LBB1_2969:                             ;   in Loop: Header=BB1_2967 Depth=2
	s_wait_xcnt 0x0
	s_or_b32 exec_lo, exec_lo, s15
	s_and_saveexec_b32 s15, s14
	s_cbranch_execz .LBB1_2971
; %bb.2970:                             ;   in Loop: Header=BB1_2967 Depth=2
	s_wait_loadcnt 0x0
	v_cmp_eq_u32_e64 s0, s12, v5
	v_cmp_eq_u32_e64 s1, s12, v7
	s_and_b32 s0, s0, s1
	s_delay_alu instid0(SALU_CYCLE_1)
	s_or_not1_b32 s1, s0, exec_lo
.LBB1_2971:                             ;   in Loop: Header=BB1_2967 Depth=2
	s_or_b32 exec_lo, exec_lo, s15
	s_delay_alu instid0(SALU_CYCLE_1) | instskip(NEXT) | instid1(SALU_CYCLE_1)
	s_and_b32 s0, exec_lo, s1
	s_or_b32 s7, s0, s7
	s_delay_alu instid0(SALU_CYCLE_1)
	s_and_not1_b32 exec_lo, exec_lo, s7
	s_cbranch_execnz .LBB1_2967
; %bb.2972:                             ;   in Loop: Header=BB1_2967 Depth=2
	s_or_b32 exec_lo, exec_lo, s7
	s_wait_loadcnt 0x0
	v_dual_mov_b32 v5, v6 :: v_dual_mov_b32 v14, 0
	s_mov_b32 s7, 0
	s_delay_alu instid0(VALU_DEP_1) | instskip(SKIP_1) | instid1(SALU_CYCLE_1)
	v_cmp_eq_u64_e64 s0, s[12:13], v[4:5]
	s_or_b32 s16, s0, s16
	s_and_not1_b32 exec_lo, exec_lo, s16
	s_cbranch_execnz .LBB1_2967
; %bb.2973:                             ;   in Loop: Header=BB1_1755 Depth=1
	s_or_b32 exec_lo, exec_lo, s16
	s_add_co_i32 s14, s6, 0xae
	v_lshl_add_u64 v[4:5], s[4:5], 4, v[12:13]
	s_mul_hi_u32 s0, s14, 0x10624dd3
	s_mov_b32 s16, 0
	s_lshr_b32 s4, s0, 6
	s_mov_b32 s17, s12
	s_mulk_i32 s4, 0x3e8
	s_or_b64 s[0:1], s[16:17], s[12:13]
	s_sub_co_i32 s4, s14, s4
	v_dual_mov_b32 v0, s0 :: v_dual_mov_b32 v1, s1
	s_lshl_b32 s0, s4, 12
	s_mov_b32 s1, s5
	v_dual_mov_b32 v3, s12 :: v_dual_mov_b32 v14, 0
	v_add_nc_u64_e32 v[8:9], s[0:1], v[10:11]
	s_lshl_b32 s4, s4, 8
	s_mov_b32 s15, s5
	s_mov_b32 s7, s16
	global_store_b128 v[4:5], v[0:3], off th:TH_STORE_NT
.LBB1_2974:                             ;   Parent Loop BB1_1755 Depth=1
                                        ; =>  This Inner Loop Header: Depth=2
	s_wait_loadcnt 0x0
	global_load_b128 v[4:7], v[8:9], off th:TH_LOAD_NT
	v_add_nc_u32_e32 v14, 1, v14
	s_mov_b32 s1, -1
	s_mov_b32 s12, -1
	s_mov_b32 s13, exec_lo
	s_wait_xcnt 0x0
	v_cmpx_eq_u32_e32 0xf4240, v14
	s_cbranch_execz .LBB1_2976
; %bb.2975:                             ;   in Loop: Header=BB1_2974 Depth=2
	s_wait_loadcnt 0x0
	s_wait_storecnt 0x0
	global_load_b32 v0, v2, s[10:11] scope:SCOPE_SYS
	s_wait_loadcnt 0x0
	global_inv scope:SCOPE_SYS
	v_mov_b32_e32 v14, 0
	v_cmp_eq_u32_e64 s0, 0, v0
	s_or_not1_b32 s12, s0, exec_lo
.LBB1_2976:                             ;   in Loop: Header=BB1_2974 Depth=2
	s_wait_xcnt 0x0
	s_or_b32 exec_lo, exec_lo, s13
	s_and_saveexec_b32 s13, s12
	s_cbranch_execz .LBB1_2978
; %bb.2977:                             ;   in Loop: Header=BB1_2974 Depth=2
	s_wait_loadcnt 0x0
	v_cmp_eq_u32_e64 s0, s14, v5
	v_cmp_eq_u32_e64 s1, s14, v7
	s_and_b32 s0, s0, s1
	s_delay_alu instid0(SALU_CYCLE_1)
	s_or_not1_b32 s1, s0, exec_lo
.LBB1_2978:                             ;   in Loop: Header=BB1_2974 Depth=2
	s_or_b32 exec_lo, exec_lo, s13
	s_delay_alu instid0(SALU_CYCLE_1) | instskip(NEXT) | instid1(SALU_CYCLE_1)
	s_and_b32 s0, exec_lo, s1
	s_or_b32 s7, s0, s7
	s_delay_alu instid0(SALU_CYCLE_1)
	s_and_not1_b32 exec_lo, exec_lo, s7
	s_cbranch_execnz .LBB1_2974
; %bb.2979:                             ;   in Loop: Header=BB1_2974 Depth=2
	s_or_b32 exec_lo, exec_lo, s7
	s_wait_loadcnt 0x0
	v_dual_mov_b32 v5, v6 :: v_dual_mov_b32 v14, 0
	s_mov_b32 s7, 0
	s_delay_alu instid0(VALU_DEP_1) | instskip(SKIP_1) | instid1(SALU_CYCLE_1)
	v_cmp_eq_u64_e64 s0, s[14:15], v[4:5]
	s_or_b32 s16, s0, s16
	s_and_not1_b32 exec_lo, exec_lo, s16
	s_cbranch_execnz .LBB1_2974
; %bb.2980:                             ;   in Loop: Header=BB1_1755 Depth=1
	s_or_b32 exec_lo, exec_lo, s16
	s_add_co_i32 s12, s6, 0xaf
	v_lshl_add_u64 v[4:5], s[4:5], 4, v[12:13]
	s_mul_hi_u32 s0, s12, 0x10624dd3
	s_mov_b32 s16, 0
	s_lshr_b32 s4, s0, 6
	s_mov_b32 s17, s14
	s_mulk_i32 s4, 0x3e8
	s_or_b64 s[0:1], s[16:17], s[14:15]
	s_sub_co_i32 s4, s12, s4
	v_dual_mov_b32 v0, s0 :: v_dual_mov_b32 v1, s1
	s_lshl_b32 s0, s4, 12
	s_mov_b32 s1, s5
	v_dual_mov_b32 v3, s14 :: v_dual_mov_b32 v14, 0
	v_add_nc_u64_e32 v[8:9], s[0:1], v[10:11]
	s_lshl_b32 s4, s4, 8
	s_mov_b32 s13, s5
	s_mov_b32 s7, s16
	global_store_b128 v[4:5], v[0:3], off th:TH_STORE_NT
.LBB1_2981:                             ;   Parent Loop BB1_1755 Depth=1
                                        ; =>  This Inner Loop Header: Depth=2
	s_wait_loadcnt 0x0
	global_load_b128 v[4:7], v[8:9], off th:TH_LOAD_NT
	v_add_nc_u32_e32 v14, 1, v14
	s_mov_b32 s1, -1
	s_mov_b32 s14, -1
	s_mov_b32 s15, exec_lo
	s_wait_xcnt 0x0
	v_cmpx_eq_u32_e32 0xf4240, v14
	s_cbranch_execz .LBB1_2983
; %bb.2982:                             ;   in Loop: Header=BB1_2981 Depth=2
	s_wait_loadcnt 0x0
	s_wait_storecnt 0x0
	global_load_b32 v0, v2, s[10:11] scope:SCOPE_SYS
	s_wait_loadcnt 0x0
	global_inv scope:SCOPE_SYS
	v_mov_b32_e32 v14, 0
	v_cmp_eq_u32_e64 s0, 0, v0
	s_or_not1_b32 s14, s0, exec_lo
.LBB1_2983:                             ;   in Loop: Header=BB1_2981 Depth=2
	s_wait_xcnt 0x0
	s_or_b32 exec_lo, exec_lo, s15
	s_and_saveexec_b32 s15, s14
	s_cbranch_execz .LBB1_2985
; %bb.2984:                             ;   in Loop: Header=BB1_2981 Depth=2
	s_wait_loadcnt 0x0
	v_cmp_eq_u32_e64 s0, s12, v5
	v_cmp_eq_u32_e64 s1, s12, v7
	s_and_b32 s0, s0, s1
	s_delay_alu instid0(SALU_CYCLE_1)
	s_or_not1_b32 s1, s0, exec_lo
.LBB1_2985:                             ;   in Loop: Header=BB1_2981 Depth=2
	s_or_b32 exec_lo, exec_lo, s15
	s_delay_alu instid0(SALU_CYCLE_1) | instskip(NEXT) | instid1(SALU_CYCLE_1)
	s_and_b32 s0, exec_lo, s1
	s_or_b32 s7, s0, s7
	s_delay_alu instid0(SALU_CYCLE_1)
	s_and_not1_b32 exec_lo, exec_lo, s7
	s_cbranch_execnz .LBB1_2981
; %bb.2986:                             ;   in Loop: Header=BB1_2981 Depth=2
	s_or_b32 exec_lo, exec_lo, s7
	s_wait_loadcnt 0x0
	v_dual_mov_b32 v5, v6 :: v_dual_mov_b32 v14, 0
	s_mov_b32 s7, 0
	s_delay_alu instid0(VALU_DEP_1) | instskip(SKIP_1) | instid1(SALU_CYCLE_1)
	v_cmp_eq_u64_e64 s0, s[12:13], v[4:5]
	s_or_b32 s16, s0, s16
	s_and_not1_b32 exec_lo, exec_lo, s16
	s_cbranch_execnz .LBB1_2981
; %bb.2987:                             ;   in Loop: Header=BB1_1755 Depth=1
	s_or_b32 exec_lo, exec_lo, s16
	s_add_co_i32 s14, s6, 0xb0
	v_lshl_add_u64 v[4:5], s[4:5], 4, v[12:13]
	s_mul_hi_u32 s0, s14, 0x10624dd3
	s_mov_b32 s16, 0
	s_lshr_b32 s4, s0, 6
	s_mov_b32 s17, s12
	s_mulk_i32 s4, 0x3e8
	s_or_b64 s[0:1], s[16:17], s[12:13]
	s_sub_co_i32 s4, s14, s4
	v_dual_mov_b32 v0, s0 :: v_dual_mov_b32 v1, s1
	s_lshl_b32 s0, s4, 12
	s_mov_b32 s1, s5
	v_dual_mov_b32 v3, s12 :: v_dual_mov_b32 v14, 0
	v_add_nc_u64_e32 v[8:9], s[0:1], v[10:11]
	s_lshl_b32 s4, s4, 8
	s_mov_b32 s15, s5
	s_mov_b32 s7, s16
	global_store_b128 v[4:5], v[0:3], off th:TH_STORE_NT
.LBB1_2988:                             ;   Parent Loop BB1_1755 Depth=1
                                        ; =>  This Inner Loop Header: Depth=2
	s_wait_loadcnt 0x0
	global_load_b128 v[4:7], v[8:9], off th:TH_LOAD_NT
	v_add_nc_u32_e32 v14, 1, v14
	s_mov_b32 s1, -1
	s_mov_b32 s12, -1
	s_mov_b32 s13, exec_lo
	s_wait_xcnt 0x0
	v_cmpx_eq_u32_e32 0xf4240, v14
	s_cbranch_execz .LBB1_2990
; %bb.2989:                             ;   in Loop: Header=BB1_2988 Depth=2
	s_wait_loadcnt 0x0
	s_wait_storecnt 0x0
	global_load_b32 v0, v2, s[10:11] scope:SCOPE_SYS
	s_wait_loadcnt 0x0
	global_inv scope:SCOPE_SYS
	v_mov_b32_e32 v14, 0
	v_cmp_eq_u32_e64 s0, 0, v0
	s_or_not1_b32 s12, s0, exec_lo
.LBB1_2990:                             ;   in Loop: Header=BB1_2988 Depth=2
	s_wait_xcnt 0x0
	s_or_b32 exec_lo, exec_lo, s13
	s_and_saveexec_b32 s13, s12
	s_cbranch_execz .LBB1_2992
; %bb.2991:                             ;   in Loop: Header=BB1_2988 Depth=2
	s_wait_loadcnt 0x0
	v_cmp_eq_u32_e64 s0, s14, v5
	v_cmp_eq_u32_e64 s1, s14, v7
	s_and_b32 s0, s0, s1
	s_delay_alu instid0(SALU_CYCLE_1)
	s_or_not1_b32 s1, s0, exec_lo
.LBB1_2992:                             ;   in Loop: Header=BB1_2988 Depth=2
	s_or_b32 exec_lo, exec_lo, s13
	s_delay_alu instid0(SALU_CYCLE_1) | instskip(NEXT) | instid1(SALU_CYCLE_1)
	s_and_b32 s0, exec_lo, s1
	s_or_b32 s7, s0, s7
	s_delay_alu instid0(SALU_CYCLE_1)
	s_and_not1_b32 exec_lo, exec_lo, s7
	s_cbranch_execnz .LBB1_2988
; %bb.2993:                             ;   in Loop: Header=BB1_2988 Depth=2
	s_or_b32 exec_lo, exec_lo, s7
	s_wait_loadcnt 0x0
	v_dual_mov_b32 v5, v6 :: v_dual_mov_b32 v14, 0
	s_mov_b32 s7, 0
	s_delay_alu instid0(VALU_DEP_1) | instskip(SKIP_1) | instid1(SALU_CYCLE_1)
	v_cmp_eq_u64_e64 s0, s[14:15], v[4:5]
	s_or_b32 s16, s0, s16
	s_and_not1_b32 exec_lo, exec_lo, s16
	s_cbranch_execnz .LBB1_2988
; %bb.2994:                             ;   in Loop: Header=BB1_1755 Depth=1
	s_or_b32 exec_lo, exec_lo, s16
	s_add_co_i32 s12, s6, 0xb1
	v_lshl_add_u64 v[4:5], s[4:5], 4, v[12:13]
	s_mul_hi_u32 s0, s12, 0x10624dd3
	s_mov_b32 s16, 0
	s_lshr_b32 s4, s0, 6
	s_mov_b32 s17, s14
	s_mulk_i32 s4, 0x3e8
	s_or_b64 s[0:1], s[16:17], s[14:15]
	s_sub_co_i32 s4, s12, s4
	v_dual_mov_b32 v0, s0 :: v_dual_mov_b32 v1, s1
	s_lshl_b32 s0, s4, 12
	s_mov_b32 s1, s5
	v_dual_mov_b32 v3, s14 :: v_dual_mov_b32 v14, 0
	v_add_nc_u64_e32 v[8:9], s[0:1], v[10:11]
	s_lshl_b32 s4, s4, 8
	s_mov_b32 s13, s5
	s_mov_b32 s7, s16
	global_store_b128 v[4:5], v[0:3], off th:TH_STORE_NT
.LBB1_2995:                             ;   Parent Loop BB1_1755 Depth=1
                                        ; =>  This Inner Loop Header: Depth=2
	s_wait_loadcnt 0x0
	global_load_b128 v[4:7], v[8:9], off th:TH_LOAD_NT
	v_add_nc_u32_e32 v14, 1, v14
	s_mov_b32 s1, -1
	s_mov_b32 s14, -1
	s_mov_b32 s15, exec_lo
	s_wait_xcnt 0x0
	v_cmpx_eq_u32_e32 0xf4240, v14
	s_cbranch_execz .LBB1_2997
; %bb.2996:                             ;   in Loop: Header=BB1_2995 Depth=2
	s_wait_loadcnt 0x0
	s_wait_storecnt 0x0
	global_load_b32 v0, v2, s[10:11] scope:SCOPE_SYS
	s_wait_loadcnt 0x0
	global_inv scope:SCOPE_SYS
	v_mov_b32_e32 v14, 0
	v_cmp_eq_u32_e64 s0, 0, v0
	s_or_not1_b32 s14, s0, exec_lo
.LBB1_2997:                             ;   in Loop: Header=BB1_2995 Depth=2
	s_wait_xcnt 0x0
	s_or_b32 exec_lo, exec_lo, s15
	s_and_saveexec_b32 s15, s14
	s_cbranch_execz .LBB1_2999
; %bb.2998:                             ;   in Loop: Header=BB1_2995 Depth=2
	s_wait_loadcnt 0x0
	v_cmp_eq_u32_e64 s0, s12, v5
	v_cmp_eq_u32_e64 s1, s12, v7
	s_and_b32 s0, s0, s1
	s_delay_alu instid0(SALU_CYCLE_1)
	s_or_not1_b32 s1, s0, exec_lo
.LBB1_2999:                             ;   in Loop: Header=BB1_2995 Depth=2
	s_or_b32 exec_lo, exec_lo, s15
	s_delay_alu instid0(SALU_CYCLE_1) | instskip(NEXT) | instid1(SALU_CYCLE_1)
	s_and_b32 s0, exec_lo, s1
	s_or_b32 s7, s0, s7
	s_delay_alu instid0(SALU_CYCLE_1)
	s_and_not1_b32 exec_lo, exec_lo, s7
	s_cbranch_execnz .LBB1_2995
; %bb.3000:                             ;   in Loop: Header=BB1_2995 Depth=2
	s_or_b32 exec_lo, exec_lo, s7
	s_wait_loadcnt 0x0
	v_dual_mov_b32 v5, v6 :: v_dual_mov_b32 v14, 0
	s_mov_b32 s7, 0
	s_delay_alu instid0(VALU_DEP_1) | instskip(SKIP_1) | instid1(SALU_CYCLE_1)
	v_cmp_eq_u64_e64 s0, s[12:13], v[4:5]
	s_or_b32 s16, s0, s16
	s_and_not1_b32 exec_lo, exec_lo, s16
	s_cbranch_execnz .LBB1_2995
; %bb.3001:                             ;   in Loop: Header=BB1_1755 Depth=1
	s_or_b32 exec_lo, exec_lo, s16
	s_add_co_i32 s14, s6, 0xb2
	v_lshl_add_u64 v[4:5], s[4:5], 4, v[12:13]
	s_mul_hi_u32 s0, s14, 0x10624dd3
	s_mov_b32 s16, 0
	s_lshr_b32 s4, s0, 6
	s_mov_b32 s17, s12
	s_mulk_i32 s4, 0x3e8
	s_or_b64 s[0:1], s[16:17], s[12:13]
	s_sub_co_i32 s4, s14, s4
	v_dual_mov_b32 v0, s0 :: v_dual_mov_b32 v1, s1
	s_lshl_b32 s0, s4, 12
	s_mov_b32 s1, s5
	v_dual_mov_b32 v3, s12 :: v_dual_mov_b32 v14, 0
	v_add_nc_u64_e32 v[8:9], s[0:1], v[10:11]
	s_lshl_b32 s4, s4, 8
	s_mov_b32 s15, s5
	s_mov_b32 s7, s16
	global_store_b128 v[4:5], v[0:3], off th:TH_STORE_NT
.LBB1_3002:                             ;   Parent Loop BB1_1755 Depth=1
                                        ; =>  This Inner Loop Header: Depth=2
	s_wait_loadcnt 0x0
	global_load_b128 v[4:7], v[8:9], off th:TH_LOAD_NT
	v_add_nc_u32_e32 v14, 1, v14
	s_mov_b32 s1, -1
	s_mov_b32 s12, -1
	s_mov_b32 s13, exec_lo
	s_wait_xcnt 0x0
	v_cmpx_eq_u32_e32 0xf4240, v14
	s_cbranch_execz .LBB1_3004
; %bb.3003:                             ;   in Loop: Header=BB1_3002 Depth=2
	s_wait_loadcnt 0x0
	s_wait_storecnt 0x0
	global_load_b32 v0, v2, s[10:11] scope:SCOPE_SYS
	s_wait_loadcnt 0x0
	global_inv scope:SCOPE_SYS
	v_mov_b32_e32 v14, 0
	v_cmp_eq_u32_e64 s0, 0, v0
	s_or_not1_b32 s12, s0, exec_lo
.LBB1_3004:                             ;   in Loop: Header=BB1_3002 Depth=2
	s_wait_xcnt 0x0
	s_or_b32 exec_lo, exec_lo, s13
	s_and_saveexec_b32 s13, s12
	s_cbranch_execz .LBB1_3006
; %bb.3005:                             ;   in Loop: Header=BB1_3002 Depth=2
	s_wait_loadcnt 0x0
	v_cmp_eq_u32_e64 s0, s14, v5
	v_cmp_eq_u32_e64 s1, s14, v7
	s_and_b32 s0, s0, s1
	s_delay_alu instid0(SALU_CYCLE_1)
	s_or_not1_b32 s1, s0, exec_lo
.LBB1_3006:                             ;   in Loop: Header=BB1_3002 Depth=2
	s_or_b32 exec_lo, exec_lo, s13
	s_delay_alu instid0(SALU_CYCLE_1) | instskip(NEXT) | instid1(SALU_CYCLE_1)
	s_and_b32 s0, exec_lo, s1
	s_or_b32 s7, s0, s7
	s_delay_alu instid0(SALU_CYCLE_1)
	s_and_not1_b32 exec_lo, exec_lo, s7
	s_cbranch_execnz .LBB1_3002
; %bb.3007:                             ;   in Loop: Header=BB1_3002 Depth=2
	s_or_b32 exec_lo, exec_lo, s7
	s_wait_loadcnt 0x0
	v_dual_mov_b32 v5, v6 :: v_dual_mov_b32 v14, 0
	s_mov_b32 s7, 0
	s_delay_alu instid0(VALU_DEP_1) | instskip(SKIP_1) | instid1(SALU_CYCLE_1)
	v_cmp_eq_u64_e64 s0, s[14:15], v[4:5]
	s_or_b32 s16, s0, s16
	s_and_not1_b32 exec_lo, exec_lo, s16
	s_cbranch_execnz .LBB1_3002
; %bb.3008:                             ;   in Loop: Header=BB1_1755 Depth=1
	s_or_b32 exec_lo, exec_lo, s16
	s_add_co_i32 s12, s6, 0xb3
	v_lshl_add_u64 v[4:5], s[4:5], 4, v[12:13]
	s_mul_hi_u32 s0, s12, 0x10624dd3
	s_mov_b32 s16, 0
	s_lshr_b32 s4, s0, 6
	s_mov_b32 s17, s14
	s_mulk_i32 s4, 0x3e8
	s_or_b64 s[0:1], s[16:17], s[14:15]
	s_sub_co_i32 s4, s12, s4
	v_dual_mov_b32 v0, s0 :: v_dual_mov_b32 v1, s1
	s_lshl_b32 s0, s4, 12
	s_mov_b32 s1, s5
	v_dual_mov_b32 v3, s14 :: v_dual_mov_b32 v14, 0
	v_add_nc_u64_e32 v[8:9], s[0:1], v[10:11]
	s_lshl_b32 s4, s4, 8
	s_mov_b32 s13, s5
	s_mov_b32 s7, s16
	global_store_b128 v[4:5], v[0:3], off th:TH_STORE_NT
.LBB1_3009:                             ;   Parent Loop BB1_1755 Depth=1
                                        ; =>  This Inner Loop Header: Depth=2
	s_wait_loadcnt 0x0
	global_load_b128 v[4:7], v[8:9], off th:TH_LOAD_NT
	v_add_nc_u32_e32 v14, 1, v14
	s_mov_b32 s1, -1
	s_mov_b32 s14, -1
	s_mov_b32 s15, exec_lo
	s_wait_xcnt 0x0
	v_cmpx_eq_u32_e32 0xf4240, v14
	s_cbranch_execz .LBB1_3011
; %bb.3010:                             ;   in Loop: Header=BB1_3009 Depth=2
	s_wait_loadcnt 0x0
	s_wait_storecnt 0x0
	global_load_b32 v0, v2, s[10:11] scope:SCOPE_SYS
	s_wait_loadcnt 0x0
	global_inv scope:SCOPE_SYS
	v_mov_b32_e32 v14, 0
	v_cmp_eq_u32_e64 s0, 0, v0
	s_or_not1_b32 s14, s0, exec_lo
.LBB1_3011:                             ;   in Loop: Header=BB1_3009 Depth=2
	s_wait_xcnt 0x0
	s_or_b32 exec_lo, exec_lo, s15
	s_and_saveexec_b32 s15, s14
	s_cbranch_execz .LBB1_3013
; %bb.3012:                             ;   in Loop: Header=BB1_3009 Depth=2
	s_wait_loadcnt 0x0
	v_cmp_eq_u32_e64 s0, s12, v5
	v_cmp_eq_u32_e64 s1, s12, v7
	s_and_b32 s0, s0, s1
	s_delay_alu instid0(SALU_CYCLE_1)
	s_or_not1_b32 s1, s0, exec_lo
.LBB1_3013:                             ;   in Loop: Header=BB1_3009 Depth=2
	s_or_b32 exec_lo, exec_lo, s15
	s_delay_alu instid0(SALU_CYCLE_1) | instskip(NEXT) | instid1(SALU_CYCLE_1)
	s_and_b32 s0, exec_lo, s1
	s_or_b32 s7, s0, s7
	s_delay_alu instid0(SALU_CYCLE_1)
	s_and_not1_b32 exec_lo, exec_lo, s7
	s_cbranch_execnz .LBB1_3009
; %bb.3014:                             ;   in Loop: Header=BB1_3009 Depth=2
	s_or_b32 exec_lo, exec_lo, s7
	s_wait_loadcnt 0x0
	v_dual_mov_b32 v5, v6 :: v_dual_mov_b32 v14, 0
	s_mov_b32 s7, 0
	s_delay_alu instid0(VALU_DEP_1) | instskip(SKIP_1) | instid1(SALU_CYCLE_1)
	v_cmp_eq_u64_e64 s0, s[12:13], v[4:5]
	s_or_b32 s16, s0, s16
	s_and_not1_b32 exec_lo, exec_lo, s16
	s_cbranch_execnz .LBB1_3009
; %bb.3015:                             ;   in Loop: Header=BB1_1755 Depth=1
	s_or_b32 exec_lo, exec_lo, s16
	s_add_co_i32 s14, s6, 0xb4
	v_lshl_add_u64 v[4:5], s[4:5], 4, v[12:13]
	s_mul_hi_u32 s0, s14, 0x10624dd3
	s_mov_b32 s16, 0
	s_lshr_b32 s4, s0, 6
	s_mov_b32 s17, s12
	s_mulk_i32 s4, 0x3e8
	s_or_b64 s[0:1], s[16:17], s[12:13]
	s_sub_co_i32 s4, s14, s4
	v_dual_mov_b32 v0, s0 :: v_dual_mov_b32 v1, s1
	s_lshl_b32 s0, s4, 12
	s_mov_b32 s1, s5
	v_dual_mov_b32 v3, s12 :: v_dual_mov_b32 v14, 0
	v_add_nc_u64_e32 v[8:9], s[0:1], v[10:11]
	s_lshl_b32 s4, s4, 8
	s_mov_b32 s15, s5
	s_mov_b32 s7, s16
	global_store_b128 v[4:5], v[0:3], off th:TH_STORE_NT
.LBB1_3016:                             ;   Parent Loop BB1_1755 Depth=1
                                        ; =>  This Inner Loop Header: Depth=2
	s_wait_loadcnt 0x0
	global_load_b128 v[4:7], v[8:9], off th:TH_LOAD_NT
	v_add_nc_u32_e32 v14, 1, v14
	s_mov_b32 s1, -1
	s_mov_b32 s12, -1
	s_mov_b32 s13, exec_lo
	s_wait_xcnt 0x0
	v_cmpx_eq_u32_e32 0xf4240, v14
	s_cbranch_execz .LBB1_3018
; %bb.3017:                             ;   in Loop: Header=BB1_3016 Depth=2
	s_wait_loadcnt 0x0
	s_wait_storecnt 0x0
	global_load_b32 v0, v2, s[10:11] scope:SCOPE_SYS
	s_wait_loadcnt 0x0
	global_inv scope:SCOPE_SYS
	v_mov_b32_e32 v14, 0
	v_cmp_eq_u32_e64 s0, 0, v0
	s_or_not1_b32 s12, s0, exec_lo
.LBB1_3018:                             ;   in Loop: Header=BB1_3016 Depth=2
	s_wait_xcnt 0x0
	s_or_b32 exec_lo, exec_lo, s13
	s_and_saveexec_b32 s13, s12
	s_cbranch_execz .LBB1_3020
; %bb.3019:                             ;   in Loop: Header=BB1_3016 Depth=2
	s_wait_loadcnt 0x0
	v_cmp_eq_u32_e64 s0, s14, v5
	v_cmp_eq_u32_e64 s1, s14, v7
	s_and_b32 s0, s0, s1
	s_delay_alu instid0(SALU_CYCLE_1)
	s_or_not1_b32 s1, s0, exec_lo
.LBB1_3020:                             ;   in Loop: Header=BB1_3016 Depth=2
	s_or_b32 exec_lo, exec_lo, s13
	s_delay_alu instid0(SALU_CYCLE_1) | instskip(NEXT) | instid1(SALU_CYCLE_1)
	s_and_b32 s0, exec_lo, s1
	s_or_b32 s7, s0, s7
	s_delay_alu instid0(SALU_CYCLE_1)
	s_and_not1_b32 exec_lo, exec_lo, s7
	s_cbranch_execnz .LBB1_3016
; %bb.3021:                             ;   in Loop: Header=BB1_3016 Depth=2
	s_or_b32 exec_lo, exec_lo, s7
	s_wait_loadcnt 0x0
	v_dual_mov_b32 v5, v6 :: v_dual_mov_b32 v14, 0
	s_mov_b32 s7, 0
	s_delay_alu instid0(VALU_DEP_1) | instskip(SKIP_1) | instid1(SALU_CYCLE_1)
	v_cmp_eq_u64_e64 s0, s[14:15], v[4:5]
	s_or_b32 s16, s0, s16
	s_and_not1_b32 exec_lo, exec_lo, s16
	s_cbranch_execnz .LBB1_3016
; %bb.3022:                             ;   in Loop: Header=BB1_1755 Depth=1
	s_or_b32 exec_lo, exec_lo, s16
	s_add_co_i32 s12, s6, 0xb5
	v_lshl_add_u64 v[4:5], s[4:5], 4, v[12:13]
	s_mul_hi_u32 s0, s12, 0x10624dd3
	s_mov_b32 s16, 0
	s_lshr_b32 s4, s0, 6
	s_mov_b32 s17, s14
	s_mulk_i32 s4, 0x3e8
	s_or_b64 s[0:1], s[16:17], s[14:15]
	s_sub_co_i32 s4, s12, s4
	v_dual_mov_b32 v0, s0 :: v_dual_mov_b32 v1, s1
	s_lshl_b32 s0, s4, 12
	s_mov_b32 s1, s5
	v_dual_mov_b32 v3, s14 :: v_dual_mov_b32 v14, 0
	v_add_nc_u64_e32 v[8:9], s[0:1], v[10:11]
	s_lshl_b32 s4, s4, 8
	s_mov_b32 s13, s5
	s_mov_b32 s7, s16
	global_store_b128 v[4:5], v[0:3], off th:TH_STORE_NT
.LBB1_3023:                             ;   Parent Loop BB1_1755 Depth=1
                                        ; =>  This Inner Loop Header: Depth=2
	s_wait_loadcnt 0x0
	global_load_b128 v[4:7], v[8:9], off th:TH_LOAD_NT
	v_add_nc_u32_e32 v14, 1, v14
	s_mov_b32 s1, -1
	s_mov_b32 s14, -1
	s_mov_b32 s15, exec_lo
	s_wait_xcnt 0x0
	v_cmpx_eq_u32_e32 0xf4240, v14
	s_cbranch_execz .LBB1_3025
; %bb.3024:                             ;   in Loop: Header=BB1_3023 Depth=2
	s_wait_loadcnt 0x0
	s_wait_storecnt 0x0
	global_load_b32 v0, v2, s[10:11] scope:SCOPE_SYS
	s_wait_loadcnt 0x0
	global_inv scope:SCOPE_SYS
	v_mov_b32_e32 v14, 0
	v_cmp_eq_u32_e64 s0, 0, v0
	s_or_not1_b32 s14, s0, exec_lo
.LBB1_3025:                             ;   in Loop: Header=BB1_3023 Depth=2
	s_wait_xcnt 0x0
	s_or_b32 exec_lo, exec_lo, s15
	s_and_saveexec_b32 s15, s14
	s_cbranch_execz .LBB1_3027
; %bb.3026:                             ;   in Loop: Header=BB1_3023 Depth=2
	s_wait_loadcnt 0x0
	v_cmp_eq_u32_e64 s0, s12, v5
	v_cmp_eq_u32_e64 s1, s12, v7
	s_and_b32 s0, s0, s1
	s_delay_alu instid0(SALU_CYCLE_1)
	s_or_not1_b32 s1, s0, exec_lo
.LBB1_3027:                             ;   in Loop: Header=BB1_3023 Depth=2
	s_or_b32 exec_lo, exec_lo, s15
	s_delay_alu instid0(SALU_CYCLE_1) | instskip(NEXT) | instid1(SALU_CYCLE_1)
	s_and_b32 s0, exec_lo, s1
	s_or_b32 s7, s0, s7
	s_delay_alu instid0(SALU_CYCLE_1)
	s_and_not1_b32 exec_lo, exec_lo, s7
	s_cbranch_execnz .LBB1_3023
; %bb.3028:                             ;   in Loop: Header=BB1_3023 Depth=2
	s_or_b32 exec_lo, exec_lo, s7
	s_wait_loadcnt 0x0
	v_dual_mov_b32 v5, v6 :: v_dual_mov_b32 v14, 0
	s_mov_b32 s7, 0
	s_delay_alu instid0(VALU_DEP_1) | instskip(SKIP_1) | instid1(SALU_CYCLE_1)
	v_cmp_eq_u64_e64 s0, s[12:13], v[4:5]
	s_or_b32 s16, s0, s16
	s_and_not1_b32 exec_lo, exec_lo, s16
	s_cbranch_execnz .LBB1_3023
; %bb.3029:                             ;   in Loop: Header=BB1_1755 Depth=1
	s_or_b32 exec_lo, exec_lo, s16
	s_add_co_i32 s14, s6, 0xb6
	v_lshl_add_u64 v[4:5], s[4:5], 4, v[12:13]
	s_mul_hi_u32 s0, s14, 0x10624dd3
	s_mov_b32 s16, 0
	s_lshr_b32 s4, s0, 6
	s_mov_b32 s17, s12
	s_mulk_i32 s4, 0x3e8
	s_or_b64 s[0:1], s[16:17], s[12:13]
	s_sub_co_i32 s4, s14, s4
	v_dual_mov_b32 v0, s0 :: v_dual_mov_b32 v1, s1
	s_lshl_b32 s0, s4, 12
	s_mov_b32 s1, s5
	v_dual_mov_b32 v3, s12 :: v_dual_mov_b32 v14, 0
	v_add_nc_u64_e32 v[8:9], s[0:1], v[10:11]
	s_lshl_b32 s4, s4, 8
	s_mov_b32 s15, s5
	s_mov_b32 s7, s16
	global_store_b128 v[4:5], v[0:3], off th:TH_STORE_NT
.LBB1_3030:                             ;   Parent Loop BB1_1755 Depth=1
                                        ; =>  This Inner Loop Header: Depth=2
	s_wait_loadcnt 0x0
	global_load_b128 v[4:7], v[8:9], off th:TH_LOAD_NT
	v_add_nc_u32_e32 v14, 1, v14
	s_mov_b32 s1, -1
	s_mov_b32 s12, -1
	s_mov_b32 s13, exec_lo
	s_wait_xcnt 0x0
	v_cmpx_eq_u32_e32 0xf4240, v14
	s_cbranch_execz .LBB1_3032
; %bb.3031:                             ;   in Loop: Header=BB1_3030 Depth=2
	s_wait_loadcnt 0x0
	s_wait_storecnt 0x0
	global_load_b32 v0, v2, s[10:11] scope:SCOPE_SYS
	s_wait_loadcnt 0x0
	global_inv scope:SCOPE_SYS
	v_mov_b32_e32 v14, 0
	v_cmp_eq_u32_e64 s0, 0, v0
	s_or_not1_b32 s12, s0, exec_lo
.LBB1_3032:                             ;   in Loop: Header=BB1_3030 Depth=2
	s_wait_xcnt 0x0
	s_or_b32 exec_lo, exec_lo, s13
	s_and_saveexec_b32 s13, s12
	s_cbranch_execz .LBB1_3034
; %bb.3033:                             ;   in Loop: Header=BB1_3030 Depth=2
	s_wait_loadcnt 0x0
	v_cmp_eq_u32_e64 s0, s14, v5
	v_cmp_eq_u32_e64 s1, s14, v7
	s_and_b32 s0, s0, s1
	s_delay_alu instid0(SALU_CYCLE_1)
	s_or_not1_b32 s1, s0, exec_lo
.LBB1_3034:                             ;   in Loop: Header=BB1_3030 Depth=2
	s_or_b32 exec_lo, exec_lo, s13
	s_delay_alu instid0(SALU_CYCLE_1) | instskip(NEXT) | instid1(SALU_CYCLE_1)
	s_and_b32 s0, exec_lo, s1
	s_or_b32 s7, s0, s7
	s_delay_alu instid0(SALU_CYCLE_1)
	s_and_not1_b32 exec_lo, exec_lo, s7
	s_cbranch_execnz .LBB1_3030
; %bb.3035:                             ;   in Loop: Header=BB1_3030 Depth=2
	s_or_b32 exec_lo, exec_lo, s7
	s_wait_loadcnt 0x0
	v_dual_mov_b32 v5, v6 :: v_dual_mov_b32 v14, 0
	s_mov_b32 s7, 0
	s_delay_alu instid0(VALU_DEP_1) | instskip(SKIP_1) | instid1(SALU_CYCLE_1)
	v_cmp_eq_u64_e64 s0, s[14:15], v[4:5]
	s_or_b32 s16, s0, s16
	s_and_not1_b32 exec_lo, exec_lo, s16
	s_cbranch_execnz .LBB1_3030
; %bb.3036:                             ;   in Loop: Header=BB1_1755 Depth=1
	s_or_b32 exec_lo, exec_lo, s16
	s_add_co_i32 s12, s6, 0xb7
	v_lshl_add_u64 v[4:5], s[4:5], 4, v[12:13]
	s_mul_hi_u32 s0, s12, 0x10624dd3
	s_mov_b32 s16, 0
	s_lshr_b32 s4, s0, 6
	s_mov_b32 s17, s14
	s_mulk_i32 s4, 0x3e8
	s_or_b64 s[0:1], s[16:17], s[14:15]
	s_sub_co_i32 s4, s12, s4
	v_dual_mov_b32 v0, s0 :: v_dual_mov_b32 v1, s1
	s_lshl_b32 s0, s4, 12
	s_mov_b32 s1, s5
	v_dual_mov_b32 v3, s14 :: v_dual_mov_b32 v14, 0
	v_add_nc_u64_e32 v[8:9], s[0:1], v[10:11]
	s_lshl_b32 s4, s4, 8
	s_mov_b32 s13, s5
	s_mov_b32 s7, s16
	global_store_b128 v[4:5], v[0:3], off th:TH_STORE_NT
.LBB1_3037:                             ;   Parent Loop BB1_1755 Depth=1
                                        ; =>  This Inner Loop Header: Depth=2
	s_wait_loadcnt 0x0
	global_load_b128 v[4:7], v[8:9], off th:TH_LOAD_NT
	v_add_nc_u32_e32 v14, 1, v14
	s_mov_b32 s1, -1
	s_mov_b32 s14, -1
	s_mov_b32 s15, exec_lo
	s_wait_xcnt 0x0
	v_cmpx_eq_u32_e32 0xf4240, v14
	s_cbranch_execz .LBB1_3039
; %bb.3038:                             ;   in Loop: Header=BB1_3037 Depth=2
	s_wait_loadcnt 0x0
	s_wait_storecnt 0x0
	global_load_b32 v0, v2, s[10:11] scope:SCOPE_SYS
	s_wait_loadcnt 0x0
	global_inv scope:SCOPE_SYS
	v_mov_b32_e32 v14, 0
	v_cmp_eq_u32_e64 s0, 0, v0
	s_or_not1_b32 s14, s0, exec_lo
.LBB1_3039:                             ;   in Loop: Header=BB1_3037 Depth=2
	s_wait_xcnt 0x0
	s_or_b32 exec_lo, exec_lo, s15
	s_and_saveexec_b32 s15, s14
	s_cbranch_execz .LBB1_3041
; %bb.3040:                             ;   in Loop: Header=BB1_3037 Depth=2
	s_wait_loadcnt 0x0
	v_cmp_eq_u32_e64 s0, s12, v5
	v_cmp_eq_u32_e64 s1, s12, v7
	s_and_b32 s0, s0, s1
	s_delay_alu instid0(SALU_CYCLE_1)
	s_or_not1_b32 s1, s0, exec_lo
.LBB1_3041:                             ;   in Loop: Header=BB1_3037 Depth=2
	s_or_b32 exec_lo, exec_lo, s15
	s_delay_alu instid0(SALU_CYCLE_1) | instskip(NEXT) | instid1(SALU_CYCLE_1)
	s_and_b32 s0, exec_lo, s1
	s_or_b32 s7, s0, s7
	s_delay_alu instid0(SALU_CYCLE_1)
	s_and_not1_b32 exec_lo, exec_lo, s7
	s_cbranch_execnz .LBB1_3037
; %bb.3042:                             ;   in Loop: Header=BB1_3037 Depth=2
	s_or_b32 exec_lo, exec_lo, s7
	s_wait_loadcnt 0x0
	v_dual_mov_b32 v5, v6 :: v_dual_mov_b32 v14, 0
	s_mov_b32 s7, 0
	s_delay_alu instid0(VALU_DEP_1) | instskip(SKIP_1) | instid1(SALU_CYCLE_1)
	v_cmp_eq_u64_e64 s0, s[12:13], v[4:5]
	s_or_b32 s16, s0, s16
	s_and_not1_b32 exec_lo, exec_lo, s16
	s_cbranch_execnz .LBB1_3037
; %bb.3043:                             ;   in Loop: Header=BB1_1755 Depth=1
	s_or_b32 exec_lo, exec_lo, s16
	s_add_co_i32 s14, s6, 0xb8
	v_lshl_add_u64 v[4:5], s[4:5], 4, v[12:13]
	s_mul_hi_u32 s0, s14, 0x10624dd3
	s_mov_b32 s16, 0
	s_lshr_b32 s4, s0, 6
	s_mov_b32 s17, s12
	s_mulk_i32 s4, 0x3e8
	s_or_b64 s[0:1], s[16:17], s[12:13]
	s_sub_co_i32 s4, s14, s4
	v_dual_mov_b32 v0, s0 :: v_dual_mov_b32 v1, s1
	s_lshl_b32 s0, s4, 12
	s_mov_b32 s1, s5
	v_dual_mov_b32 v3, s12 :: v_dual_mov_b32 v14, 0
	v_add_nc_u64_e32 v[8:9], s[0:1], v[10:11]
	s_lshl_b32 s4, s4, 8
	s_mov_b32 s15, s5
	s_mov_b32 s7, s16
	global_store_b128 v[4:5], v[0:3], off th:TH_STORE_NT
.LBB1_3044:                             ;   Parent Loop BB1_1755 Depth=1
                                        ; =>  This Inner Loop Header: Depth=2
	s_wait_loadcnt 0x0
	global_load_b128 v[4:7], v[8:9], off th:TH_LOAD_NT
	v_add_nc_u32_e32 v14, 1, v14
	s_mov_b32 s1, -1
	s_mov_b32 s12, -1
	s_mov_b32 s13, exec_lo
	s_wait_xcnt 0x0
	v_cmpx_eq_u32_e32 0xf4240, v14
	s_cbranch_execz .LBB1_3046
; %bb.3045:                             ;   in Loop: Header=BB1_3044 Depth=2
	s_wait_loadcnt 0x0
	s_wait_storecnt 0x0
	global_load_b32 v0, v2, s[10:11] scope:SCOPE_SYS
	s_wait_loadcnt 0x0
	global_inv scope:SCOPE_SYS
	v_mov_b32_e32 v14, 0
	v_cmp_eq_u32_e64 s0, 0, v0
	s_or_not1_b32 s12, s0, exec_lo
.LBB1_3046:                             ;   in Loop: Header=BB1_3044 Depth=2
	s_wait_xcnt 0x0
	s_or_b32 exec_lo, exec_lo, s13
	s_and_saveexec_b32 s13, s12
	s_cbranch_execz .LBB1_3048
; %bb.3047:                             ;   in Loop: Header=BB1_3044 Depth=2
	s_wait_loadcnt 0x0
	v_cmp_eq_u32_e64 s0, s14, v5
	v_cmp_eq_u32_e64 s1, s14, v7
	s_and_b32 s0, s0, s1
	s_delay_alu instid0(SALU_CYCLE_1)
	s_or_not1_b32 s1, s0, exec_lo
.LBB1_3048:                             ;   in Loop: Header=BB1_3044 Depth=2
	s_or_b32 exec_lo, exec_lo, s13
	s_delay_alu instid0(SALU_CYCLE_1) | instskip(NEXT) | instid1(SALU_CYCLE_1)
	s_and_b32 s0, exec_lo, s1
	s_or_b32 s7, s0, s7
	s_delay_alu instid0(SALU_CYCLE_1)
	s_and_not1_b32 exec_lo, exec_lo, s7
	s_cbranch_execnz .LBB1_3044
; %bb.3049:                             ;   in Loop: Header=BB1_3044 Depth=2
	s_or_b32 exec_lo, exec_lo, s7
	s_wait_loadcnt 0x0
	v_dual_mov_b32 v5, v6 :: v_dual_mov_b32 v14, 0
	s_mov_b32 s7, 0
	s_delay_alu instid0(VALU_DEP_1) | instskip(SKIP_1) | instid1(SALU_CYCLE_1)
	v_cmp_eq_u64_e64 s0, s[14:15], v[4:5]
	s_or_b32 s16, s0, s16
	s_and_not1_b32 exec_lo, exec_lo, s16
	s_cbranch_execnz .LBB1_3044
; %bb.3050:                             ;   in Loop: Header=BB1_1755 Depth=1
	s_or_b32 exec_lo, exec_lo, s16
	s_add_co_i32 s12, s6, 0xb9
	v_lshl_add_u64 v[4:5], s[4:5], 4, v[12:13]
	s_mul_hi_u32 s0, s12, 0x10624dd3
	s_mov_b32 s16, 0
	s_lshr_b32 s4, s0, 6
	s_mov_b32 s17, s14
	s_mulk_i32 s4, 0x3e8
	s_or_b64 s[0:1], s[16:17], s[14:15]
	s_sub_co_i32 s4, s12, s4
	v_dual_mov_b32 v0, s0 :: v_dual_mov_b32 v1, s1
	s_lshl_b32 s0, s4, 12
	s_mov_b32 s1, s5
	v_dual_mov_b32 v3, s14 :: v_dual_mov_b32 v14, 0
	v_add_nc_u64_e32 v[8:9], s[0:1], v[10:11]
	s_lshl_b32 s4, s4, 8
	s_mov_b32 s13, s5
	s_mov_b32 s7, s16
	global_store_b128 v[4:5], v[0:3], off th:TH_STORE_NT
.LBB1_3051:                             ;   Parent Loop BB1_1755 Depth=1
                                        ; =>  This Inner Loop Header: Depth=2
	s_wait_loadcnt 0x0
	global_load_b128 v[4:7], v[8:9], off th:TH_LOAD_NT
	v_add_nc_u32_e32 v14, 1, v14
	s_mov_b32 s1, -1
	s_mov_b32 s14, -1
	s_mov_b32 s15, exec_lo
	s_wait_xcnt 0x0
	v_cmpx_eq_u32_e32 0xf4240, v14
	s_cbranch_execz .LBB1_3053
; %bb.3052:                             ;   in Loop: Header=BB1_3051 Depth=2
	s_wait_loadcnt 0x0
	s_wait_storecnt 0x0
	global_load_b32 v0, v2, s[10:11] scope:SCOPE_SYS
	s_wait_loadcnt 0x0
	global_inv scope:SCOPE_SYS
	v_mov_b32_e32 v14, 0
	v_cmp_eq_u32_e64 s0, 0, v0
	s_or_not1_b32 s14, s0, exec_lo
.LBB1_3053:                             ;   in Loop: Header=BB1_3051 Depth=2
	s_wait_xcnt 0x0
	s_or_b32 exec_lo, exec_lo, s15
	s_and_saveexec_b32 s15, s14
	s_cbranch_execz .LBB1_3055
; %bb.3054:                             ;   in Loop: Header=BB1_3051 Depth=2
	s_wait_loadcnt 0x0
	v_cmp_eq_u32_e64 s0, s12, v5
	v_cmp_eq_u32_e64 s1, s12, v7
	s_and_b32 s0, s0, s1
	s_delay_alu instid0(SALU_CYCLE_1)
	s_or_not1_b32 s1, s0, exec_lo
.LBB1_3055:                             ;   in Loop: Header=BB1_3051 Depth=2
	s_or_b32 exec_lo, exec_lo, s15
	s_delay_alu instid0(SALU_CYCLE_1) | instskip(NEXT) | instid1(SALU_CYCLE_1)
	s_and_b32 s0, exec_lo, s1
	s_or_b32 s7, s0, s7
	s_delay_alu instid0(SALU_CYCLE_1)
	s_and_not1_b32 exec_lo, exec_lo, s7
	s_cbranch_execnz .LBB1_3051
; %bb.3056:                             ;   in Loop: Header=BB1_3051 Depth=2
	s_or_b32 exec_lo, exec_lo, s7
	s_wait_loadcnt 0x0
	v_dual_mov_b32 v5, v6 :: v_dual_mov_b32 v14, 0
	s_mov_b32 s7, 0
	s_delay_alu instid0(VALU_DEP_1) | instskip(SKIP_1) | instid1(SALU_CYCLE_1)
	v_cmp_eq_u64_e64 s0, s[12:13], v[4:5]
	s_or_b32 s16, s0, s16
	s_and_not1_b32 exec_lo, exec_lo, s16
	s_cbranch_execnz .LBB1_3051
; %bb.3057:                             ;   in Loop: Header=BB1_1755 Depth=1
	s_or_b32 exec_lo, exec_lo, s16
	s_add_co_i32 s14, s6, 0xba
	v_lshl_add_u64 v[4:5], s[4:5], 4, v[12:13]
	s_mul_hi_u32 s0, s14, 0x10624dd3
	s_mov_b32 s16, 0
	s_lshr_b32 s4, s0, 6
	s_mov_b32 s17, s12
	s_mulk_i32 s4, 0x3e8
	s_or_b64 s[0:1], s[16:17], s[12:13]
	s_sub_co_i32 s4, s14, s4
	v_dual_mov_b32 v0, s0 :: v_dual_mov_b32 v1, s1
	s_lshl_b32 s0, s4, 12
	s_mov_b32 s1, s5
	v_dual_mov_b32 v3, s12 :: v_dual_mov_b32 v14, 0
	v_add_nc_u64_e32 v[8:9], s[0:1], v[10:11]
	s_lshl_b32 s4, s4, 8
	s_mov_b32 s15, s5
	s_mov_b32 s7, s16
	global_store_b128 v[4:5], v[0:3], off th:TH_STORE_NT
.LBB1_3058:                             ;   Parent Loop BB1_1755 Depth=1
                                        ; =>  This Inner Loop Header: Depth=2
	s_wait_loadcnt 0x0
	global_load_b128 v[4:7], v[8:9], off th:TH_LOAD_NT
	v_add_nc_u32_e32 v14, 1, v14
	s_mov_b32 s1, -1
	s_mov_b32 s12, -1
	s_mov_b32 s13, exec_lo
	s_wait_xcnt 0x0
	v_cmpx_eq_u32_e32 0xf4240, v14
	s_cbranch_execz .LBB1_3060
; %bb.3059:                             ;   in Loop: Header=BB1_3058 Depth=2
	s_wait_loadcnt 0x0
	s_wait_storecnt 0x0
	global_load_b32 v0, v2, s[10:11] scope:SCOPE_SYS
	s_wait_loadcnt 0x0
	global_inv scope:SCOPE_SYS
	v_mov_b32_e32 v14, 0
	v_cmp_eq_u32_e64 s0, 0, v0
	s_or_not1_b32 s12, s0, exec_lo
.LBB1_3060:                             ;   in Loop: Header=BB1_3058 Depth=2
	s_wait_xcnt 0x0
	s_or_b32 exec_lo, exec_lo, s13
	s_and_saveexec_b32 s13, s12
	s_cbranch_execz .LBB1_3062
; %bb.3061:                             ;   in Loop: Header=BB1_3058 Depth=2
	s_wait_loadcnt 0x0
	v_cmp_eq_u32_e64 s0, s14, v5
	v_cmp_eq_u32_e64 s1, s14, v7
	s_and_b32 s0, s0, s1
	s_delay_alu instid0(SALU_CYCLE_1)
	s_or_not1_b32 s1, s0, exec_lo
.LBB1_3062:                             ;   in Loop: Header=BB1_3058 Depth=2
	s_or_b32 exec_lo, exec_lo, s13
	s_delay_alu instid0(SALU_CYCLE_1) | instskip(NEXT) | instid1(SALU_CYCLE_1)
	s_and_b32 s0, exec_lo, s1
	s_or_b32 s7, s0, s7
	s_delay_alu instid0(SALU_CYCLE_1)
	s_and_not1_b32 exec_lo, exec_lo, s7
	s_cbranch_execnz .LBB1_3058
; %bb.3063:                             ;   in Loop: Header=BB1_3058 Depth=2
	s_or_b32 exec_lo, exec_lo, s7
	s_wait_loadcnt 0x0
	v_dual_mov_b32 v5, v6 :: v_dual_mov_b32 v14, 0
	s_mov_b32 s7, 0
	s_delay_alu instid0(VALU_DEP_1) | instskip(SKIP_1) | instid1(SALU_CYCLE_1)
	v_cmp_eq_u64_e64 s0, s[14:15], v[4:5]
	s_or_b32 s16, s0, s16
	s_and_not1_b32 exec_lo, exec_lo, s16
	s_cbranch_execnz .LBB1_3058
; %bb.3064:                             ;   in Loop: Header=BB1_1755 Depth=1
	s_or_b32 exec_lo, exec_lo, s16
	s_add_co_i32 s12, s6, 0xbb
	v_lshl_add_u64 v[4:5], s[4:5], 4, v[12:13]
	s_mul_hi_u32 s0, s12, 0x10624dd3
	s_mov_b32 s16, 0
	s_lshr_b32 s4, s0, 6
	s_mov_b32 s17, s14
	s_mulk_i32 s4, 0x3e8
	s_or_b64 s[0:1], s[16:17], s[14:15]
	s_sub_co_i32 s4, s12, s4
	v_dual_mov_b32 v0, s0 :: v_dual_mov_b32 v1, s1
	s_lshl_b32 s0, s4, 12
	s_mov_b32 s1, s5
	v_dual_mov_b32 v3, s14 :: v_dual_mov_b32 v14, 0
	v_add_nc_u64_e32 v[8:9], s[0:1], v[10:11]
	s_lshl_b32 s4, s4, 8
	s_mov_b32 s13, s5
	s_mov_b32 s7, s16
	global_store_b128 v[4:5], v[0:3], off th:TH_STORE_NT
.LBB1_3065:                             ;   Parent Loop BB1_1755 Depth=1
                                        ; =>  This Inner Loop Header: Depth=2
	s_wait_loadcnt 0x0
	global_load_b128 v[4:7], v[8:9], off th:TH_LOAD_NT
	v_add_nc_u32_e32 v14, 1, v14
	s_mov_b32 s1, -1
	s_mov_b32 s14, -1
	s_mov_b32 s15, exec_lo
	s_wait_xcnt 0x0
	v_cmpx_eq_u32_e32 0xf4240, v14
	s_cbranch_execz .LBB1_3067
; %bb.3066:                             ;   in Loop: Header=BB1_3065 Depth=2
	s_wait_loadcnt 0x0
	s_wait_storecnt 0x0
	global_load_b32 v0, v2, s[10:11] scope:SCOPE_SYS
	s_wait_loadcnt 0x0
	global_inv scope:SCOPE_SYS
	v_mov_b32_e32 v14, 0
	v_cmp_eq_u32_e64 s0, 0, v0
	s_or_not1_b32 s14, s0, exec_lo
.LBB1_3067:                             ;   in Loop: Header=BB1_3065 Depth=2
	s_wait_xcnt 0x0
	s_or_b32 exec_lo, exec_lo, s15
	s_and_saveexec_b32 s15, s14
	s_cbranch_execz .LBB1_3069
; %bb.3068:                             ;   in Loop: Header=BB1_3065 Depth=2
	s_wait_loadcnt 0x0
	v_cmp_eq_u32_e64 s0, s12, v5
	v_cmp_eq_u32_e64 s1, s12, v7
	s_and_b32 s0, s0, s1
	s_delay_alu instid0(SALU_CYCLE_1)
	s_or_not1_b32 s1, s0, exec_lo
.LBB1_3069:                             ;   in Loop: Header=BB1_3065 Depth=2
	s_or_b32 exec_lo, exec_lo, s15
	s_delay_alu instid0(SALU_CYCLE_1) | instskip(NEXT) | instid1(SALU_CYCLE_1)
	s_and_b32 s0, exec_lo, s1
	s_or_b32 s7, s0, s7
	s_delay_alu instid0(SALU_CYCLE_1)
	s_and_not1_b32 exec_lo, exec_lo, s7
	s_cbranch_execnz .LBB1_3065
; %bb.3070:                             ;   in Loop: Header=BB1_3065 Depth=2
	s_or_b32 exec_lo, exec_lo, s7
	s_wait_loadcnt 0x0
	v_dual_mov_b32 v5, v6 :: v_dual_mov_b32 v14, 0
	s_mov_b32 s7, 0
	s_delay_alu instid0(VALU_DEP_1) | instskip(SKIP_1) | instid1(SALU_CYCLE_1)
	v_cmp_eq_u64_e64 s0, s[12:13], v[4:5]
	s_or_b32 s16, s0, s16
	s_and_not1_b32 exec_lo, exec_lo, s16
	s_cbranch_execnz .LBB1_3065
; %bb.3071:                             ;   in Loop: Header=BB1_1755 Depth=1
	s_or_b32 exec_lo, exec_lo, s16
	s_add_co_i32 s14, s6, 0xbc
	v_lshl_add_u64 v[4:5], s[4:5], 4, v[12:13]
	s_mul_hi_u32 s0, s14, 0x10624dd3
	s_mov_b32 s16, 0
	s_lshr_b32 s4, s0, 6
	s_mov_b32 s17, s12
	s_mulk_i32 s4, 0x3e8
	s_or_b64 s[0:1], s[16:17], s[12:13]
	s_sub_co_i32 s4, s14, s4
	v_dual_mov_b32 v0, s0 :: v_dual_mov_b32 v1, s1
	s_lshl_b32 s0, s4, 12
	s_mov_b32 s1, s5
	v_dual_mov_b32 v3, s12 :: v_dual_mov_b32 v14, 0
	v_add_nc_u64_e32 v[8:9], s[0:1], v[10:11]
	s_lshl_b32 s4, s4, 8
	s_mov_b32 s15, s5
	s_mov_b32 s7, s16
	global_store_b128 v[4:5], v[0:3], off th:TH_STORE_NT
.LBB1_3072:                             ;   Parent Loop BB1_1755 Depth=1
                                        ; =>  This Inner Loop Header: Depth=2
	s_wait_loadcnt 0x0
	global_load_b128 v[4:7], v[8:9], off th:TH_LOAD_NT
	v_add_nc_u32_e32 v14, 1, v14
	s_mov_b32 s1, -1
	s_mov_b32 s12, -1
	s_mov_b32 s13, exec_lo
	s_wait_xcnt 0x0
	v_cmpx_eq_u32_e32 0xf4240, v14
	s_cbranch_execz .LBB1_3074
; %bb.3073:                             ;   in Loop: Header=BB1_3072 Depth=2
	s_wait_loadcnt 0x0
	s_wait_storecnt 0x0
	global_load_b32 v0, v2, s[10:11] scope:SCOPE_SYS
	s_wait_loadcnt 0x0
	global_inv scope:SCOPE_SYS
	v_mov_b32_e32 v14, 0
	v_cmp_eq_u32_e64 s0, 0, v0
	s_or_not1_b32 s12, s0, exec_lo
.LBB1_3074:                             ;   in Loop: Header=BB1_3072 Depth=2
	s_wait_xcnt 0x0
	s_or_b32 exec_lo, exec_lo, s13
	s_and_saveexec_b32 s13, s12
	s_cbranch_execz .LBB1_3076
; %bb.3075:                             ;   in Loop: Header=BB1_3072 Depth=2
	s_wait_loadcnt 0x0
	v_cmp_eq_u32_e64 s0, s14, v5
	v_cmp_eq_u32_e64 s1, s14, v7
	s_and_b32 s0, s0, s1
	s_delay_alu instid0(SALU_CYCLE_1)
	s_or_not1_b32 s1, s0, exec_lo
.LBB1_3076:                             ;   in Loop: Header=BB1_3072 Depth=2
	s_or_b32 exec_lo, exec_lo, s13
	s_delay_alu instid0(SALU_CYCLE_1) | instskip(NEXT) | instid1(SALU_CYCLE_1)
	s_and_b32 s0, exec_lo, s1
	s_or_b32 s7, s0, s7
	s_delay_alu instid0(SALU_CYCLE_1)
	s_and_not1_b32 exec_lo, exec_lo, s7
	s_cbranch_execnz .LBB1_3072
; %bb.3077:                             ;   in Loop: Header=BB1_3072 Depth=2
	s_or_b32 exec_lo, exec_lo, s7
	s_wait_loadcnt 0x0
	v_dual_mov_b32 v5, v6 :: v_dual_mov_b32 v14, 0
	s_mov_b32 s7, 0
	s_delay_alu instid0(VALU_DEP_1) | instskip(SKIP_1) | instid1(SALU_CYCLE_1)
	v_cmp_eq_u64_e64 s0, s[14:15], v[4:5]
	s_or_b32 s16, s0, s16
	s_and_not1_b32 exec_lo, exec_lo, s16
	s_cbranch_execnz .LBB1_3072
; %bb.3078:                             ;   in Loop: Header=BB1_1755 Depth=1
	s_or_b32 exec_lo, exec_lo, s16
	s_add_co_i32 s12, s6, 0xbd
	v_lshl_add_u64 v[4:5], s[4:5], 4, v[12:13]
	s_mul_hi_u32 s0, s12, 0x10624dd3
	s_mov_b32 s16, 0
	s_lshr_b32 s4, s0, 6
	s_mov_b32 s17, s14
	s_mulk_i32 s4, 0x3e8
	s_or_b64 s[0:1], s[16:17], s[14:15]
	s_sub_co_i32 s4, s12, s4
	v_dual_mov_b32 v0, s0 :: v_dual_mov_b32 v1, s1
	s_lshl_b32 s0, s4, 12
	s_mov_b32 s1, s5
	v_dual_mov_b32 v3, s14 :: v_dual_mov_b32 v14, 0
	v_add_nc_u64_e32 v[8:9], s[0:1], v[10:11]
	s_lshl_b32 s4, s4, 8
	s_mov_b32 s13, s5
	s_mov_b32 s7, s16
	global_store_b128 v[4:5], v[0:3], off th:TH_STORE_NT
.LBB1_3079:                             ;   Parent Loop BB1_1755 Depth=1
                                        ; =>  This Inner Loop Header: Depth=2
	s_wait_loadcnt 0x0
	global_load_b128 v[4:7], v[8:9], off th:TH_LOAD_NT
	v_add_nc_u32_e32 v14, 1, v14
	s_mov_b32 s1, -1
	s_mov_b32 s14, -1
	s_mov_b32 s15, exec_lo
	s_wait_xcnt 0x0
	v_cmpx_eq_u32_e32 0xf4240, v14
	s_cbranch_execz .LBB1_3081
; %bb.3080:                             ;   in Loop: Header=BB1_3079 Depth=2
	s_wait_loadcnt 0x0
	s_wait_storecnt 0x0
	global_load_b32 v0, v2, s[10:11] scope:SCOPE_SYS
	s_wait_loadcnt 0x0
	global_inv scope:SCOPE_SYS
	v_mov_b32_e32 v14, 0
	v_cmp_eq_u32_e64 s0, 0, v0
	s_or_not1_b32 s14, s0, exec_lo
.LBB1_3081:                             ;   in Loop: Header=BB1_3079 Depth=2
	s_wait_xcnt 0x0
	s_or_b32 exec_lo, exec_lo, s15
	s_and_saveexec_b32 s15, s14
	s_cbranch_execz .LBB1_3083
; %bb.3082:                             ;   in Loop: Header=BB1_3079 Depth=2
	s_wait_loadcnt 0x0
	v_cmp_eq_u32_e64 s0, s12, v5
	v_cmp_eq_u32_e64 s1, s12, v7
	s_and_b32 s0, s0, s1
	s_delay_alu instid0(SALU_CYCLE_1)
	s_or_not1_b32 s1, s0, exec_lo
.LBB1_3083:                             ;   in Loop: Header=BB1_3079 Depth=2
	s_or_b32 exec_lo, exec_lo, s15
	s_delay_alu instid0(SALU_CYCLE_1) | instskip(NEXT) | instid1(SALU_CYCLE_1)
	s_and_b32 s0, exec_lo, s1
	s_or_b32 s7, s0, s7
	s_delay_alu instid0(SALU_CYCLE_1)
	s_and_not1_b32 exec_lo, exec_lo, s7
	s_cbranch_execnz .LBB1_3079
; %bb.3084:                             ;   in Loop: Header=BB1_3079 Depth=2
	s_or_b32 exec_lo, exec_lo, s7
	s_wait_loadcnt 0x0
	v_dual_mov_b32 v5, v6 :: v_dual_mov_b32 v14, 0
	s_mov_b32 s7, 0
	s_delay_alu instid0(VALU_DEP_1) | instskip(SKIP_1) | instid1(SALU_CYCLE_1)
	v_cmp_eq_u64_e64 s0, s[12:13], v[4:5]
	s_or_b32 s16, s0, s16
	s_and_not1_b32 exec_lo, exec_lo, s16
	s_cbranch_execnz .LBB1_3079
; %bb.3085:                             ;   in Loop: Header=BB1_1755 Depth=1
	s_or_b32 exec_lo, exec_lo, s16
	s_add_co_i32 s14, s6, 0xbe
	v_lshl_add_u64 v[4:5], s[4:5], 4, v[12:13]
	s_mul_hi_u32 s0, s14, 0x10624dd3
	s_mov_b32 s16, 0
	s_lshr_b32 s4, s0, 6
	s_mov_b32 s17, s12
	s_mulk_i32 s4, 0x3e8
	s_or_b64 s[0:1], s[16:17], s[12:13]
	s_sub_co_i32 s4, s14, s4
	v_dual_mov_b32 v0, s0 :: v_dual_mov_b32 v1, s1
	s_lshl_b32 s0, s4, 12
	s_mov_b32 s1, s5
	v_dual_mov_b32 v3, s12 :: v_dual_mov_b32 v14, 0
	v_add_nc_u64_e32 v[8:9], s[0:1], v[10:11]
	s_lshl_b32 s4, s4, 8
	s_mov_b32 s15, s5
	s_mov_b32 s7, s16
	global_store_b128 v[4:5], v[0:3], off th:TH_STORE_NT
.LBB1_3086:                             ;   Parent Loop BB1_1755 Depth=1
                                        ; =>  This Inner Loop Header: Depth=2
	s_wait_loadcnt 0x0
	global_load_b128 v[4:7], v[8:9], off th:TH_LOAD_NT
	v_add_nc_u32_e32 v14, 1, v14
	s_mov_b32 s1, -1
	s_mov_b32 s12, -1
	s_mov_b32 s13, exec_lo
	s_wait_xcnt 0x0
	v_cmpx_eq_u32_e32 0xf4240, v14
	s_cbranch_execz .LBB1_3088
; %bb.3087:                             ;   in Loop: Header=BB1_3086 Depth=2
	s_wait_loadcnt 0x0
	s_wait_storecnt 0x0
	global_load_b32 v0, v2, s[10:11] scope:SCOPE_SYS
	s_wait_loadcnt 0x0
	global_inv scope:SCOPE_SYS
	v_mov_b32_e32 v14, 0
	v_cmp_eq_u32_e64 s0, 0, v0
	s_or_not1_b32 s12, s0, exec_lo
.LBB1_3088:                             ;   in Loop: Header=BB1_3086 Depth=2
	s_wait_xcnt 0x0
	s_or_b32 exec_lo, exec_lo, s13
	s_and_saveexec_b32 s13, s12
	s_cbranch_execz .LBB1_3090
; %bb.3089:                             ;   in Loop: Header=BB1_3086 Depth=2
	s_wait_loadcnt 0x0
	v_cmp_eq_u32_e64 s0, s14, v5
	v_cmp_eq_u32_e64 s1, s14, v7
	s_and_b32 s0, s0, s1
	s_delay_alu instid0(SALU_CYCLE_1)
	s_or_not1_b32 s1, s0, exec_lo
.LBB1_3090:                             ;   in Loop: Header=BB1_3086 Depth=2
	s_or_b32 exec_lo, exec_lo, s13
	s_delay_alu instid0(SALU_CYCLE_1) | instskip(NEXT) | instid1(SALU_CYCLE_1)
	s_and_b32 s0, exec_lo, s1
	s_or_b32 s7, s0, s7
	s_delay_alu instid0(SALU_CYCLE_1)
	s_and_not1_b32 exec_lo, exec_lo, s7
	s_cbranch_execnz .LBB1_3086
; %bb.3091:                             ;   in Loop: Header=BB1_3086 Depth=2
	s_or_b32 exec_lo, exec_lo, s7
	s_wait_loadcnt 0x0
	v_dual_mov_b32 v5, v6 :: v_dual_mov_b32 v14, 0
	s_mov_b32 s7, 0
	s_delay_alu instid0(VALU_DEP_1) | instskip(SKIP_1) | instid1(SALU_CYCLE_1)
	v_cmp_eq_u64_e64 s0, s[14:15], v[4:5]
	s_or_b32 s16, s0, s16
	s_and_not1_b32 exec_lo, exec_lo, s16
	s_cbranch_execnz .LBB1_3086
; %bb.3092:                             ;   in Loop: Header=BB1_1755 Depth=1
	s_or_b32 exec_lo, exec_lo, s16
	s_add_co_i32 s12, s6, 0xbf
	v_lshl_add_u64 v[4:5], s[4:5], 4, v[12:13]
	s_mul_hi_u32 s0, s12, 0x10624dd3
	s_mov_b32 s16, 0
	s_lshr_b32 s4, s0, 6
	s_mov_b32 s17, s14
	s_mulk_i32 s4, 0x3e8
	s_or_b64 s[0:1], s[16:17], s[14:15]
	s_sub_co_i32 s4, s12, s4
	v_dual_mov_b32 v0, s0 :: v_dual_mov_b32 v1, s1
	s_lshl_b32 s0, s4, 12
	s_mov_b32 s1, s5
	v_dual_mov_b32 v3, s14 :: v_dual_mov_b32 v14, 0
	v_add_nc_u64_e32 v[8:9], s[0:1], v[10:11]
	s_lshl_b32 s4, s4, 8
	s_mov_b32 s13, s5
	s_mov_b32 s7, s16
	global_store_b128 v[4:5], v[0:3], off th:TH_STORE_NT
.LBB1_3093:                             ;   Parent Loop BB1_1755 Depth=1
                                        ; =>  This Inner Loop Header: Depth=2
	s_wait_loadcnt 0x0
	global_load_b128 v[4:7], v[8:9], off th:TH_LOAD_NT
	v_add_nc_u32_e32 v14, 1, v14
	s_mov_b32 s1, -1
	s_mov_b32 s14, -1
	s_mov_b32 s15, exec_lo
	s_wait_xcnt 0x0
	v_cmpx_eq_u32_e32 0xf4240, v14
	s_cbranch_execz .LBB1_3095
; %bb.3094:                             ;   in Loop: Header=BB1_3093 Depth=2
	s_wait_loadcnt 0x0
	s_wait_storecnt 0x0
	global_load_b32 v0, v2, s[10:11] scope:SCOPE_SYS
	s_wait_loadcnt 0x0
	global_inv scope:SCOPE_SYS
	v_mov_b32_e32 v14, 0
	v_cmp_eq_u32_e64 s0, 0, v0
	s_or_not1_b32 s14, s0, exec_lo
.LBB1_3095:                             ;   in Loop: Header=BB1_3093 Depth=2
	s_wait_xcnt 0x0
	s_or_b32 exec_lo, exec_lo, s15
	s_and_saveexec_b32 s15, s14
	s_cbranch_execz .LBB1_3097
; %bb.3096:                             ;   in Loop: Header=BB1_3093 Depth=2
	s_wait_loadcnt 0x0
	v_cmp_eq_u32_e64 s0, s12, v5
	v_cmp_eq_u32_e64 s1, s12, v7
	s_and_b32 s0, s0, s1
	s_delay_alu instid0(SALU_CYCLE_1)
	s_or_not1_b32 s1, s0, exec_lo
.LBB1_3097:                             ;   in Loop: Header=BB1_3093 Depth=2
	s_or_b32 exec_lo, exec_lo, s15
	s_delay_alu instid0(SALU_CYCLE_1) | instskip(NEXT) | instid1(SALU_CYCLE_1)
	s_and_b32 s0, exec_lo, s1
	s_or_b32 s7, s0, s7
	s_delay_alu instid0(SALU_CYCLE_1)
	s_and_not1_b32 exec_lo, exec_lo, s7
	s_cbranch_execnz .LBB1_3093
; %bb.3098:                             ;   in Loop: Header=BB1_3093 Depth=2
	s_or_b32 exec_lo, exec_lo, s7
	s_wait_loadcnt 0x0
	v_dual_mov_b32 v5, v6 :: v_dual_mov_b32 v14, 0
	s_mov_b32 s7, 0
	s_delay_alu instid0(VALU_DEP_1) | instskip(SKIP_1) | instid1(SALU_CYCLE_1)
	v_cmp_eq_u64_e64 s0, s[12:13], v[4:5]
	s_or_b32 s16, s0, s16
	s_and_not1_b32 exec_lo, exec_lo, s16
	s_cbranch_execnz .LBB1_3093
; %bb.3099:                             ;   in Loop: Header=BB1_1755 Depth=1
	s_or_b32 exec_lo, exec_lo, s16
	s_add_co_i32 s14, s6, 0xc0
	v_lshl_add_u64 v[4:5], s[4:5], 4, v[12:13]
	s_mul_hi_u32 s0, s14, 0x10624dd3
	s_mov_b32 s16, 0
	s_lshr_b32 s4, s0, 6
	s_mov_b32 s17, s12
	s_mulk_i32 s4, 0x3e8
	s_or_b64 s[0:1], s[16:17], s[12:13]
	s_sub_co_i32 s4, s14, s4
	v_dual_mov_b32 v0, s0 :: v_dual_mov_b32 v1, s1
	s_lshl_b32 s0, s4, 12
	s_mov_b32 s1, s5
	v_dual_mov_b32 v3, s12 :: v_dual_mov_b32 v14, 0
	v_add_nc_u64_e32 v[8:9], s[0:1], v[10:11]
	s_lshl_b32 s4, s4, 8
	s_mov_b32 s15, s5
	s_mov_b32 s7, s16
	global_store_b128 v[4:5], v[0:3], off th:TH_STORE_NT
.LBB1_3100:                             ;   Parent Loop BB1_1755 Depth=1
                                        ; =>  This Inner Loop Header: Depth=2
	s_wait_loadcnt 0x0
	global_load_b128 v[4:7], v[8:9], off th:TH_LOAD_NT
	v_add_nc_u32_e32 v14, 1, v14
	s_mov_b32 s1, -1
	s_mov_b32 s12, -1
	s_mov_b32 s13, exec_lo
	s_wait_xcnt 0x0
	v_cmpx_eq_u32_e32 0xf4240, v14
	s_cbranch_execz .LBB1_3102
; %bb.3101:                             ;   in Loop: Header=BB1_3100 Depth=2
	s_wait_loadcnt 0x0
	s_wait_storecnt 0x0
	global_load_b32 v0, v2, s[10:11] scope:SCOPE_SYS
	s_wait_loadcnt 0x0
	global_inv scope:SCOPE_SYS
	v_mov_b32_e32 v14, 0
	v_cmp_eq_u32_e64 s0, 0, v0
	s_or_not1_b32 s12, s0, exec_lo
.LBB1_3102:                             ;   in Loop: Header=BB1_3100 Depth=2
	s_wait_xcnt 0x0
	s_or_b32 exec_lo, exec_lo, s13
	s_and_saveexec_b32 s13, s12
	s_cbranch_execz .LBB1_3104
; %bb.3103:                             ;   in Loop: Header=BB1_3100 Depth=2
	s_wait_loadcnt 0x0
	v_cmp_eq_u32_e64 s0, s14, v5
	v_cmp_eq_u32_e64 s1, s14, v7
	s_and_b32 s0, s0, s1
	s_delay_alu instid0(SALU_CYCLE_1)
	s_or_not1_b32 s1, s0, exec_lo
.LBB1_3104:                             ;   in Loop: Header=BB1_3100 Depth=2
	s_or_b32 exec_lo, exec_lo, s13
	s_delay_alu instid0(SALU_CYCLE_1) | instskip(NEXT) | instid1(SALU_CYCLE_1)
	s_and_b32 s0, exec_lo, s1
	s_or_b32 s7, s0, s7
	s_delay_alu instid0(SALU_CYCLE_1)
	s_and_not1_b32 exec_lo, exec_lo, s7
	s_cbranch_execnz .LBB1_3100
; %bb.3105:                             ;   in Loop: Header=BB1_3100 Depth=2
	s_or_b32 exec_lo, exec_lo, s7
	s_wait_loadcnt 0x0
	v_dual_mov_b32 v5, v6 :: v_dual_mov_b32 v14, 0
	s_mov_b32 s7, 0
	s_delay_alu instid0(VALU_DEP_1) | instskip(SKIP_1) | instid1(SALU_CYCLE_1)
	v_cmp_eq_u64_e64 s0, s[14:15], v[4:5]
	s_or_b32 s16, s0, s16
	s_and_not1_b32 exec_lo, exec_lo, s16
	s_cbranch_execnz .LBB1_3100
; %bb.3106:                             ;   in Loop: Header=BB1_1755 Depth=1
	s_or_b32 exec_lo, exec_lo, s16
	s_add_co_i32 s12, s6, 0xc1
	v_lshl_add_u64 v[4:5], s[4:5], 4, v[12:13]
	s_mul_hi_u32 s0, s12, 0x10624dd3
	s_mov_b32 s16, 0
	s_lshr_b32 s4, s0, 6
	s_mov_b32 s17, s14
	s_mulk_i32 s4, 0x3e8
	s_or_b64 s[0:1], s[16:17], s[14:15]
	s_sub_co_i32 s4, s12, s4
	v_dual_mov_b32 v0, s0 :: v_dual_mov_b32 v1, s1
	s_lshl_b32 s0, s4, 12
	s_mov_b32 s1, s5
	v_dual_mov_b32 v3, s14 :: v_dual_mov_b32 v14, 0
	v_add_nc_u64_e32 v[8:9], s[0:1], v[10:11]
	s_lshl_b32 s4, s4, 8
	s_mov_b32 s13, s5
	s_mov_b32 s7, s16
	global_store_b128 v[4:5], v[0:3], off th:TH_STORE_NT
.LBB1_3107:                             ;   Parent Loop BB1_1755 Depth=1
                                        ; =>  This Inner Loop Header: Depth=2
	s_wait_loadcnt 0x0
	global_load_b128 v[4:7], v[8:9], off th:TH_LOAD_NT
	v_add_nc_u32_e32 v14, 1, v14
	s_mov_b32 s1, -1
	s_mov_b32 s14, -1
	s_mov_b32 s15, exec_lo
	s_wait_xcnt 0x0
	v_cmpx_eq_u32_e32 0xf4240, v14
	s_cbranch_execz .LBB1_3109
; %bb.3108:                             ;   in Loop: Header=BB1_3107 Depth=2
	s_wait_loadcnt 0x0
	s_wait_storecnt 0x0
	global_load_b32 v0, v2, s[10:11] scope:SCOPE_SYS
	s_wait_loadcnt 0x0
	global_inv scope:SCOPE_SYS
	v_mov_b32_e32 v14, 0
	v_cmp_eq_u32_e64 s0, 0, v0
	s_or_not1_b32 s14, s0, exec_lo
.LBB1_3109:                             ;   in Loop: Header=BB1_3107 Depth=2
	s_wait_xcnt 0x0
	s_or_b32 exec_lo, exec_lo, s15
	s_and_saveexec_b32 s15, s14
	s_cbranch_execz .LBB1_3111
; %bb.3110:                             ;   in Loop: Header=BB1_3107 Depth=2
	s_wait_loadcnt 0x0
	v_cmp_eq_u32_e64 s0, s12, v5
	v_cmp_eq_u32_e64 s1, s12, v7
	s_and_b32 s0, s0, s1
	s_delay_alu instid0(SALU_CYCLE_1)
	s_or_not1_b32 s1, s0, exec_lo
.LBB1_3111:                             ;   in Loop: Header=BB1_3107 Depth=2
	s_or_b32 exec_lo, exec_lo, s15
	s_delay_alu instid0(SALU_CYCLE_1) | instskip(NEXT) | instid1(SALU_CYCLE_1)
	s_and_b32 s0, exec_lo, s1
	s_or_b32 s7, s0, s7
	s_delay_alu instid0(SALU_CYCLE_1)
	s_and_not1_b32 exec_lo, exec_lo, s7
	s_cbranch_execnz .LBB1_3107
; %bb.3112:                             ;   in Loop: Header=BB1_3107 Depth=2
	s_or_b32 exec_lo, exec_lo, s7
	s_wait_loadcnt 0x0
	v_dual_mov_b32 v5, v6 :: v_dual_mov_b32 v14, 0
	s_mov_b32 s7, 0
	s_delay_alu instid0(VALU_DEP_1) | instskip(SKIP_1) | instid1(SALU_CYCLE_1)
	v_cmp_eq_u64_e64 s0, s[12:13], v[4:5]
	s_or_b32 s16, s0, s16
	s_and_not1_b32 exec_lo, exec_lo, s16
	s_cbranch_execnz .LBB1_3107
; %bb.3113:                             ;   in Loop: Header=BB1_1755 Depth=1
	s_or_b32 exec_lo, exec_lo, s16
	s_add_co_i32 s14, s6, 0xc2
	v_lshl_add_u64 v[4:5], s[4:5], 4, v[12:13]
	s_mul_hi_u32 s0, s14, 0x10624dd3
	s_mov_b32 s16, 0
	s_lshr_b32 s4, s0, 6
	s_mov_b32 s17, s12
	s_mulk_i32 s4, 0x3e8
	s_or_b64 s[0:1], s[16:17], s[12:13]
	s_sub_co_i32 s4, s14, s4
	v_dual_mov_b32 v0, s0 :: v_dual_mov_b32 v1, s1
	s_lshl_b32 s0, s4, 12
	s_mov_b32 s1, s5
	v_dual_mov_b32 v3, s12 :: v_dual_mov_b32 v14, 0
	v_add_nc_u64_e32 v[8:9], s[0:1], v[10:11]
	s_lshl_b32 s4, s4, 8
	s_mov_b32 s15, s5
	s_mov_b32 s7, s16
	global_store_b128 v[4:5], v[0:3], off th:TH_STORE_NT
.LBB1_3114:                             ;   Parent Loop BB1_1755 Depth=1
                                        ; =>  This Inner Loop Header: Depth=2
	s_wait_loadcnt 0x0
	global_load_b128 v[4:7], v[8:9], off th:TH_LOAD_NT
	v_add_nc_u32_e32 v14, 1, v14
	s_mov_b32 s1, -1
	s_mov_b32 s12, -1
	s_mov_b32 s13, exec_lo
	s_wait_xcnt 0x0
	v_cmpx_eq_u32_e32 0xf4240, v14
	s_cbranch_execz .LBB1_3116
; %bb.3115:                             ;   in Loop: Header=BB1_3114 Depth=2
	s_wait_loadcnt 0x0
	s_wait_storecnt 0x0
	global_load_b32 v0, v2, s[10:11] scope:SCOPE_SYS
	s_wait_loadcnt 0x0
	global_inv scope:SCOPE_SYS
	v_mov_b32_e32 v14, 0
	v_cmp_eq_u32_e64 s0, 0, v0
	s_or_not1_b32 s12, s0, exec_lo
.LBB1_3116:                             ;   in Loop: Header=BB1_3114 Depth=2
	s_wait_xcnt 0x0
	s_or_b32 exec_lo, exec_lo, s13
	s_and_saveexec_b32 s13, s12
	s_cbranch_execz .LBB1_3118
; %bb.3117:                             ;   in Loop: Header=BB1_3114 Depth=2
	s_wait_loadcnt 0x0
	v_cmp_eq_u32_e64 s0, s14, v5
	v_cmp_eq_u32_e64 s1, s14, v7
	s_and_b32 s0, s0, s1
	s_delay_alu instid0(SALU_CYCLE_1)
	s_or_not1_b32 s1, s0, exec_lo
.LBB1_3118:                             ;   in Loop: Header=BB1_3114 Depth=2
	s_or_b32 exec_lo, exec_lo, s13
	s_delay_alu instid0(SALU_CYCLE_1) | instskip(NEXT) | instid1(SALU_CYCLE_1)
	s_and_b32 s0, exec_lo, s1
	s_or_b32 s7, s0, s7
	s_delay_alu instid0(SALU_CYCLE_1)
	s_and_not1_b32 exec_lo, exec_lo, s7
	s_cbranch_execnz .LBB1_3114
; %bb.3119:                             ;   in Loop: Header=BB1_3114 Depth=2
	s_or_b32 exec_lo, exec_lo, s7
	s_wait_loadcnt 0x0
	v_dual_mov_b32 v5, v6 :: v_dual_mov_b32 v14, 0
	s_mov_b32 s7, 0
	s_delay_alu instid0(VALU_DEP_1) | instskip(SKIP_1) | instid1(SALU_CYCLE_1)
	v_cmp_eq_u64_e64 s0, s[14:15], v[4:5]
	s_or_b32 s16, s0, s16
	s_and_not1_b32 exec_lo, exec_lo, s16
	s_cbranch_execnz .LBB1_3114
; %bb.3120:                             ;   in Loop: Header=BB1_1755 Depth=1
	s_or_b32 exec_lo, exec_lo, s16
	s_add_co_i32 s12, s6, 0xc3
	v_lshl_add_u64 v[4:5], s[4:5], 4, v[12:13]
	s_mul_hi_u32 s0, s12, 0x10624dd3
	s_mov_b32 s16, 0
	s_lshr_b32 s4, s0, 6
	s_mov_b32 s17, s14
	s_mulk_i32 s4, 0x3e8
	s_or_b64 s[0:1], s[16:17], s[14:15]
	s_sub_co_i32 s4, s12, s4
	v_dual_mov_b32 v0, s0 :: v_dual_mov_b32 v1, s1
	s_lshl_b32 s0, s4, 12
	s_mov_b32 s1, s5
	v_dual_mov_b32 v3, s14 :: v_dual_mov_b32 v14, 0
	v_add_nc_u64_e32 v[8:9], s[0:1], v[10:11]
	s_lshl_b32 s4, s4, 8
	s_mov_b32 s13, s5
	s_mov_b32 s7, s16
	global_store_b128 v[4:5], v[0:3], off th:TH_STORE_NT
.LBB1_3121:                             ;   Parent Loop BB1_1755 Depth=1
                                        ; =>  This Inner Loop Header: Depth=2
	s_wait_loadcnt 0x0
	global_load_b128 v[4:7], v[8:9], off th:TH_LOAD_NT
	v_add_nc_u32_e32 v14, 1, v14
	s_mov_b32 s1, -1
	s_mov_b32 s14, -1
	s_mov_b32 s15, exec_lo
	s_wait_xcnt 0x0
	v_cmpx_eq_u32_e32 0xf4240, v14
	s_cbranch_execz .LBB1_3123
; %bb.3122:                             ;   in Loop: Header=BB1_3121 Depth=2
	s_wait_loadcnt 0x0
	s_wait_storecnt 0x0
	global_load_b32 v0, v2, s[10:11] scope:SCOPE_SYS
	s_wait_loadcnt 0x0
	global_inv scope:SCOPE_SYS
	v_mov_b32_e32 v14, 0
	v_cmp_eq_u32_e64 s0, 0, v0
	s_or_not1_b32 s14, s0, exec_lo
.LBB1_3123:                             ;   in Loop: Header=BB1_3121 Depth=2
	s_wait_xcnt 0x0
	s_or_b32 exec_lo, exec_lo, s15
	s_and_saveexec_b32 s15, s14
	s_cbranch_execz .LBB1_3125
; %bb.3124:                             ;   in Loop: Header=BB1_3121 Depth=2
	s_wait_loadcnt 0x0
	v_cmp_eq_u32_e64 s0, s12, v5
	v_cmp_eq_u32_e64 s1, s12, v7
	s_and_b32 s0, s0, s1
	s_delay_alu instid0(SALU_CYCLE_1)
	s_or_not1_b32 s1, s0, exec_lo
.LBB1_3125:                             ;   in Loop: Header=BB1_3121 Depth=2
	s_or_b32 exec_lo, exec_lo, s15
	s_delay_alu instid0(SALU_CYCLE_1) | instskip(NEXT) | instid1(SALU_CYCLE_1)
	s_and_b32 s0, exec_lo, s1
	s_or_b32 s7, s0, s7
	s_delay_alu instid0(SALU_CYCLE_1)
	s_and_not1_b32 exec_lo, exec_lo, s7
	s_cbranch_execnz .LBB1_3121
; %bb.3126:                             ;   in Loop: Header=BB1_3121 Depth=2
	s_or_b32 exec_lo, exec_lo, s7
	s_wait_loadcnt 0x0
	v_dual_mov_b32 v5, v6 :: v_dual_mov_b32 v14, 0
	s_mov_b32 s7, 0
	s_delay_alu instid0(VALU_DEP_1) | instskip(SKIP_1) | instid1(SALU_CYCLE_1)
	v_cmp_eq_u64_e64 s0, s[12:13], v[4:5]
	s_or_b32 s16, s0, s16
	s_and_not1_b32 exec_lo, exec_lo, s16
	s_cbranch_execnz .LBB1_3121
; %bb.3127:                             ;   in Loop: Header=BB1_1755 Depth=1
	s_or_b32 exec_lo, exec_lo, s16
	s_add_co_i32 s14, s6, 0xc4
	v_lshl_add_u64 v[4:5], s[4:5], 4, v[12:13]
	s_mul_hi_u32 s0, s14, 0x10624dd3
	s_mov_b32 s16, 0
	s_lshr_b32 s4, s0, 6
	s_mov_b32 s17, s12
	s_mulk_i32 s4, 0x3e8
	s_or_b64 s[0:1], s[16:17], s[12:13]
	s_sub_co_i32 s4, s14, s4
	v_dual_mov_b32 v0, s0 :: v_dual_mov_b32 v1, s1
	s_lshl_b32 s0, s4, 12
	s_mov_b32 s1, s5
	v_dual_mov_b32 v3, s12 :: v_dual_mov_b32 v14, 0
	v_add_nc_u64_e32 v[8:9], s[0:1], v[10:11]
	s_lshl_b32 s4, s4, 8
	s_mov_b32 s15, s5
	s_mov_b32 s7, s16
	global_store_b128 v[4:5], v[0:3], off th:TH_STORE_NT
.LBB1_3128:                             ;   Parent Loop BB1_1755 Depth=1
                                        ; =>  This Inner Loop Header: Depth=2
	s_wait_loadcnt 0x0
	global_load_b128 v[4:7], v[8:9], off th:TH_LOAD_NT
	v_add_nc_u32_e32 v14, 1, v14
	s_mov_b32 s1, -1
	s_mov_b32 s12, -1
	s_mov_b32 s13, exec_lo
	s_wait_xcnt 0x0
	v_cmpx_eq_u32_e32 0xf4240, v14
	s_cbranch_execz .LBB1_3130
; %bb.3129:                             ;   in Loop: Header=BB1_3128 Depth=2
	s_wait_loadcnt 0x0
	s_wait_storecnt 0x0
	global_load_b32 v0, v2, s[10:11] scope:SCOPE_SYS
	s_wait_loadcnt 0x0
	global_inv scope:SCOPE_SYS
	v_mov_b32_e32 v14, 0
	v_cmp_eq_u32_e64 s0, 0, v0
	s_or_not1_b32 s12, s0, exec_lo
.LBB1_3130:                             ;   in Loop: Header=BB1_3128 Depth=2
	s_wait_xcnt 0x0
	s_or_b32 exec_lo, exec_lo, s13
	s_and_saveexec_b32 s13, s12
	s_cbranch_execz .LBB1_3132
; %bb.3131:                             ;   in Loop: Header=BB1_3128 Depth=2
	s_wait_loadcnt 0x0
	v_cmp_eq_u32_e64 s0, s14, v5
	v_cmp_eq_u32_e64 s1, s14, v7
	s_and_b32 s0, s0, s1
	s_delay_alu instid0(SALU_CYCLE_1)
	s_or_not1_b32 s1, s0, exec_lo
.LBB1_3132:                             ;   in Loop: Header=BB1_3128 Depth=2
	s_or_b32 exec_lo, exec_lo, s13
	s_delay_alu instid0(SALU_CYCLE_1) | instskip(NEXT) | instid1(SALU_CYCLE_1)
	s_and_b32 s0, exec_lo, s1
	s_or_b32 s7, s0, s7
	s_delay_alu instid0(SALU_CYCLE_1)
	s_and_not1_b32 exec_lo, exec_lo, s7
	s_cbranch_execnz .LBB1_3128
; %bb.3133:                             ;   in Loop: Header=BB1_3128 Depth=2
	s_or_b32 exec_lo, exec_lo, s7
	s_wait_loadcnt 0x0
	v_dual_mov_b32 v5, v6 :: v_dual_mov_b32 v14, 0
	s_mov_b32 s7, 0
	s_delay_alu instid0(VALU_DEP_1) | instskip(SKIP_1) | instid1(SALU_CYCLE_1)
	v_cmp_eq_u64_e64 s0, s[14:15], v[4:5]
	s_or_b32 s16, s0, s16
	s_and_not1_b32 exec_lo, exec_lo, s16
	s_cbranch_execnz .LBB1_3128
; %bb.3134:                             ;   in Loop: Header=BB1_1755 Depth=1
	s_or_b32 exec_lo, exec_lo, s16
	s_add_co_i32 s12, s6, 0xc5
	v_lshl_add_u64 v[4:5], s[4:5], 4, v[12:13]
	s_mul_hi_u32 s0, s12, 0x10624dd3
	s_mov_b32 s16, 0
	s_lshr_b32 s4, s0, 6
	s_mov_b32 s17, s14
	s_mulk_i32 s4, 0x3e8
	s_or_b64 s[0:1], s[16:17], s[14:15]
	s_sub_co_i32 s4, s12, s4
	v_dual_mov_b32 v0, s0 :: v_dual_mov_b32 v1, s1
	s_lshl_b32 s0, s4, 12
	s_mov_b32 s1, s5
	v_dual_mov_b32 v3, s14 :: v_dual_mov_b32 v14, 0
	v_add_nc_u64_e32 v[8:9], s[0:1], v[10:11]
	s_lshl_b32 s4, s4, 8
	s_mov_b32 s13, s5
	s_mov_b32 s7, s16
	global_store_b128 v[4:5], v[0:3], off th:TH_STORE_NT
.LBB1_3135:                             ;   Parent Loop BB1_1755 Depth=1
                                        ; =>  This Inner Loop Header: Depth=2
	s_wait_loadcnt 0x0
	global_load_b128 v[4:7], v[8:9], off th:TH_LOAD_NT
	v_add_nc_u32_e32 v14, 1, v14
	s_mov_b32 s1, -1
	s_mov_b32 s14, -1
	s_mov_b32 s15, exec_lo
	s_wait_xcnt 0x0
	v_cmpx_eq_u32_e32 0xf4240, v14
	s_cbranch_execz .LBB1_3137
; %bb.3136:                             ;   in Loop: Header=BB1_3135 Depth=2
	s_wait_loadcnt 0x0
	s_wait_storecnt 0x0
	global_load_b32 v0, v2, s[10:11] scope:SCOPE_SYS
	s_wait_loadcnt 0x0
	global_inv scope:SCOPE_SYS
	v_mov_b32_e32 v14, 0
	v_cmp_eq_u32_e64 s0, 0, v0
	s_or_not1_b32 s14, s0, exec_lo
.LBB1_3137:                             ;   in Loop: Header=BB1_3135 Depth=2
	s_wait_xcnt 0x0
	s_or_b32 exec_lo, exec_lo, s15
	s_and_saveexec_b32 s15, s14
	s_cbranch_execz .LBB1_3139
; %bb.3138:                             ;   in Loop: Header=BB1_3135 Depth=2
	s_wait_loadcnt 0x0
	v_cmp_eq_u32_e64 s0, s12, v5
	v_cmp_eq_u32_e64 s1, s12, v7
	s_and_b32 s0, s0, s1
	s_delay_alu instid0(SALU_CYCLE_1)
	s_or_not1_b32 s1, s0, exec_lo
.LBB1_3139:                             ;   in Loop: Header=BB1_3135 Depth=2
	s_or_b32 exec_lo, exec_lo, s15
	s_delay_alu instid0(SALU_CYCLE_1) | instskip(NEXT) | instid1(SALU_CYCLE_1)
	s_and_b32 s0, exec_lo, s1
	s_or_b32 s7, s0, s7
	s_delay_alu instid0(SALU_CYCLE_1)
	s_and_not1_b32 exec_lo, exec_lo, s7
	s_cbranch_execnz .LBB1_3135
; %bb.3140:                             ;   in Loop: Header=BB1_3135 Depth=2
	s_or_b32 exec_lo, exec_lo, s7
	s_wait_loadcnt 0x0
	v_dual_mov_b32 v5, v6 :: v_dual_mov_b32 v14, 0
	s_mov_b32 s7, 0
	s_delay_alu instid0(VALU_DEP_1) | instskip(SKIP_1) | instid1(SALU_CYCLE_1)
	v_cmp_eq_u64_e64 s0, s[12:13], v[4:5]
	s_or_b32 s16, s0, s16
	s_and_not1_b32 exec_lo, exec_lo, s16
	s_cbranch_execnz .LBB1_3135
; %bb.3141:                             ;   in Loop: Header=BB1_1755 Depth=1
	s_or_b32 exec_lo, exec_lo, s16
	s_add_co_i32 s14, s6, 0xc6
	v_lshl_add_u64 v[4:5], s[4:5], 4, v[12:13]
	s_mul_hi_u32 s0, s14, 0x10624dd3
	s_mov_b32 s16, 0
	s_lshr_b32 s4, s0, 6
	s_mov_b32 s17, s12
	s_mulk_i32 s4, 0x3e8
	s_or_b64 s[0:1], s[16:17], s[12:13]
	s_sub_co_i32 s4, s14, s4
	v_dual_mov_b32 v0, s0 :: v_dual_mov_b32 v1, s1
	s_lshl_b32 s0, s4, 12
	s_mov_b32 s1, s5
	v_dual_mov_b32 v3, s12 :: v_dual_mov_b32 v14, 0
	v_add_nc_u64_e32 v[8:9], s[0:1], v[10:11]
	s_lshl_b32 s4, s4, 8
	s_mov_b32 s15, s5
	s_mov_b32 s7, s16
	global_store_b128 v[4:5], v[0:3], off th:TH_STORE_NT
.LBB1_3142:                             ;   Parent Loop BB1_1755 Depth=1
                                        ; =>  This Inner Loop Header: Depth=2
	s_wait_loadcnt 0x0
	global_load_b128 v[4:7], v[8:9], off th:TH_LOAD_NT
	v_add_nc_u32_e32 v14, 1, v14
	s_mov_b32 s1, -1
	s_mov_b32 s12, -1
	s_mov_b32 s13, exec_lo
	s_wait_xcnt 0x0
	v_cmpx_eq_u32_e32 0xf4240, v14
	s_cbranch_execz .LBB1_3144
; %bb.3143:                             ;   in Loop: Header=BB1_3142 Depth=2
	s_wait_loadcnt 0x0
	s_wait_storecnt 0x0
	global_load_b32 v0, v2, s[10:11] scope:SCOPE_SYS
	s_wait_loadcnt 0x0
	global_inv scope:SCOPE_SYS
	v_mov_b32_e32 v14, 0
	v_cmp_eq_u32_e64 s0, 0, v0
	s_or_not1_b32 s12, s0, exec_lo
.LBB1_3144:                             ;   in Loop: Header=BB1_3142 Depth=2
	s_wait_xcnt 0x0
	s_or_b32 exec_lo, exec_lo, s13
	s_and_saveexec_b32 s13, s12
	s_cbranch_execz .LBB1_3146
; %bb.3145:                             ;   in Loop: Header=BB1_3142 Depth=2
	s_wait_loadcnt 0x0
	v_cmp_eq_u32_e64 s0, s14, v5
	v_cmp_eq_u32_e64 s1, s14, v7
	s_and_b32 s0, s0, s1
	s_delay_alu instid0(SALU_CYCLE_1)
	s_or_not1_b32 s1, s0, exec_lo
.LBB1_3146:                             ;   in Loop: Header=BB1_3142 Depth=2
	s_or_b32 exec_lo, exec_lo, s13
	s_delay_alu instid0(SALU_CYCLE_1) | instskip(NEXT) | instid1(SALU_CYCLE_1)
	s_and_b32 s0, exec_lo, s1
	s_or_b32 s7, s0, s7
	s_delay_alu instid0(SALU_CYCLE_1)
	s_and_not1_b32 exec_lo, exec_lo, s7
	s_cbranch_execnz .LBB1_3142
; %bb.3147:                             ;   in Loop: Header=BB1_3142 Depth=2
	s_or_b32 exec_lo, exec_lo, s7
	s_wait_loadcnt 0x0
	v_dual_mov_b32 v5, v6 :: v_dual_mov_b32 v14, 0
	s_mov_b32 s7, 0
	s_delay_alu instid0(VALU_DEP_1) | instskip(SKIP_1) | instid1(SALU_CYCLE_1)
	v_cmp_eq_u64_e64 s0, s[14:15], v[4:5]
	s_or_b32 s16, s0, s16
	s_and_not1_b32 exec_lo, exec_lo, s16
	s_cbranch_execnz .LBB1_3142
; %bb.3148:                             ;   in Loop: Header=BB1_1755 Depth=1
	s_or_b32 exec_lo, exec_lo, s16
	s_add_co_i32 s12, s6, 0xc7
	v_lshl_add_u64 v[4:5], s[4:5], 4, v[12:13]
	s_mul_hi_u32 s0, s12, 0x10624dd3
	s_mov_b32 s16, 0
	s_lshr_b32 s4, s0, 6
	s_mov_b32 s17, s14
	s_mulk_i32 s4, 0x3e8
	s_or_b64 s[0:1], s[16:17], s[14:15]
	s_sub_co_i32 s4, s12, s4
	v_dual_mov_b32 v0, s0 :: v_dual_mov_b32 v1, s1
	s_lshl_b32 s0, s4, 12
	s_mov_b32 s1, s5
	v_dual_mov_b32 v3, s14 :: v_dual_mov_b32 v14, 0
	v_add_nc_u64_e32 v[8:9], s[0:1], v[10:11]
	s_lshl_b32 s4, s4, 8
	s_mov_b32 s13, s5
	s_mov_b32 s7, s16
	global_store_b128 v[4:5], v[0:3], off th:TH_STORE_NT
.LBB1_3149:                             ;   Parent Loop BB1_1755 Depth=1
                                        ; =>  This Inner Loop Header: Depth=2
	s_wait_loadcnt 0x0
	global_load_b128 v[4:7], v[8:9], off th:TH_LOAD_NT
	v_add_nc_u32_e32 v14, 1, v14
	s_mov_b32 s1, -1
	s_mov_b32 s14, -1
	s_mov_b32 s15, exec_lo
	s_wait_xcnt 0x0
	v_cmpx_eq_u32_e32 0xf4240, v14
	s_cbranch_execz .LBB1_3151
; %bb.3150:                             ;   in Loop: Header=BB1_3149 Depth=2
	s_wait_loadcnt 0x0
	s_wait_storecnt 0x0
	global_load_b32 v0, v2, s[10:11] scope:SCOPE_SYS
	s_wait_loadcnt 0x0
	global_inv scope:SCOPE_SYS
	v_mov_b32_e32 v14, 0
	v_cmp_eq_u32_e64 s0, 0, v0
	s_or_not1_b32 s14, s0, exec_lo
.LBB1_3151:                             ;   in Loop: Header=BB1_3149 Depth=2
	s_wait_xcnt 0x0
	s_or_b32 exec_lo, exec_lo, s15
	s_and_saveexec_b32 s15, s14
	s_cbranch_execz .LBB1_3153
; %bb.3152:                             ;   in Loop: Header=BB1_3149 Depth=2
	s_wait_loadcnt 0x0
	v_cmp_eq_u32_e64 s0, s12, v5
	v_cmp_eq_u32_e64 s1, s12, v7
	s_and_b32 s0, s0, s1
	s_delay_alu instid0(SALU_CYCLE_1)
	s_or_not1_b32 s1, s0, exec_lo
.LBB1_3153:                             ;   in Loop: Header=BB1_3149 Depth=2
	s_or_b32 exec_lo, exec_lo, s15
	s_delay_alu instid0(SALU_CYCLE_1) | instskip(NEXT) | instid1(SALU_CYCLE_1)
	s_and_b32 s0, exec_lo, s1
	s_or_b32 s7, s0, s7
	s_delay_alu instid0(SALU_CYCLE_1)
	s_and_not1_b32 exec_lo, exec_lo, s7
	s_cbranch_execnz .LBB1_3149
; %bb.3154:                             ;   in Loop: Header=BB1_3149 Depth=2
	s_or_b32 exec_lo, exec_lo, s7
	s_wait_loadcnt 0x0
	v_dual_mov_b32 v5, v6 :: v_dual_mov_b32 v14, 0
	s_mov_b32 s7, 0
	s_delay_alu instid0(VALU_DEP_1) | instskip(SKIP_1) | instid1(SALU_CYCLE_1)
	v_cmp_eq_u64_e64 s0, s[12:13], v[4:5]
	s_or_b32 s16, s0, s16
	s_and_not1_b32 exec_lo, exec_lo, s16
	s_cbranch_execnz .LBB1_3149
; %bb.3155:                             ;   in Loop: Header=BB1_1755 Depth=1
	s_or_b32 exec_lo, exec_lo, s16
	s_add_co_i32 s14, s6, 0xc8
	v_lshl_add_u64 v[4:5], s[4:5], 4, v[12:13]
	s_mul_hi_u32 s0, s14, 0x10624dd3
	s_mov_b32 s16, 0
	s_lshr_b32 s4, s0, 6
	s_mov_b32 s17, s12
	s_mulk_i32 s4, 0x3e8
	s_or_b64 s[0:1], s[16:17], s[12:13]
	s_sub_co_i32 s4, s14, s4
	v_dual_mov_b32 v0, s0 :: v_dual_mov_b32 v1, s1
	s_lshl_b32 s0, s4, 12
	s_mov_b32 s1, s5
	v_dual_mov_b32 v3, s12 :: v_dual_mov_b32 v14, 0
	v_add_nc_u64_e32 v[8:9], s[0:1], v[10:11]
	s_lshl_b32 s4, s4, 8
	s_mov_b32 s15, s5
	s_mov_b32 s7, s16
	global_store_b128 v[4:5], v[0:3], off th:TH_STORE_NT
.LBB1_3156:                             ;   Parent Loop BB1_1755 Depth=1
                                        ; =>  This Inner Loop Header: Depth=2
	s_wait_loadcnt 0x0
	global_load_b128 v[4:7], v[8:9], off th:TH_LOAD_NT
	v_add_nc_u32_e32 v14, 1, v14
	s_mov_b32 s1, -1
	s_mov_b32 s12, -1
	s_mov_b32 s13, exec_lo
	s_wait_xcnt 0x0
	v_cmpx_eq_u32_e32 0xf4240, v14
	s_cbranch_execz .LBB1_3158
; %bb.3157:                             ;   in Loop: Header=BB1_3156 Depth=2
	s_wait_loadcnt 0x0
	s_wait_storecnt 0x0
	global_load_b32 v0, v2, s[10:11] scope:SCOPE_SYS
	s_wait_loadcnt 0x0
	global_inv scope:SCOPE_SYS
	v_mov_b32_e32 v14, 0
	v_cmp_eq_u32_e64 s0, 0, v0
	s_or_not1_b32 s12, s0, exec_lo
.LBB1_3158:                             ;   in Loop: Header=BB1_3156 Depth=2
	s_wait_xcnt 0x0
	s_or_b32 exec_lo, exec_lo, s13
	s_and_saveexec_b32 s13, s12
	s_cbranch_execz .LBB1_3160
; %bb.3159:                             ;   in Loop: Header=BB1_3156 Depth=2
	s_wait_loadcnt 0x0
	v_cmp_eq_u32_e64 s0, s14, v5
	v_cmp_eq_u32_e64 s1, s14, v7
	s_and_b32 s0, s0, s1
	s_delay_alu instid0(SALU_CYCLE_1)
	s_or_not1_b32 s1, s0, exec_lo
.LBB1_3160:                             ;   in Loop: Header=BB1_3156 Depth=2
	s_or_b32 exec_lo, exec_lo, s13
	s_delay_alu instid0(SALU_CYCLE_1) | instskip(NEXT) | instid1(SALU_CYCLE_1)
	s_and_b32 s0, exec_lo, s1
	s_or_b32 s7, s0, s7
	s_delay_alu instid0(SALU_CYCLE_1)
	s_and_not1_b32 exec_lo, exec_lo, s7
	s_cbranch_execnz .LBB1_3156
; %bb.3161:                             ;   in Loop: Header=BB1_3156 Depth=2
	s_or_b32 exec_lo, exec_lo, s7
	s_wait_loadcnt 0x0
	v_dual_mov_b32 v5, v6 :: v_dual_mov_b32 v14, 0
	s_mov_b32 s7, 0
	s_delay_alu instid0(VALU_DEP_1) | instskip(SKIP_1) | instid1(SALU_CYCLE_1)
	v_cmp_eq_u64_e64 s0, s[14:15], v[4:5]
	s_or_b32 s16, s0, s16
	s_and_not1_b32 exec_lo, exec_lo, s16
	s_cbranch_execnz .LBB1_3156
; %bb.3162:                             ;   in Loop: Header=BB1_1755 Depth=1
	s_or_b32 exec_lo, exec_lo, s16
	s_add_co_i32 s12, s6, 0xc9
	v_lshl_add_u64 v[4:5], s[4:5], 4, v[12:13]
	s_mul_hi_u32 s0, s12, 0x10624dd3
	s_mov_b32 s16, 0
	s_lshr_b32 s4, s0, 6
	s_mov_b32 s17, s14
	s_mulk_i32 s4, 0x3e8
	s_or_b64 s[0:1], s[16:17], s[14:15]
	s_sub_co_i32 s4, s12, s4
	v_dual_mov_b32 v0, s0 :: v_dual_mov_b32 v1, s1
	s_lshl_b32 s0, s4, 12
	s_mov_b32 s1, s5
	v_dual_mov_b32 v3, s14 :: v_dual_mov_b32 v14, 0
	v_add_nc_u64_e32 v[8:9], s[0:1], v[10:11]
	s_lshl_b32 s4, s4, 8
	s_mov_b32 s13, s5
	s_mov_b32 s7, s16
	global_store_b128 v[4:5], v[0:3], off th:TH_STORE_NT
.LBB1_3163:                             ;   Parent Loop BB1_1755 Depth=1
                                        ; =>  This Inner Loop Header: Depth=2
	s_wait_loadcnt 0x0
	global_load_b128 v[4:7], v[8:9], off th:TH_LOAD_NT
	v_add_nc_u32_e32 v14, 1, v14
	s_mov_b32 s1, -1
	s_mov_b32 s14, -1
	s_mov_b32 s15, exec_lo
	s_wait_xcnt 0x0
	v_cmpx_eq_u32_e32 0xf4240, v14
	s_cbranch_execz .LBB1_3165
; %bb.3164:                             ;   in Loop: Header=BB1_3163 Depth=2
	s_wait_loadcnt 0x0
	s_wait_storecnt 0x0
	global_load_b32 v0, v2, s[10:11] scope:SCOPE_SYS
	s_wait_loadcnt 0x0
	global_inv scope:SCOPE_SYS
	v_mov_b32_e32 v14, 0
	v_cmp_eq_u32_e64 s0, 0, v0
	s_or_not1_b32 s14, s0, exec_lo
.LBB1_3165:                             ;   in Loop: Header=BB1_3163 Depth=2
	s_wait_xcnt 0x0
	s_or_b32 exec_lo, exec_lo, s15
	s_and_saveexec_b32 s15, s14
	s_cbranch_execz .LBB1_3167
; %bb.3166:                             ;   in Loop: Header=BB1_3163 Depth=2
	s_wait_loadcnt 0x0
	v_cmp_eq_u32_e64 s0, s12, v5
	v_cmp_eq_u32_e64 s1, s12, v7
	s_and_b32 s0, s0, s1
	s_delay_alu instid0(SALU_CYCLE_1)
	s_or_not1_b32 s1, s0, exec_lo
.LBB1_3167:                             ;   in Loop: Header=BB1_3163 Depth=2
	s_or_b32 exec_lo, exec_lo, s15
	s_delay_alu instid0(SALU_CYCLE_1) | instskip(NEXT) | instid1(SALU_CYCLE_1)
	s_and_b32 s0, exec_lo, s1
	s_or_b32 s7, s0, s7
	s_delay_alu instid0(SALU_CYCLE_1)
	s_and_not1_b32 exec_lo, exec_lo, s7
	s_cbranch_execnz .LBB1_3163
; %bb.3168:                             ;   in Loop: Header=BB1_3163 Depth=2
	s_or_b32 exec_lo, exec_lo, s7
	s_wait_loadcnt 0x0
	v_dual_mov_b32 v5, v6 :: v_dual_mov_b32 v14, 0
	s_mov_b32 s7, 0
	s_delay_alu instid0(VALU_DEP_1) | instskip(SKIP_1) | instid1(SALU_CYCLE_1)
	v_cmp_eq_u64_e64 s0, s[12:13], v[4:5]
	s_or_b32 s16, s0, s16
	s_and_not1_b32 exec_lo, exec_lo, s16
	s_cbranch_execnz .LBB1_3163
; %bb.3169:                             ;   in Loop: Header=BB1_1755 Depth=1
	s_or_b32 exec_lo, exec_lo, s16
	s_add_co_i32 s14, s6, 0xca
	v_lshl_add_u64 v[4:5], s[4:5], 4, v[12:13]
	s_mul_hi_u32 s0, s14, 0x10624dd3
	s_mov_b32 s16, 0
	s_lshr_b32 s4, s0, 6
	s_mov_b32 s17, s12
	s_mulk_i32 s4, 0x3e8
	s_or_b64 s[0:1], s[16:17], s[12:13]
	s_sub_co_i32 s4, s14, s4
	v_dual_mov_b32 v0, s0 :: v_dual_mov_b32 v1, s1
	s_lshl_b32 s0, s4, 12
	s_mov_b32 s1, s5
	v_dual_mov_b32 v3, s12 :: v_dual_mov_b32 v14, 0
	v_add_nc_u64_e32 v[8:9], s[0:1], v[10:11]
	s_lshl_b32 s4, s4, 8
	s_mov_b32 s15, s5
	s_mov_b32 s7, s16
	global_store_b128 v[4:5], v[0:3], off th:TH_STORE_NT
.LBB1_3170:                             ;   Parent Loop BB1_1755 Depth=1
                                        ; =>  This Inner Loop Header: Depth=2
	s_wait_loadcnt 0x0
	global_load_b128 v[4:7], v[8:9], off th:TH_LOAD_NT
	v_add_nc_u32_e32 v14, 1, v14
	s_mov_b32 s1, -1
	s_mov_b32 s12, -1
	s_mov_b32 s13, exec_lo
	s_wait_xcnt 0x0
	v_cmpx_eq_u32_e32 0xf4240, v14
	s_cbranch_execz .LBB1_3172
; %bb.3171:                             ;   in Loop: Header=BB1_3170 Depth=2
	s_wait_loadcnt 0x0
	s_wait_storecnt 0x0
	global_load_b32 v0, v2, s[10:11] scope:SCOPE_SYS
	s_wait_loadcnt 0x0
	global_inv scope:SCOPE_SYS
	v_mov_b32_e32 v14, 0
	v_cmp_eq_u32_e64 s0, 0, v0
	s_or_not1_b32 s12, s0, exec_lo
.LBB1_3172:                             ;   in Loop: Header=BB1_3170 Depth=2
	s_wait_xcnt 0x0
	s_or_b32 exec_lo, exec_lo, s13
	s_and_saveexec_b32 s13, s12
	s_cbranch_execz .LBB1_3174
; %bb.3173:                             ;   in Loop: Header=BB1_3170 Depth=2
	s_wait_loadcnt 0x0
	v_cmp_eq_u32_e64 s0, s14, v5
	v_cmp_eq_u32_e64 s1, s14, v7
	s_and_b32 s0, s0, s1
	s_delay_alu instid0(SALU_CYCLE_1)
	s_or_not1_b32 s1, s0, exec_lo
.LBB1_3174:                             ;   in Loop: Header=BB1_3170 Depth=2
	s_or_b32 exec_lo, exec_lo, s13
	s_delay_alu instid0(SALU_CYCLE_1) | instskip(NEXT) | instid1(SALU_CYCLE_1)
	s_and_b32 s0, exec_lo, s1
	s_or_b32 s7, s0, s7
	s_delay_alu instid0(SALU_CYCLE_1)
	s_and_not1_b32 exec_lo, exec_lo, s7
	s_cbranch_execnz .LBB1_3170
; %bb.3175:                             ;   in Loop: Header=BB1_3170 Depth=2
	s_or_b32 exec_lo, exec_lo, s7
	s_wait_loadcnt 0x0
	v_dual_mov_b32 v5, v6 :: v_dual_mov_b32 v14, 0
	s_mov_b32 s7, 0
	s_delay_alu instid0(VALU_DEP_1) | instskip(SKIP_1) | instid1(SALU_CYCLE_1)
	v_cmp_eq_u64_e64 s0, s[14:15], v[4:5]
	s_or_b32 s16, s0, s16
	s_and_not1_b32 exec_lo, exec_lo, s16
	s_cbranch_execnz .LBB1_3170
; %bb.3176:                             ;   in Loop: Header=BB1_1755 Depth=1
	s_or_b32 exec_lo, exec_lo, s16
	s_add_co_i32 s12, s6, 0xcb
	v_lshl_add_u64 v[4:5], s[4:5], 4, v[12:13]
	s_mul_hi_u32 s0, s12, 0x10624dd3
	s_mov_b32 s16, 0
	s_lshr_b32 s4, s0, 6
	s_mov_b32 s17, s14
	s_mulk_i32 s4, 0x3e8
	s_or_b64 s[0:1], s[16:17], s[14:15]
	s_sub_co_i32 s4, s12, s4
	v_dual_mov_b32 v0, s0 :: v_dual_mov_b32 v1, s1
	s_lshl_b32 s0, s4, 12
	s_mov_b32 s1, s5
	v_dual_mov_b32 v3, s14 :: v_dual_mov_b32 v14, 0
	v_add_nc_u64_e32 v[8:9], s[0:1], v[10:11]
	s_lshl_b32 s4, s4, 8
	s_mov_b32 s13, s5
	s_mov_b32 s7, s16
	global_store_b128 v[4:5], v[0:3], off th:TH_STORE_NT
.LBB1_3177:                             ;   Parent Loop BB1_1755 Depth=1
                                        ; =>  This Inner Loop Header: Depth=2
	s_wait_loadcnt 0x0
	global_load_b128 v[4:7], v[8:9], off th:TH_LOAD_NT
	v_add_nc_u32_e32 v14, 1, v14
	s_mov_b32 s1, -1
	s_mov_b32 s14, -1
	s_mov_b32 s15, exec_lo
	s_wait_xcnt 0x0
	v_cmpx_eq_u32_e32 0xf4240, v14
	s_cbranch_execz .LBB1_3179
; %bb.3178:                             ;   in Loop: Header=BB1_3177 Depth=2
	s_wait_loadcnt 0x0
	s_wait_storecnt 0x0
	global_load_b32 v0, v2, s[10:11] scope:SCOPE_SYS
	s_wait_loadcnt 0x0
	global_inv scope:SCOPE_SYS
	v_mov_b32_e32 v14, 0
	v_cmp_eq_u32_e64 s0, 0, v0
	s_or_not1_b32 s14, s0, exec_lo
.LBB1_3179:                             ;   in Loop: Header=BB1_3177 Depth=2
	s_wait_xcnt 0x0
	s_or_b32 exec_lo, exec_lo, s15
	s_and_saveexec_b32 s15, s14
	s_cbranch_execz .LBB1_3181
; %bb.3180:                             ;   in Loop: Header=BB1_3177 Depth=2
	s_wait_loadcnt 0x0
	v_cmp_eq_u32_e64 s0, s12, v5
	v_cmp_eq_u32_e64 s1, s12, v7
	s_and_b32 s0, s0, s1
	s_delay_alu instid0(SALU_CYCLE_1)
	s_or_not1_b32 s1, s0, exec_lo
.LBB1_3181:                             ;   in Loop: Header=BB1_3177 Depth=2
	s_or_b32 exec_lo, exec_lo, s15
	s_delay_alu instid0(SALU_CYCLE_1) | instskip(NEXT) | instid1(SALU_CYCLE_1)
	s_and_b32 s0, exec_lo, s1
	s_or_b32 s7, s0, s7
	s_delay_alu instid0(SALU_CYCLE_1)
	s_and_not1_b32 exec_lo, exec_lo, s7
	s_cbranch_execnz .LBB1_3177
; %bb.3182:                             ;   in Loop: Header=BB1_3177 Depth=2
	s_or_b32 exec_lo, exec_lo, s7
	s_wait_loadcnt 0x0
	v_dual_mov_b32 v5, v6 :: v_dual_mov_b32 v14, 0
	s_mov_b32 s7, 0
	s_delay_alu instid0(VALU_DEP_1) | instskip(SKIP_1) | instid1(SALU_CYCLE_1)
	v_cmp_eq_u64_e64 s0, s[12:13], v[4:5]
	s_or_b32 s16, s0, s16
	s_and_not1_b32 exec_lo, exec_lo, s16
	s_cbranch_execnz .LBB1_3177
; %bb.3183:                             ;   in Loop: Header=BB1_1755 Depth=1
	s_or_b32 exec_lo, exec_lo, s16
	s_add_co_i32 s14, s6, 0xcc
	v_lshl_add_u64 v[4:5], s[4:5], 4, v[12:13]
	s_mul_hi_u32 s0, s14, 0x10624dd3
	s_mov_b32 s16, 0
	s_lshr_b32 s4, s0, 6
	s_mov_b32 s17, s12
	s_mulk_i32 s4, 0x3e8
	s_or_b64 s[0:1], s[16:17], s[12:13]
	s_sub_co_i32 s4, s14, s4
	v_dual_mov_b32 v0, s0 :: v_dual_mov_b32 v1, s1
	s_lshl_b32 s0, s4, 12
	s_mov_b32 s1, s5
	v_dual_mov_b32 v3, s12 :: v_dual_mov_b32 v14, 0
	v_add_nc_u64_e32 v[8:9], s[0:1], v[10:11]
	s_lshl_b32 s4, s4, 8
	s_mov_b32 s15, s5
	s_mov_b32 s7, s16
	global_store_b128 v[4:5], v[0:3], off th:TH_STORE_NT
.LBB1_3184:                             ;   Parent Loop BB1_1755 Depth=1
                                        ; =>  This Inner Loop Header: Depth=2
	s_wait_loadcnt 0x0
	global_load_b128 v[4:7], v[8:9], off th:TH_LOAD_NT
	v_add_nc_u32_e32 v14, 1, v14
	s_mov_b32 s1, -1
	s_mov_b32 s12, -1
	s_mov_b32 s13, exec_lo
	s_wait_xcnt 0x0
	v_cmpx_eq_u32_e32 0xf4240, v14
	s_cbranch_execz .LBB1_3186
; %bb.3185:                             ;   in Loop: Header=BB1_3184 Depth=2
	s_wait_loadcnt 0x0
	s_wait_storecnt 0x0
	global_load_b32 v0, v2, s[10:11] scope:SCOPE_SYS
	s_wait_loadcnt 0x0
	global_inv scope:SCOPE_SYS
	v_mov_b32_e32 v14, 0
	v_cmp_eq_u32_e64 s0, 0, v0
	s_or_not1_b32 s12, s0, exec_lo
.LBB1_3186:                             ;   in Loop: Header=BB1_3184 Depth=2
	s_wait_xcnt 0x0
	s_or_b32 exec_lo, exec_lo, s13
	s_and_saveexec_b32 s13, s12
	s_cbranch_execz .LBB1_3188
; %bb.3187:                             ;   in Loop: Header=BB1_3184 Depth=2
	s_wait_loadcnt 0x0
	v_cmp_eq_u32_e64 s0, s14, v5
	v_cmp_eq_u32_e64 s1, s14, v7
	s_and_b32 s0, s0, s1
	s_delay_alu instid0(SALU_CYCLE_1)
	s_or_not1_b32 s1, s0, exec_lo
.LBB1_3188:                             ;   in Loop: Header=BB1_3184 Depth=2
	s_or_b32 exec_lo, exec_lo, s13
	s_delay_alu instid0(SALU_CYCLE_1) | instskip(NEXT) | instid1(SALU_CYCLE_1)
	s_and_b32 s0, exec_lo, s1
	s_or_b32 s7, s0, s7
	s_delay_alu instid0(SALU_CYCLE_1)
	s_and_not1_b32 exec_lo, exec_lo, s7
	s_cbranch_execnz .LBB1_3184
; %bb.3189:                             ;   in Loop: Header=BB1_3184 Depth=2
	s_or_b32 exec_lo, exec_lo, s7
	s_wait_loadcnt 0x0
	v_dual_mov_b32 v5, v6 :: v_dual_mov_b32 v14, 0
	s_mov_b32 s7, 0
	s_delay_alu instid0(VALU_DEP_1) | instskip(SKIP_1) | instid1(SALU_CYCLE_1)
	v_cmp_eq_u64_e64 s0, s[14:15], v[4:5]
	s_or_b32 s16, s0, s16
	s_and_not1_b32 exec_lo, exec_lo, s16
	s_cbranch_execnz .LBB1_3184
; %bb.3190:                             ;   in Loop: Header=BB1_1755 Depth=1
	s_or_b32 exec_lo, exec_lo, s16
	s_add_co_i32 s12, s6, 0xcd
	v_lshl_add_u64 v[4:5], s[4:5], 4, v[12:13]
	s_mul_hi_u32 s0, s12, 0x10624dd3
	s_mov_b32 s16, 0
	s_lshr_b32 s4, s0, 6
	s_mov_b32 s17, s14
	s_mulk_i32 s4, 0x3e8
	s_or_b64 s[0:1], s[16:17], s[14:15]
	s_sub_co_i32 s4, s12, s4
	v_dual_mov_b32 v0, s0 :: v_dual_mov_b32 v1, s1
	s_lshl_b32 s0, s4, 12
	s_mov_b32 s1, s5
	v_dual_mov_b32 v3, s14 :: v_dual_mov_b32 v14, 0
	v_add_nc_u64_e32 v[8:9], s[0:1], v[10:11]
	s_lshl_b32 s4, s4, 8
	s_mov_b32 s13, s5
	s_mov_b32 s7, s16
	global_store_b128 v[4:5], v[0:3], off th:TH_STORE_NT
.LBB1_3191:                             ;   Parent Loop BB1_1755 Depth=1
                                        ; =>  This Inner Loop Header: Depth=2
	s_wait_loadcnt 0x0
	global_load_b128 v[4:7], v[8:9], off th:TH_LOAD_NT
	v_add_nc_u32_e32 v14, 1, v14
	s_mov_b32 s1, -1
	s_mov_b32 s14, -1
	s_mov_b32 s15, exec_lo
	s_wait_xcnt 0x0
	v_cmpx_eq_u32_e32 0xf4240, v14
	s_cbranch_execz .LBB1_3193
; %bb.3192:                             ;   in Loop: Header=BB1_3191 Depth=2
	s_wait_loadcnt 0x0
	s_wait_storecnt 0x0
	global_load_b32 v0, v2, s[10:11] scope:SCOPE_SYS
	s_wait_loadcnt 0x0
	global_inv scope:SCOPE_SYS
	v_mov_b32_e32 v14, 0
	v_cmp_eq_u32_e64 s0, 0, v0
	s_or_not1_b32 s14, s0, exec_lo
.LBB1_3193:                             ;   in Loop: Header=BB1_3191 Depth=2
	s_wait_xcnt 0x0
	s_or_b32 exec_lo, exec_lo, s15
	s_and_saveexec_b32 s15, s14
	s_cbranch_execz .LBB1_3195
; %bb.3194:                             ;   in Loop: Header=BB1_3191 Depth=2
	s_wait_loadcnt 0x0
	v_cmp_eq_u32_e64 s0, s12, v5
	v_cmp_eq_u32_e64 s1, s12, v7
	s_and_b32 s0, s0, s1
	s_delay_alu instid0(SALU_CYCLE_1)
	s_or_not1_b32 s1, s0, exec_lo
.LBB1_3195:                             ;   in Loop: Header=BB1_3191 Depth=2
	s_or_b32 exec_lo, exec_lo, s15
	s_delay_alu instid0(SALU_CYCLE_1) | instskip(NEXT) | instid1(SALU_CYCLE_1)
	s_and_b32 s0, exec_lo, s1
	s_or_b32 s7, s0, s7
	s_delay_alu instid0(SALU_CYCLE_1)
	s_and_not1_b32 exec_lo, exec_lo, s7
	s_cbranch_execnz .LBB1_3191
; %bb.3196:                             ;   in Loop: Header=BB1_3191 Depth=2
	s_or_b32 exec_lo, exec_lo, s7
	s_wait_loadcnt 0x0
	v_dual_mov_b32 v5, v6 :: v_dual_mov_b32 v14, 0
	s_mov_b32 s7, 0
	s_delay_alu instid0(VALU_DEP_1) | instskip(SKIP_1) | instid1(SALU_CYCLE_1)
	v_cmp_eq_u64_e64 s0, s[12:13], v[4:5]
	s_or_b32 s16, s0, s16
	s_and_not1_b32 exec_lo, exec_lo, s16
	s_cbranch_execnz .LBB1_3191
; %bb.3197:                             ;   in Loop: Header=BB1_1755 Depth=1
	s_or_b32 exec_lo, exec_lo, s16
	s_add_co_i32 s14, s6, 0xce
	v_lshl_add_u64 v[4:5], s[4:5], 4, v[12:13]
	s_mul_hi_u32 s0, s14, 0x10624dd3
	s_mov_b32 s16, 0
	s_lshr_b32 s4, s0, 6
	s_mov_b32 s17, s12
	s_mulk_i32 s4, 0x3e8
	s_or_b64 s[0:1], s[16:17], s[12:13]
	s_sub_co_i32 s4, s14, s4
	v_dual_mov_b32 v0, s0 :: v_dual_mov_b32 v1, s1
	s_lshl_b32 s0, s4, 12
	s_mov_b32 s1, s5
	v_dual_mov_b32 v3, s12 :: v_dual_mov_b32 v14, 0
	v_add_nc_u64_e32 v[8:9], s[0:1], v[10:11]
	s_lshl_b32 s4, s4, 8
	s_mov_b32 s15, s5
	s_mov_b32 s7, s16
	global_store_b128 v[4:5], v[0:3], off th:TH_STORE_NT
.LBB1_3198:                             ;   Parent Loop BB1_1755 Depth=1
                                        ; =>  This Inner Loop Header: Depth=2
	s_wait_loadcnt 0x0
	global_load_b128 v[4:7], v[8:9], off th:TH_LOAD_NT
	v_add_nc_u32_e32 v14, 1, v14
	s_mov_b32 s1, -1
	s_mov_b32 s12, -1
	s_mov_b32 s13, exec_lo
	s_wait_xcnt 0x0
	v_cmpx_eq_u32_e32 0xf4240, v14
	s_cbranch_execz .LBB1_3200
; %bb.3199:                             ;   in Loop: Header=BB1_3198 Depth=2
	s_wait_loadcnt 0x0
	s_wait_storecnt 0x0
	global_load_b32 v0, v2, s[10:11] scope:SCOPE_SYS
	s_wait_loadcnt 0x0
	global_inv scope:SCOPE_SYS
	v_mov_b32_e32 v14, 0
	v_cmp_eq_u32_e64 s0, 0, v0
	s_or_not1_b32 s12, s0, exec_lo
.LBB1_3200:                             ;   in Loop: Header=BB1_3198 Depth=2
	s_wait_xcnt 0x0
	s_or_b32 exec_lo, exec_lo, s13
	s_and_saveexec_b32 s13, s12
	s_cbranch_execz .LBB1_3202
; %bb.3201:                             ;   in Loop: Header=BB1_3198 Depth=2
	s_wait_loadcnt 0x0
	v_cmp_eq_u32_e64 s0, s14, v5
	v_cmp_eq_u32_e64 s1, s14, v7
	s_and_b32 s0, s0, s1
	s_delay_alu instid0(SALU_CYCLE_1)
	s_or_not1_b32 s1, s0, exec_lo
.LBB1_3202:                             ;   in Loop: Header=BB1_3198 Depth=2
	s_or_b32 exec_lo, exec_lo, s13
	s_delay_alu instid0(SALU_CYCLE_1) | instskip(NEXT) | instid1(SALU_CYCLE_1)
	s_and_b32 s0, exec_lo, s1
	s_or_b32 s7, s0, s7
	s_delay_alu instid0(SALU_CYCLE_1)
	s_and_not1_b32 exec_lo, exec_lo, s7
	s_cbranch_execnz .LBB1_3198
; %bb.3203:                             ;   in Loop: Header=BB1_3198 Depth=2
	s_or_b32 exec_lo, exec_lo, s7
	s_wait_loadcnt 0x0
	v_dual_mov_b32 v5, v6 :: v_dual_mov_b32 v14, 0
	s_mov_b32 s7, 0
	s_delay_alu instid0(VALU_DEP_1) | instskip(SKIP_1) | instid1(SALU_CYCLE_1)
	v_cmp_eq_u64_e64 s0, s[14:15], v[4:5]
	s_or_b32 s16, s0, s16
	s_and_not1_b32 exec_lo, exec_lo, s16
	s_cbranch_execnz .LBB1_3198
; %bb.3204:                             ;   in Loop: Header=BB1_1755 Depth=1
	s_or_b32 exec_lo, exec_lo, s16
	s_add_co_i32 s12, s6, 0xcf
	v_lshl_add_u64 v[4:5], s[4:5], 4, v[12:13]
	s_mul_hi_u32 s0, s12, 0x10624dd3
	s_mov_b32 s16, 0
	s_lshr_b32 s4, s0, 6
	s_mov_b32 s17, s14
	s_mulk_i32 s4, 0x3e8
	s_or_b64 s[0:1], s[16:17], s[14:15]
	s_sub_co_i32 s4, s12, s4
	v_dual_mov_b32 v0, s0 :: v_dual_mov_b32 v1, s1
	s_lshl_b32 s0, s4, 12
	s_mov_b32 s1, s5
	v_dual_mov_b32 v3, s14 :: v_dual_mov_b32 v14, 0
	v_add_nc_u64_e32 v[8:9], s[0:1], v[10:11]
	s_lshl_b32 s4, s4, 8
	s_mov_b32 s13, s5
	s_mov_b32 s7, s16
	global_store_b128 v[4:5], v[0:3], off th:TH_STORE_NT
.LBB1_3205:                             ;   Parent Loop BB1_1755 Depth=1
                                        ; =>  This Inner Loop Header: Depth=2
	s_wait_loadcnt 0x0
	global_load_b128 v[4:7], v[8:9], off th:TH_LOAD_NT
	v_add_nc_u32_e32 v14, 1, v14
	s_mov_b32 s1, -1
	s_mov_b32 s14, -1
	s_mov_b32 s15, exec_lo
	s_wait_xcnt 0x0
	v_cmpx_eq_u32_e32 0xf4240, v14
	s_cbranch_execz .LBB1_3207
; %bb.3206:                             ;   in Loop: Header=BB1_3205 Depth=2
	s_wait_loadcnt 0x0
	s_wait_storecnt 0x0
	global_load_b32 v0, v2, s[10:11] scope:SCOPE_SYS
	s_wait_loadcnt 0x0
	global_inv scope:SCOPE_SYS
	v_mov_b32_e32 v14, 0
	v_cmp_eq_u32_e64 s0, 0, v0
	s_or_not1_b32 s14, s0, exec_lo
.LBB1_3207:                             ;   in Loop: Header=BB1_3205 Depth=2
	s_wait_xcnt 0x0
	s_or_b32 exec_lo, exec_lo, s15
	s_and_saveexec_b32 s15, s14
	s_cbranch_execz .LBB1_3209
; %bb.3208:                             ;   in Loop: Header=BB1_3205 Depth=2
	s_wait_loadcnt 0x0
	v_cmp_eq_u32_e64 s0, s12, v5
	v_cmp_eq_u32_e64 s1, s12, v7
	s_and_b32 s0, s0, s1
	s_delay_alu instid0(SALU_CYCLE_1)
	s_or_not1_b32 s1, s0, exec_lo
.LBB1_3209:                             ;   in Loop: Header=BB1_3205 Depth=2
	s_or_b32 exec_lo, exec_lo, s15
	s_delay_alu instid0(SALU_CYCLE_1) | instskip(NEXT) | instid1(SALU_CYCLE_1)
	s_and_b32 s0, exec_lo, s1
	s_or_b32 s7, s0, s7
	s_delay_alu instid0(SALU_CYCLE_1)
	s_and_not1_b32 exec_lo, exec_lo, s7
	s_cbranch_execnz .LBB1_3205
; %bb.3210:                             ;   in Loop: Header=BB1_3205 Depth=2
	s_or_b32 exec_lo, exec_lo, s7
	s_wait_loadcnt 0x0
	v_dual_mov_b32 v5, v6 :: v_dual_mov_b32 v14, 0
	s_mov_b32 s7, 0
	s_delay_alu instid0(VALU_DEP_1) | instskip(SKIP_1) | instid1(SALU_CYCLE_1)
	v_cmp_eq_u64_e64 s0, s[12:13], v[4:5]
	s_or_b32 s16, s0, s16
	s_and_not1_b32 exec_lo, exec_lo, s16
	s_cbranch_execnz .LBB1_3205
; %bb.3211:                             ;   in Loop: Header=BB1_1755 Depth=1
	s_or_b32 exec_lo, exec_lo, s16
	s_add_co_i32 s14, s6, 0xd0
	v_lshl_add_u64 v[4:5], s[4:5], 4, v[12:13]
	s_mul_hi_u32 s0, s14, 0x10624dd3
	s_mov_b32 s16, 0
	s_lshr_b32 s4, s0, 6
	s_mov_b32 s17, s12
	s_mulk_i32 s4, 0x3e8
	s_or_b64 s[0:1], s[16:17], s[12:13]
	s_sub_co_i32 s4, s14, s4
	v_dual_mov_b32 v0, s0 :: v_dual_mov_b32 v1, s1
	s_lshl_b32 s0, s4, 12
	s_mov_b32 s1, s5
	v_dual_mov_b32 v3, s12 :: v_dual_mov_b32 v14, 0
	v_add_nc_u64_e32 v[8:9], s[0:1], v[10:11]
	s_lshl_b32 s4, s4, 8
	s_mov_b32 s15, s5
	s_mov_b32 s7, s16
	global_store_b128 v[4:5], v[0:3], off th:TH_STORE_NT
.LBB1_3212:                             ;   Parent Loop BB1_1755 Depth=1
                                        ; =>  This Inner Loop Header: Depth=2
	s_wait_loadcnt 0x0
	global_load_b128 v[4:7], v[8:9], off th:TH_LOAD_NT
	v_add_nc_u32_e32 v14, 1, v14
	s_mov_b32 s1, -1
	s_mov_b32 s12, -1
	s_mov_b32 s13, exec_lo
	s_wait_xcnt 0x0
	v_cmpx_eq_u32_e32 0xf4240, v14
	s_cbranch_execz .LBB1_3214
; %bb.3213:                             ;   in Loop: Header=BB1_3212 Depth=2
	s_wait_loadcnt 0x0
	s_wait_storecnt 0x0
	global_load_b32 v0, v2, s[10:11] scope:SCOPE_SYS
	s_wait_loadcnt 0x0
	global_inv scope:SCOPE_SYS
	v_mov_b32_e32 v14, 0
	v_cmp_eq_u32_e64 s0, 0, v0
	s_or_not1_b32 s12, s0, exec_lo
.LBB1_3214:                             ;   in Loop: Header=BB1_3212 Depth=2
	s_wait_xcnt 0x0
	s_or_b32 exec_lo, exec_lo, s13
	s_and_saveexec_b32 s13, s12
	s_cbranch_execz .LBB1_3216
; %bb.3215:                             ;   in Loop: Header=BB1_3212 Depth=2
	s_wait_loadcnt 0x0
	v_cmp_eq_u32_e64 s0, s14, v5
	v_cmp_eq_u32_e64 s1, s14, v7
	s_and_b32 s0, s0, s1
	s_delay_alu instid0(SALU_CYCLE_1)
	s_or_not1_b32 s1, s0, exec_lo
.LBB1_3216:                             ;   in Loop: Header=BB1_3212 Depth=2
	s_or_b32 exec_lo, exec_lo, s13
	s_delay_alu instid0(SALU_CYCLE_1) | instskip(NEXT) | instid1(SALU_CYCLE_1)
	s_and_b32 s0, exec_lo, s1
	s_or_b32 s7, s0, s7
	s_delay_alu instid0(SALU_CYCLE_1)
	s_and_not1_b32 exec_lo, exec_lo, s7
	s_cbranch_execnz .LBB1_3212
; %bb.3217:                             ;   in Loop: Header=BB1_3212 Depth=2
	s_or_b32 exec_lo, exec_lo, s7
	s_wait_loadcnt 0x0
	v_dual_mov_b32 v5, v6 :: v_dual_mov_b32 v14, 0
	s_mov_b32 s7, 0
	s_delay_alu instid0(VALU_DEP_1) | instskip(SKIP_1) | instid1(SALU_CYCLE_1)
	v_cmp_eq_u64_e64 s0, s[14:15], v[4:5]
	s_or_b32 s16, s0, s16
	s_and_not1_b32 exec_lo, exec_lo, s16
	s_cbranch_execnz .LBB1_3212
; %bb.3218:                             ;   in Loop: Header=BB1_1755 Depth=1
	s_or_b32 exec_lo, exec_lo, s16
	s_add_co_i32 s12, s6, 0xd1
	v_lshl_add_u64 v[4:5], s[4:5], 4, v[12:13]
	s_mul_hi_u32 s0, s12, 0x10624dd3
	s_mov_b32 s16, 0
	s_lshr_b32 s4, s0, 6
	s_mov_b32 s17, s14
	s_mulk_i32 s4, 0x3e8
	s_or_b64 s[0:1], s[16:17], s[14:15]
	s_sub_co_i32 s4, s12, s4
	v_dual_mov_b32 v0, s0 :: v_dual_mov_b32 v1, s1
	s_lshl_b32 s0, s4, 12
	s_mov_b32 s1, s5
	v_dual_mov_b32 v3, s14 :: v_dual_mov_b32 v14, 0
	v_add_nc_u64_e32 v[8:9], s[0:1], v[10:11]
	s_lshl_b32 s4, s4, 8
	s_mov_b32 s13, s5
	s_mov_b32 s7, s16
	global_store_b128 v[4:5], v[0:3], off th:TH_STORE_NT
.LBB1_3219:                             ;   Parent Loop BB1_1755 Depth=1
                                        ; =>  This Inner Loop Header: Depth=2
	s_wait_loadcnt 0x0
	global_load_b128 v[4:7], v[8:9], off th:TH_LOAD_NT
	v_add_nc_u32_e32 v14, 1, v14
	s_mov_b32 s1, -1
	s_mov_b32 s14, -1
	s_mov_b32 s15, exec_lo
	s_wait_xcnt 0x0
	v_cmpx_eq_u32_e32 0xf4240, v14
	s_cbranch_execz .LBB1_3221
; %bb.3220:                             ;   in Loop: Header=BB1_3219 Depth=2
	s_wait_loadcnt 0x0
	s_wait_storecnt 0x0
	global_load_b32 v0, v2, s[10:11] scope:SCOPE_SYS
	s_wait_loadcnt 0x0
	global_inv scope:SCOPE_SYS
	v_mov_b32_e32 v14, 0
	v_cmp_eq_u32_e64 s0, 0, v0
	s_or_not1_b32 s14, s0, exec_lo
.LBB1_3221:                             ;   in Loop: Header=BB1_3219 Depth=2
	s_wait_xcnt 0x0
	s_or_b32 exec_lo, exec_lo, s15
	s_and_saveexec_b32 s15, s14
	s_cbranch_execz .LBB1_3223
; %bb.3222:                             ;   in Loop: Header=BB1_3219 Depth=2
	s_wait_loadcnt 0x0
	v_cmp_eq_u32_e64 s0, s12, v5
	v_cmp_eq_u32_e64 s1, s12, v7
	s_and_b32 s0, s0, s1
	s_delay_alu instid0(SALU_CYCLE_1)
	s_or_not1_b32 s1, s0, exec_lo
.LBB1_3223:                             ;   in Loop: Header=BB1_3219 Depth=2
	s_or_b32 exec_lo, exec_lo, s15
	s_delay_alu instid0(SALU_CYCLE_1) | instskip(NEXT) | instid1(SALU_CYCLE_1)
	s_and_b32 s0, exec_lo, s1
	s_or_b32 s7, s0, s7
	s_delay_alu instid0(SALU_CYCLE_1)
	s_and_not1_b32 exec_lo, exec_lo, s7
	s_cbranch_execnz .LBB1_3219
; %bb.3224:                             ;   in Loop: Header=BB1_3219 Depth=2
	s_or_b32 exec_lo, exec_lo, s7
	s_wait_loadcnt 0x0
	v_dual_mov_b32 v5, v6 :: v_dual_mov_b32 v14, 0
	s_mov_b32 s7, 0
	s_delay_alu instid0(VALU_DEP_1) | instskip(SKIP_1) | instid1(SALU_CYCLE_1)
	v_cmp_eq_u64_e64 s0, s[12:13], v[4:5]
	s_or_b32 s16, s0, s16
	s_and_not1_b32 exec_lo, exec_lo, s16
	s_cbranch_execnz .LBB1_3219
; %bb.3225:                             ;   in Loop: Header=BB1_1755 Depth=1
	s_or_b32 exec_lo, exec_lo, s16
	s_add_co_i32 s14, s6, 0xd2
	v_lshl_add_u64 v[4:5], s[4:5], 4, v[12:13]
	s_mul_hi_u32 s0, s14, 0x10624dd3
	s_mov_b32 s16, 0
	s_lshr_b32 s4, s0, 6
	s_mov_b32 s17, s12
	s_mulk_i32 s4, 0x3e8
	s_or_b64 s[0:1], s[16:17], s[12:13]
	s_sub_co_i32 s4, s14, s4
	v_dual_mov_b32 v0, s0 :: v_dual_mov_b32 v1, s1
	s_lshl_b32 s0, s4, 12
	s_mov_b32 s1, s5
	v_dual_mov_b32 v3, s12 :: v_dual_mov_b32 v14, 0
	v_add_nc_u64_e32 v[8:9], s[0:1], v[10:11]
	s_lshl_b32 s4, s4, 8
	s_mov_b32 s15, s5
	s_mov_b32 s7, s16
	global_store_b128 v[4:5], v[0:3], off th:TH_STORE_NT
.LBB1_3226:                             ;   Parent Loop BB1_1755 Depth=1
                                        ; =>  This Inner Loop Header: Depth=2
	s_wait_loadcnt 0x0
	global_load_b128 v[4:7], v[8:9], off th:TH_LOAD_NT
	v_add_nc_u32_e32 v14, 1, v14
	s_mov_b32 s1, -1
	s_mov_b32 s12, -1
	s_mov_b32 s13, exec_lo
	s_wait_xcnt 0x0
	v_cmpx_eq_u32_e32 0xf4240, v14
	s_cbranch_execz .LBB1_3228
; %bb.3227:                             ;   in Loop: Header=BB1_3226 Depth=2
	s_wait_loadcnt 0x0
	s_wait_storecnt 0x0
	global_load_b32 v0, v2, s[10:11] scope:SCOPE_SYS
	s_wait_loadcnt 0x0
	global_inv scope:SCOPE_SYS
	v_mov_b32_e32 v14, 0
	v_cmp_eq_u32_e64 s0, 0, v0
	s_or_not1_b32 s12, s0, exec_lo
.LBB1_3228:                             ;   in Loop: Header=BB1_3226 Depth=2
	s_wait_xcnt 0x0
	s_or_b32 exec_lo, exec_lo, s13
	s_and_saveexec_b32 s13, s12
	s_cbranch_execz .LBB1_3230
; %bb.3229:                             ;   in Loop: Header=BB1_3226 Depth=2
	s_wait_loadcnt 0x0
	v_cmp_eq_u32_e64 s0, s14, v5
	v_cmp_eq_u32_e64 s1, s14, v7
	s_and_b32 s0, s0, s1
	s_delay_alu instid0(SALU_CYCLE_1)
	s_or_not1_b32 s1, s0, exec_lo
.LBB1_3230:                             ;   in Loop: Header=BB1_3226 Depth=2
	s_or_b32 exec_lo, exec_lo, s13
	s_delay_alu instid0(SALU_CYCLE_1) | instskip(NEXT) | instid1(SALU_CYCLE_1)
	s_and_b32 s0, exec_lo, s1
	s_or_b32 s7, s0, s7
	s_delay_alu instid0(SALU_CYCLE_1)
	s_and_not1_b32 exec_lo, exec_lo, s7
	s_cbranch_execnz .LBB1_3226
; %bb.3231:                             ;   in Loop: Header=BB1_3226 Depth=2
	s_or_b32 exec_lo, exec_lo, s7
	s_wait_loadcnt 0x0
	v_dual_mov_b32 v5, v6 :: v_dual_mov_b32 v14, 0
	s_mov_b32 s7, 0
	s_delay_alu instid0(VALU_DEP_1) | instskip(SKIP_1) | instid1(SALU_CYCLE_1)
	v_cmp_eq_u64_e64 s0, s[14:15], v[4:5]
	s_or_b32 s16, s0, s16
	s_and_not1_b32 exec_lo, exec_lo, s16
	s_cbranch_execnz .LBB1_3226
; %bb.3232:                             ;   in Loop: Header=BB1_1755 Depth=1
	s_or_b32 exec_lo, exec_lo, s16
	s_add_co_i32 s12, s6, 0xd3
	v_lshl_add_u64 v[4:5], s[4:5], 4, v[12:13]
	s_mul_hi_u32 s0, s12, 0x10624dd3
	s_mov_b32 s16, 0
	s_lshr_b32 s4, s0, 6
	s_mov_b32 s17, s14
	s_mulk_i32 s4, 0x3e8
	s_or_b64 s[0:1], s[16:17], s[14:15]
	s_sub_co_i32 s4, s12, s4
	v_dual_mov_b32 v0, s0 :: v_dual_mov_b32 v1, s1
	s_lshl_b32 s0, s4, 12
	s_mov_b32 s1, s5
	v_dual_mov_b32 v3, s14 :: v_dual_mov_b32 v14, 0
	v_add_nc_u64_e32 v[8:9], s[0:1], v[10:11]
	s_lshl_b32 s4, s4, 8
	s_mov_b32 s13, s5
	s_mov_b32 s7, s16
	global_store_b128 v[4:5], v[0:3], off th:TH_STORE_NT
.LBB1_3233:                             ;   Parent Loop BB1_1755 Depth=1
                                        ; =>  This Inner Loop Header: Depth=2
	s_wait_loadcnt 0x0
	global_load_b128 v[4:7], v[8:9], off th:TH_LOAD_NT
	v_add_nc_u32_e32 v14, 1, v14
	s_mov_b32 s1, -1
	s_mov_b32 s14, -1
	s_mov_b32 s15, exec_lo
	s_wait_xcnt 0x0
	v_cmpx_eq_u32_e32 0xf4240, v14
	s_cbranch_execz .LBB1_3235
; %bb.3234:                             ;   in Loop: Header=BB1_3233 Depth=2
	s_wait_loadcnt 0x0
	s_wait_storecnt 0x0
	global_load_b32 v0, v2, s[10:11] scope:SCOPE_SYS
	s_wait_loadcnt 0x0
	global_inv scope:SCOPE_SYS
	v_mov_b32_e32 v14, 0
	v_cmp_eq_u32_e64 s0, 0, v0
	s_or_not1_b32 s14, s0, exec_lo
.LBB1_3235:                             ;   in Loop: Header=BB1_3233 Depth=2
	s_wait_xcnt 0x0
	s_or_b32 exec_lo, exec_lo, s15
	s_and_saveexec_b32 s15, s14
	s_cbranch_execz .LBB1_3237
; %bb.3236:                             ;   in Loop: Header=BB1_3233 Depth=2
	s_wait_loadcnt 0x0
	v_cmp_eq_u32_e64 s0, s12, v5
	v_cmp_eq_u32_e64 s1, s12, v7
	s_and_b32 s0, s0, s1
	s_delay_alu instid0(SALU_CYCLE_1)
	s_or_not1_b32 s1, s0, exec_lo
.LBB1_3237:                             ;   in Loop: Header=BB1_3233 Depth=2
	s_or_b32 exec_lo, exec_lo, s15
	s_delay_alu instid0(SALU_CYCLE_1) | instskip(NEXT) | instid1(SALU_CYCLE_1)
	s_and_b32 s0, exec_lo, s1
	s_or_b32 s7, s0, s7
	s_delay_alu instid0(SALU_CYCLE_1)
	s_and_not1_b32 exec_lo, exec_lo, s7
	s_cbranch_execnz .LBB1_3233
; %bb.3238:                             ;   in Loop: Header=BB1_3233 Depth=2
	s_or_b32 exec_lo, exec_lo, s7
	s_wait_loadcnt 0x0
	v_dual_mov_b32 v5, v6 :: v_dual_mov_b32 v14, 0
	s_mov_b32 s7, 0
	s_delay_alu instid0(VALU_DEP_1) | instskip(SKIP_1) | instid1(SALU_CYCLE_1)
	v_cmp_eq_u64_e64 s0, s[12:13], v[4:5]
	s_or_b32 s16, s0, s16
	s_and_not1_b32 exec_lo, exec_lo, s16
	s_cbranch_execnz .LBB1_3233
; %bb.3239:                             ;   in Loop: Header=BB1_1755 Depth=1
	s_or_b32 exec_lo, exec_lo, s16
	s_add_co_i32 s14, s6, 0xd4
	v_lshl_add_u64 v[4:5], s[4:5], 4, v[12:13]
	s_mul_hi_u32 s0, s14, 0x10624dd3
	s_mov_b32 s16, 0
	s_lshr_b32 s4, s0, 6
	s_mov_b32 s17, s12
	s_mulk_i32 s4, 0x3e8
	s_or_b64 s[0:1], s[16:17], s[12:13]
	s_sub_co_i32 s4, s14, s4
	v_dual_mov_b32 v0, s0 :: v_dual_mov_b32 v1, s1
	s_lshl_b32 s0, s4, 12
	s_mov_b32 s1, s5
	v_dual_mov_b32 v3, s12 :: v_dual_mov_b32 v14, 0
	v_add_nc_u64_e32 v[8:9], s[0:1], v[10:11]
	s_lshl_b32 s4, s4, 8
	s_mov_b32 s15, s5
	s_mov_b32 s7, s16
	global_store_b128 v[4:5], v[0:3], off th:TH_STORE_NT
.LBB1_3240:                             ;   Parent Loop BB1_1755 Depth=1
                                        ; =>  This Inner Loop Header: Depth=2
	s_wait_loadcnt 0x0
	global_load_b128 v[4:7], v[8:9], off th:TH_LOAD_NT
	v_add_nc_u32_e32 v14, 1, v14
	s_mov_b32 s1, -1
	s_mov_b32 s12, -1
	s_mov_b32 s13, exec_lo
	s_wait_xcnt 0x0
	v_cmpx_eq_u32_e32 0xf4240, v14
	s_cbranch_execz .LBB1_3242
; %bb.3241:                             ;   in Loop: Header=BB1_3240 Depth=2
	s_wait_loadcnt 0x0
	s_wait_storecnt 0x0
	global_load_b32 v0, v2, s[10:11] scope:SCOPE_SYS
	s_wait_loadcnt 0x0
	global_inv scope:SCOPE_SYS
	v_mov_b32_e32 v14, 0
	v_cmp_eq_u32_e64 s0, 0, v0
	s_or_not1_b32 s12, s0, exec_lo
.LBB1_3242:                             ;   in Loop: Header=BB1_3240 Depth=2
	s_wait_xcnt 0x0
	s_or_b32 exec_lo, exec_lo, s13
	s_and_saveexec_b32 s13, s12
	s_cbranch_execz .LBB1_3244
; %bb.3243:                             ;   in Loop: Header=BB1_3240 Depth=2
	s_wait_loadcnt 0x0
	v_cmp_eq_u32_e64 s0, s14, v5
	v_cmp_eq_u32_e64 s1, s14, v7
	s_and_b32 s0, s0, s1
	s_delay_alu instid0(SALU_CYCLE_1)
	s_or_not1_b32 s1, s0, exec_lo
.LBB1_3244:                             ;   in Loop: Header=BB1_3240 Depth=2
	s_or_b32 exec_lo, exec_lo, s13
	s_delay_alu instid0(SALU_CYCLE_1) | instskip(NEXT) | instid1(SALU_CYCLE_1)
	s_and_b32 s0, exec_lo, s1
	s_or_b32 s7, s0, s7
	s_delay_alu instid0(SALU_CYCLE_1)
	s_and_not1_b32 exec_lo, exec_lo, s7
	s_cbranch_execnz .LBB1_3240
; %bb.3245:                             ;   in Loop: Header=BB1_3240 Depth=2
	s_or_b32 exec_lo, exec_lo, s7
	s_wait_loadcnt 0x0
	v_dual_mov_b32 v5, v6 :: v_dual_mov_b32 v14, 0
	s_mov_b32 s7, 0
	s_delay_alu instid0(VALU_DEP_1) | instskip(SKIP_1) | instid1(SALU_CYCLE_1)
	v_cmp_eq_u64_e64 s0, s[14:15], v[4:5]
	s_or_b32 s16, s0, s16
	s_and_not1_b32 exec_lo, exec_lo, s16
	s_cbranch_execnz .LBB1_3240
; %bb.3246:                             ;   in Loop: Header=BB1_1755 Depth=1
	s_or_b32 exec_lo, exec_lo, s16
	s_add_co_i32 s12, s6, 0xd5
	v_lshl_add_u64 v[4:5], s[4:5], 4, v[12:13]
	s_mul_hi_u32 s0, s12, 0x10624dd3
	s_mov_b32 s16, 0
	s_lshr_b32 s4, s0, 6
	s_mov_b32 s17, s14
	s_mulk_i32 s4, 0x3e8
	s_or_b64 s[0:1], s[16:17], s[14:15]
	s_sub_co_i32 s4, s12, s4
	v_dual_mov_b32 v0, s0 :: v_dual_mov_b32 v1, s1
	s_lshl_b32 s0, s4, 12
	s_mov_b32 s1, s5
	v_dual_mov_b32 v3, s14 :: v_dual_mov_b32 v14, 0
	v_add_nc_u64_e32 v[8:9], s[0:1], v[10:11]
	s_lshl_b32 s4, s4, 8
	s_mov_b32 s13, s5
	s_mov_b32 s7, s16
	global_store_b128 v[4:5], v[0:3], off th:TH_STORE_NT
.LBB1_3247:                             ;   Parent Loop BB1_1755 Depth=1
                                        ; =>  This Inner Loop Header: Depth=2
	s_wait_loadcnt 0x0
	global_load_b128 v[4:7], v[8:9], off th:TH_LOAD_NT
	v_add_nc_u32_e32 v14, 1, v14
	s_mov_b32 s1, -1
	s_mov_b32 s14, -1
	s_mov_b32 s15, exec_lo
	s_wait_xcnt 0x0
	v_cmpx_eq_u32_e32 0xf4240, v14
	s_cbranch_execz .LBB1_3249
; %bb.3248:                             ;   in Loop: Header=BB1_3247 Depth=2
	s_wait_loadcnt 0x0
	s_wait_storecnt 0x0
	global_load_b32 v0, v2, s[10:11] scope:SCOPE_SYS
	s_wait_loadcnt 0x0
	global_inv scope:SCOPE_SYS
	v_mov_b32_e32 v14, 0
	v_cmp_eq_u32_e64 s0, 0, v0
	s_or_not1_b32 s14, s0, exec_lo
.LBB1_3249:                             ;   in Loop: Header=BB1_3247 Depth=2
	s_wait_xcnt 0x0
	s_or_b32 exec_lo, exec_lo, s15
	s_and_saveexec_b32 s15, s14
	s_cbranch_execz .LBB1_3251
; %bb.3250:                             ;   in Loop: Header=BB1_3247 Depth=2
	s_wait_loadcnt 0x0
	v_cmp_eq_u32_e64 s0, s12, v5
	v_cmp_eq_u32_e64 s1, s12, v7
	s_and_b32 s0, s0, s1
	s_delay_alu instid0(SALU_CYCLE_1)
	s_or_not1_b32 s1, s0, exec_lo
.LBB1_3251:                             ;   in Loop: Header=BB1_3247 Depth=2
	s_or_b32 exec_lo, exec_lo, s15
	s_delay_alu instid0(SALU_CYCLE_1) | instskip(NEXT) | instid1(SALU_CYCLE_1)
	s_and_b32 s0, exec_lo, s1
	s_or_b32 s7, s0, s7
	s_delay_alu instid0(SALU_CYCLE_1)
	s_and_not1_b32 exec_lo, exec_lo, s7
	s_cbranch_execnz .LBB1_3247
; %bb.3252:                             ;   in Loop: Header=BB1_3247 Depth=2
	s_or_b32 exec_lo, exec_lo, s7
	s_wait_loadcnt 0x0
	v_dual_mov_b32 v5, v6 :: v_dual_mov_b32 v14, 0
	s_mov_b32 s7, 0
	s_delay_alu instid0(VALU_DEP_1) | instskip(SKIP_1) | instid1(SALU_CYCLE_1)
	v_cmp_eq_u64_e64 s0, s[12:13], v[4:5]
	s_or_b32 s16, s0, s16
	s_and_not1_b32 exec_lo, exec_lo, s16
	s_cbranch_execnz .LBB1_3247
; %bb.3253:                             ;   in Loop: Header=BB1_1755 Depth=1
	s_or_b32 exec_lo, exec_lo, s16
	s_add_co_i32 s14, s6, 0xd6
	v_lshl_add_u64 v[4:5], s[4:5], 4, v[12:13]
	s_mul_hi_u32 s0, s14, 0x10624dd3
	s_mov_b32 s16, 0
	s_lshr_b32 s4, s0, 6
	s_mov_b32 s17, s12
	s_mulk_i32 s4, 0x3e8
	s_or_b64 s[0:1], s[16:17], s[12:13]
	s_sub_co_i32 s4, s14, s4
	v_dual_mov_b32 v0, s0 :: v_dual_mov_b32 v1, s1
	s_lshl_b32 s0, s4, 12
	s_mov_b32 s1, s5
	v_dual_mov_b32 v3, s12 :: v_dual_mov_b32 v14, 0
	v_add_nc_u64_e32 v[8:9], s[0:1], v[10:11]
	s_lshl_b32 s4, s4, 8
	s_mov_b32 s15, s5
	s_mov_b32 s7, s16
	global_store_b128 v[4:5], v[0:3], off th:TH_STORE_NT
.LBB1_3254:                             ;   Parent Loop BB1_1755 Depth=1
                                        ; =>  This Inner Loop Header: Depth=2
	s_wait_loadcnt 0x0
	global_load_b128 v[4:7], v[8:9], off th:TH_LOAD_NT
	v_add_nc_u32_e32 v14, 1, v14
	s_mov_b32 s1, -1
	s_mov_b32 s12, -1
	s_mov_b32 s13, exec_lo
	s_wait_xcnt 0x0
	v_cmpx_eq_u32_e32 0xf4240, v14
	s_cbranch_execz .LBB1_3256
; %bb.3255:                             ;   in Loop: Header=BB1_3254 Depth=2
	s_wait_loadcnt 0x0
	s_wait_storecnt 0x0
	global_load_b32 v0, v2, s[10:11] scope:SCOPE_SYS
	s_wait_loadcnt 0x0
	global_inv scope:SCOPE_SYS
	v_mov_b32_e32 v14, 0
	v_cmp_eq_u32_e64 s0, 0, v0
	s_or_not1_b32 s12, s0, exec_lo
.LBB1_3256:                             ;   in Loop: Header=BB1_3254 Depth=2
	s_wait_xcnt 0x0
	s_or_b32 exec_lo, exec_lo, s13
	s_and_saveexec_b32 s13, s12
	s_cbranch_execz .LBB1_3258
; %bb.3257:                             ;   in Loop: Header=BB1_3254 Depth=2
	s_wait_loadcnt 0x0
	v_cmp_eq_u32_e64 s0, s14, v5
	v_cmp_eq_u32_e64 s1, s14, v7
	s_and_b32 s0, s0, s1
	s_delay_alu instid0(SALU_CYCLE_1)
	s_or_not1_b32 s1, s0, exec_lo
.LBB1_3258:                             ;   in Loop: Header=BB1_3254 Depth=2
	s_or_b32 exec_lo, exec_lo, s13
	s_delay_alu instid0(SALU_CYCLE_1) | instskip(NEXT) | instid1(SALU_CYCLE_1)
	s_and_b32 s0, exec_lo, s1
	s_or_b32 s7, s0, s7
	s_delay_alu instid0(SALU_CYCLE_1)
	s_and_not1_b32 exec_lo, exec_lo, s7
	s_cbranch_execnz .LBB1_3254
; %bb.3259:                             ;   in Loop: Header=BB1_3254 Depth=2
	s_or_b32 exec_lo, exec_lo, s7
	s_wait_loadcnt 0x0
	v_dual_mov_b32 v5, v6 :: v_dual_mov_b32 v14, 0
	s_mov_b32 s7, 0
	s_delay_alu instid0(VALU_DEP_1) | instskip(SKIP_1) | instid1(SALU_CYCLE_1)
	v_cmp_eq_u64_e64 s0, s[14:15], v[4:5]
	s_or_b32 s16, s0, s16
	s_and_not1_b32 exec_lo, exec_lo, s16
	s_cbranch_execnz .LBB1_3254
; %bb.3260:                             ;   in Loop: Header=BB1_1755 Depth=1
	s_or_b32 exec_lo, exec_lo, s16
	s_add_co_i32 s12, s6, 0xd7
	v_lshl_add_u64 v[4:5], s[4:5], 4, v[12:13]
	s_mul_hi_u32 s0, s12, 0x10624dd3
	s_mov_b32 s16, 0
	s_lshr_b32 s4, s0, 6
	s_mov_b32 s17, s14
	s_mulk_i32 s4, 0x3e8
	s_or_b64 s[0:1], s[16:17], s[14:15]
	s_sub_co_i32 s4, s12, s4
	v_dual_mov_b32 v0, s0 :: v_dual_mov_b32 v1, s1
	s_lshl_b32 s0, s4, 12
	s_mov_b32 s1, s5
	v_dual_mov_b32 v3, s14 :: v_dual_mov_b32 v14, 0
	v_add_nc_u64_e32 v[8:9], s[0:1], v[10:11]
	s_lshl_b32 s4, s4, 8
	s_mov_b32 s13, s5
	s_mov_b32 s7, s16
	global_store_b128 v[4:5], v[0:3], off th:TH_STORE_NT
.LBB1_3261:                             ;   Parent Loop BB1_1755 Depth=1
                                        ; =>  This Inner Loop Header: Depth=2
	s_wait_loadcnt 0x0
	global_load_b128 v[4:7], v[8:9], off th:TH_LOAD_NT
	v_add_nc_u32_e32 v14, 1, v14
	s_mov_b32 s1, -1
	s_mov_b32 s14, -1
	s_mov_b32 s15, exec_lo
	s_wait_xcnt 0x0
	v_cmpx_eq_u32_e32 0xf4240, v14
	s_cbranch_execz .LBB1_3263
; %bb.3262:                             ;   in Loop: Header=BB1_3261 Depth=2
	s_wait_loadcnt 0x0
	s_wait_storecnt 0x0
	global_load_b32 v0, v2, s[10:11] scope:SCOPE_SYS
	s_wait_loadcnt 0x0
	global_inv scope:SCOPE_SYS
	v_mov_b32_e32 v14, 0
	v_cmp_eq_u32_e64 s0, 0, v0
	s_or_not1_b32 s14, s0, exec_lo
.LBB1_3263:                             ;   in Loop: Header=BB1_3261 Depth=2
	s_wait_xcnt 0x0
	s_or_b32 exec_lo, exec_lo, s15
	s_and_saveexec_b32 s15, s14
	s_cbranch_execz .LBB1_3265
; %bb.3264:                             ;   in Loop: Header=BB1_3261 Depth=2
	s_wait_loadcnt 0x0
	v_cmp_eq_u32_e64 s0, s12, v5
	v_cmp_eq_u32_e64 s1, s12, v7
	s_and_b32 s0, s0, s1
	s_delay_alu instid0(SALU_CYCLE_1)
	s_or_not1_b32 s1, s0, exec_lo
.LBB1_3265:                             ;   in Loop: Header=BB1_3261 Depth=2
	s_or_b32 exec_lo, exec_lo, s15
	s_delay_alu instid0(SALU_CYCLE_1) | instskip(NEXT) | instid1(SALU_CYCLE_1)
	s_and_b32 s0, exec_lo, s1
	s_or_b32 s7, s0, s7
	s_delay_alu instid0(SALU_CYCLE_1)
	s_and_not1_b32 exec_lo, exec_lo, s7
	s_cbranch_execnz .LBB1_3261
; %bb.3266:                             ;   in Loop: Header=BB1_3261 Depth=2
	s_or_b32 exec_lo, exec_lo, s7
	s_wait_loadcnt 0x0
	v_dual_mov_b32 v5, v6 :: v_dual_mov_b32 v14, 0
	s_mov_b32 s7, 0
	s_delay_alu instid0(VALU_DEP_1) | instskip(SKIP_1) | instid1(SALU_CYCLE_1)
	v_cmp_eq_u64_e64 s0, s[12:13], v[4:5]
	s_or_b32 s16, s0, s16
	s_and_not1_b32 exec_lo, exec_lo, s16
	s_cbranch_execnz .LBB1_3261
; %bb.3267:                             ;   in Loop: Header=BB1_1755 Depth=1
	s_or_b32 exec_lo, exec_lo, s16
	s_add_co_i32 s14, s6, 0xd8
	v_lshl_add_u64 v[4:5], s[4:5], 4, v[12:13]
	s_mul_hi_u32 s0, s14, 0x10624dd3
	s_mov_b32 s16, 0
	s_lshr_b32 s4, s0, 6
	s_mov_b32 s17, s12
	s_mulk_i32 s4, 0x3e8
	s_or_b64 s[0:1], s[16:17], s[12:13]
	s_sub_co_i32 s4, s14, s4
	v_dual_mov_b32 v0, s0 :: v_dual_mov_b32 v1, s1
	s_lshl_b32 s0, s4, 12
	s_mov_b32 s1, s5
	v_dual_mov_b32 v3, s12 :: v_dual_mov_b32 v14, 0
	v_add_nc_u64_e32 v[8:9], s[0:1], v[10:11]
	s_lshl_b32 s4, s4, 8
	s_mov_b32 s15, s5
	s_mov_b32 s7, s16
	global_store_b128 v[4:5], v[0:3], off th:TH_STORE_NT
.LBB1_3268:                             ;   Parent Loop BB1_1755 Depth=1
                                        ; =>  This Inner Loop Header: Depth=2
	s_wait_loadcnt 0x0
	global_load_b128 v[4:7], v[8:9], off th:TH_LOAD_NT
	v_add_nc_u32_e32 v14, 1, v14
	s_mov_b32 s1, -1
	s_mov_b32 s12, -1
	s_mov_b32 s13, exec_lo
	s_wait_xcnt 0x0
	v_cmpx_eq_u32_e32 0xf4240, v14
	s_cbranch_execz .LBB1_3270
; %bb.3269:                             ;   in Loop: Header=BB1_3268 Depth=2
	s_wait_loadcnt 0x0
	s_wait_storecnt 0x0
	global_load_b32 v0, v2, s[10:11] scope:SCOPE_SYS
	s_wait_loadcnt 0x0
	global_inv scope:SCOPE_SYS
	v_mov_b32_e32 v14, 0
	v_cmp_eq_u32_e64 s0, 0, v0
	s_or_not1_b32 s12, s0, exec_lo
.LBB1_3270:                             ;   in Loop: Header=BB1_3268 Depth=2
	s_wait_xcnt 0x0
	s_or_b32 exec_lo, exec_lo, s13
	s_and_saveexec_b32 s13, s12
	s_cbranch_execz .LBB1_3272
; %bb.3271:                             ;   in Loop: Header=BB1_3268 Depth=2
	s_wait_loadcnt 0x0
	v_cmp_eq_u32_e64 s0, s14, v5
	v_cmp_eq_u32_e64 s1, s14, v7
	s_and_b32 s0, s0, s1
	s_delay_alu instid0(SALU_CYCLE_1)
	s_or_not1_b32 s1, s0, exec_lo
.LBB1_3272:                             ;   in Loop: Header=BB1_3268 Depth=2
	s_or_b32 exec_lo, exec_lo, s13
	s_delay_alu instid0(SALU_CYCLE_1) | instskip(NEXT) | instid1(SALU_CYCLE_1)
	s_and_b32 s0, exec_lo, s1
	s_or_b32 s7, s0, s7
	s_delay_alu instid0(SALU_CYCLE_1)
	s_and_not1_b32 exec_lo, exec_lo, s7
	s_cbranch_execnz .LBB1_3268
; %bb.3273:                             ;   in Loop: Header=BB1_3268 Depth=2
	s_or_b32 exec_lo, exec_lo, s7
	s_wait_loadcnt 0x0
	v_dual_mov_b32 v5, v6 :: v_dual_mov_b32 v14, 0
	s_mov_b32 s7, 0
	s_delay_alu instid0(VALU_DEP_1) | instskip(SKIP_1) | instid1(SALU_CYCLE_1)
	v_cmp_eq_u64_e64 s0, s[14:15], v[4:5]
	s_or_b32 s16, s0, s16
	s_and_not1_b32 exec_lo, exec_lo, s16
	s_cbranch_execnz .LBB1_3268
; %bb.3274:                             ;   in Loop: Header=BB1_1755 Depth=1
	s_or_b32 exec_lo, exec_lo, s16
	s_add_co_i32 s12, s6, 0xd9
	v_lshl_add_u64 v[4:5], s[4:5], 4, v[12:13]
	s_mul_hi_u32 s0, s12, 0x10624dd3
	s_mov_b32 s16, 0
	s_lshr_b32 s4, s0, 6
	s_mov_b32 s17, s14
	s_mulk_i32 s4, 0x3e8
	s_or_b64 s[0:1], s[16:17], s[14:15]
	s_sub_co_i32 s4, s12, s4
	v_dual_mov_b32 v0, s0 :: v_dual_mov_b32 v1, s1
	s_lshl_b32 s0, s4, 12
	s_mov_b32 s1, s5
	v_dual_mov_b32 v3, s14 :: v_dual_mov_b32 v14, 0
	v_add_nc_u64_e32 v[8:9], s[0:1], v[10:11]
	s_lshl_b32 s4, s4, 8
	s_mov_b32 s13, s5
	s_mov_b32 s7, s16
	global_store_b128 v[4:5], v[0:3], off th:TH_STORE_NT
.LBB1_3275:                             ;   Parent Loop BB1_1755 Depth=1
                                        ; =>  This Inner Loop Header: Depth=2
	s_wait_loadcnt 0x0
	global_load_b128 v[4:7], v[8:9], off th:TH_LOAD_NT
	v_add_nc_u32_e32 v14, 1, v14
	s_mov_b32 s1, -1
	s_mov_b32 s14, -1
	s_mov_b32 s15, exec_lo
	s_wait_xcnt 0x0
	v_cmpx_eq_u32_e32 0xf4240, v14
	s_cbranch_execz .LBB1_3277
; %bb.3276:                             ;   in Loop: Header=BB1_3275 Depth=2
	s_wait_loadcnt 0x0
	s_wait_storecnt 0x0
	global_load_b32 v0, v2, s[10:11] scope:SCOPE_SYS
	s_wait_loadcnt 0x0
	global_inv scope:SCOPE_SYS
	v_mov_b32_e32 v14, 0
	v_cmp_eq_u32_e64 s0, 0, v0
	s_or_not1_b32 s14, s0, exec_lo
.LBB1_3277:                             ;   in Loop: Header=BB1_3275 Depth=2
	s_wait_xcnt 0x0
	s_or_b32 exec_lo, exec_lo, s15
	s_and_saveexec_b32 s15, s14
	s_cbranch_execz .LBB1_3279
; %bb.3278:                             ;   in Loop: Header=BB1_3275 Depth=2
	s_wait_loadcnt 0x0
	v_cmp_eq_u32_e64 s0, s12, v5
	v_cmp_eq_u32_e64 s1, s12, v7
	s_and_b32 s0, s0, s1
	s_delay_alu instid0(SALU_CYCLE_1)
	s_or_not1_b32 s1, s0, exec_lo
.LBB1_3279:                             ;   in Loop: Header=BB1_3275 Depth=2
	s_or_b32 exec_lo, exec_lo, s15
	s_delay_alu instid0(SALU_CYCLE_1) | instskip(NEXT) | instid1(SALU_CYCLE_1)
	s_and_b32 s0, exec_lo, s1
	s_or_b32 s7, s0, s7
	s_delay_alu instid0(SALU_CYCLE_1)
	s_and_not1_b32 exec_lo, exec_lo, s7
	s_cbranch_execnz .LBB1_3275
; %bb.3280:                             ;   in Loop: Header=BB1_3275 Depth=2
	s_or_b32 exec_lo, exec_lo, s7
	s_wait_loadcnt 0x0
	v_dual_mov_b32 v5, v6 :: v_dual_mov_b32 v14, 0
	s_mov_b32 s7, 0
	s_delay_alu instid0(VALU_DEP_1) | instskip(SKIP_1) | instid1(SALU_CYCLE_1)
	v_cmp_eq_u64_e64 s0, s[12:13], v[4:5]
	s_or_b32 s16, s0, s16
	s_and_not1_b32 exec_lo, exec_lo, s16
	s_cbranch_execnz .LBB1_3275
; %bb.3281:                             ;   in Loop: Header=BB1_1755 Depth=1
	s_or_b32 exec_lo, exec_lo, s16
	s_add_co_i32 s14, s6, 0xda
	v_lshl_add_u64 v[4:5], s[4:5], 4, v[12:13]
	s_mul_hi_u32 s0, s14, 0x10624dd3
	s_mov_b32 s16, 0
	s_lshr_b32 s4, s0, 6
	s_mov_b32 s17, s12
	s_mulk_i32 s4, 0x3e8
	s_or_b64 s[0:1], s[16:17], s[12:13]
	s_sub_co_i32 s4, s14, s4
	v_dual_mov_b32 v0, s0 :: v_dual_mov_b32 v1, s1
	s_lshl_b32 s0, s4, 12
	s_mov_b32 s1, s5
	v_dual_mov_b32 v3, s12 :: v_dual_mov_b32 v14, 0
	v_add_nc_u64_e32 v[8:9], s[0:1], v[10:11]
	s_lshl_b32 s4, s4, 8
	s_mov_b32 s15, s5
	s_mov_b32 s7, s16
	global_store_b128 v[4:5], v[0:3], off th:TH_STORE_NT
.LBB1_3282:                             ;   Parent Loop BB1_1755 Depth=1
                                        ; =>  This Inner Loop Header: Depth=2
	s_wait_loadcnt 0x0
	global_load_b128 v[4:7], v[8:9], off th:TH_LOAD_NT
	v_add_nc_u32_e32 v14, 1, v14
	s_mov_b32 s1, -1
	s_mov_b32 s12, -1
	s_mov_b32 s13, exec_lo
	s_wait_xcnt 0x0
	v_cmpx_eq_u32_e32 0xf4240, v14
	s_cbranch_execz .LBB1_3284
; %bb.3283:                             ;   in Loop: Header=BB1_3282 Depth=2
	s_wait_loadcnt 0x0
	s_wait_storecnt 0x0
	global_load_b32 v0, v2, s[10:11] scope:SCOPE_SYS
	s_wait_loadcnt 0x0
	global_inv scope:SCOPE_SYS
	v_mov_b32_e32 v14, 0
	v_cmp_eq_u32_e64 s0, 0, v0
	s_or_not1_b32 s12, s0, exec_lo
.LBB1_3284:                             ;   in Loop: Header=BB1_3282 Depth=2
	s_wait_xcnt 0x0
	s_or_b32 exec_lo, exec_lo, s13
	s_and_saveexec_b32 s13, s12
	s_cbranch_execz .LBB1_3286
; %bb.3285:                             ;   in Loop: Header=BB1_3282 Depth=2
	s_wait_loadcnt 0x0
	v_cmp_eq_u32_e64 s0, s14, v5
	v_cmp_eq_u32_e64 s1, s14, v7
	s_and_b32 s0, s0, s1
	s_delay_alu instid0(SALU_CYCLE_1)
	s_or_not1_b32 s1, s0, exec_lo
.LBB1_3286:                             ;   in Loop: Header=BB1_3282 Depth=2
	s_or_b32 exec_lo, exec_lo, s13
	s_delay_alu instid0(SALU_CYCLE_1) | instskip(NEXT) | instid1(SALU_CYCLE_1)
	s_and_b32 s0, exec_lo, s1
	s_or_b32 s7, s0, s7
	s_delay_alu instid0(SALU_CYCLE_1)
	s_and_not1_b32 exec_lo, exec_lo, s7
	s_cbranch_execnz .LBB1_3282
; %bb.3287:                             ;   in Loop: Header=BB1_3282 Depth=2
	s_or_b32 exec_lo, exec_lo, s7
	s_wait_loadcnt 0x0
	v_dual_mov_b32 v5, v6 :: v_dual_mov_b32 v14, 0
	s_mov_b32 s7, 0
	s_delay_alu instid0(VALU_DEP_1) | instskip(SKIP_1) | instid1(SALU_CYCLE_1)
	v_cmp_eq_u64_e64 s0, s[14:15], v[4:5]
	s_or_b32 s16, s0, s16
	s_and_not1_b32 exec_lo, exec_lo, s16
	s_cbranch_execnz .LBB1_3282
; %bb.3288:                             ;   in Loop: Header=BB1_1755 Depth=1
	s_or_b32 exec_lo, exec_lo, s16
	s_add_co_i32 s12, s6, 0xdb
	v_lshl_add_u64 v[4:5], s[4:5], 4, v[12:13]
	s_mul_hi_u32 s0, s12, 0x10624dd3
	s_mov_b32 s16, 0
	s_lshr_b32 s4, s0, 6
	s_mov_b32 s17, s14
	s_mulk_i32 s4, 0x3e8
	s_or_b64 s[0:1], s[16:17], s[14:15]
	s_sub_co_i32 s4, s12, s4
	v_dual_mov_b32 v0, s0 :: v_dual_mov_b32 v1, s1
	s_lshl_b32 s0, s4, 12
	s_mov_b32 s1, s5
	v_dual_mov_b32 v3, s14 :: v_dual_mov_b32 v14, 0
	v_add_nc_u64_e32 v[8:9], s[0:1], v[10:11]
	s_lshl_b32 s4, s4, 8
	s_mov_b32 s13, s5
	s_mov_b32 s7, s16
	global_store_b128 v[4:5], v[0:3], off th:TH_STORE_NT
.LBB1_3289:                             ;   Parent Loop BB1_1755 Depth=1
                                        ; =>  This Inner Loop Header: Depth=2
	s_wait_loadcnt 0x0
	global_load_b128 v[4:7], v[8:9], off th:TH_LOAD_NT
	v_add_nc_u32_e32 v14, 1, v14
	s_mov_b32 s1, -1
	s_mov_b32 s14, -1
	s_mov_b32 s15, exec_lo
	s_wait_xcnt 0x0
	v_cmpx_eq_u32_e32 0xf4240, v14
	s_cbranch_execz .LBB1_3291
; %bb.3290:                             ;   in Loop: Header=BB1_3289 Depth=2
	s_wait_loadcnt 0x0
	s_wait_storecnt 0x0
	global_load_b32 v0, v2, s[10:11] scope:SCOPE_SYS
	s_wait_loadcnt 0x0
	global_inv scope:SCOPE_SYS
	v_mov_b32_e32 v14, 0
	v_cmp_eq_u32_e64 s0, 0, v0
	s_or_not1_b32 s14, s0, exec_lo
.LBB1_3291:                             ;   in Loop: Header=BB1_3289 Depth=2
	s_wait_xcnt 0x0
	s_or_b32 exec_lo, exec_lo, s15
	s_and_saveexec_b32 s15, s14
	s_cbranch_execz .LBB1_3293
; %bb.3292:                             ;   in Loop: Header=BB1_3289 Depth=2
	s_wait_loadcnt 0x0
	v_cmp_eq_u32_e64 s0, s12, v5
	v_cmp_eq_u32_e64 s1, s12, v7
	s_and_b32 s0, s0, s1
	s_delay_alu instid0(SALU_CYCLE_1)
	s_or_not1_b32 s1, s0, exec_lo
.LBB1_3293:                             ;   in Loop: Header=BB1_3289 Depth=2
	s_or_b32 exec_lo, exec_lo, s15
	s_delay_alu instid0(SALU_CYCLE_1) | instskip(NEXT) | instid1(SALU_CYCLE_1)
	s_and_b32 s0, exec_lo, s1
	s_or_b32 s7, s0, s7
	s_delay_alu instid0(SALU_CYCLE_1)
	s_and_not1_b32 exec_lo, exec_lo, s7
	s_cbranch_execnz .LBB1_3289
; %bb.3294:                             ;   in Loop: Header=BB1_3289 Depth=2
	s_or_b32 exec_lo, exec_lo, s7
	s_wait_loadcnt 0x0
	v_dual_mov_b32 v5, v6 :: v_dual_mov_b32 v14, 0
	s_mov_b32 s7, 0
	s_delay_alu instid0(VALU_DEP_1) | instskip(SKIP_1) | instid1(SALU_CYCLE_1)
	v_cmp_eq_u64_e64 s0, s[12:13], v[4:5]
	s_or_b32 s16, s0, s16
	s_and_not1_b32 exec_lo, exec_lo, s16
	s_cbranch_execnz .LBB1_3289
; %bb.3295:                             ;   in Loop: Header=BB1_1755 Depth=1
	s_or_b32 exec_lo, exec_lo, s16
	s_add_co_i32 s14, s6, 0xdc
	v_lshl_add_u64 v[4:5], s[4:5], 4, v[12:13]
	s_mul_hi_u32 s0, s14, 0x10624dd3
	s_mov_b32 s16, 0
	s_lshr_b32 s4, s0, 6
	s_mov_b32 s17, s12
	s_mulk_i32 s4, 0x3e8
	s_or_b64 s[0:1], s[16:17], s[12:13]
	s_sub_co_i32 s4, s14, s4
	v_dual_mov_b32 v0, s0 :: v_dual_mov_b32 v1, s1
	s_lshl_b32 s0, s4, 12
	s_mov_b32 s1, s5
	v_dual_mov_b32 v3, s12 :: v_dual_mov_b32 v14, 0
	v_add_nc_u64_e32 v[8:9], s[0:1], v[10:11]
	s_lshl_b32 s4, s4, 8
	s_mov_b32 s15, s5
	s_mov_b32 s7, s16
	global_store_b128 v[4:5], v[0:3], off th:TH_STORE_NT
.LBB1_3296:                             ;   Parent Loop BB1_1755 Depth=1
                                        ; =>  This Inner Loop Header: Depth=2
	s_wait_loadcnt 0x0
	global_load_b128 v[4:7], v[8:9], off th:TH_LOAD_NT
	v_add_nc_u32_e32 v14, 1, v14
	s_mov_b32 s1, -1
	s_mov_b32 s12, -1
	s_mov_b32 s13, exec_lo
	s_wait_xcnt 0x0
	v_cmpx_eq_u32_e32 0xf4240, v14
	s_cbranch_execz .LBB1_3298
; %bb.3297:                             ;   in Loop: Header=BB1_3296 Depth=2
	s_wait_loadcnt 0x0
	s_wait_storecnt 0x0
	global_load_b32 v0, v2, s[10:11] scope:SCOPE_SYS
	s_wait_loadcnt 0x0
	global_inv scope:SCOPE_SYS
	v_mov_b32_e32 v14, 0
	v_cmp_eq_u32_e64 s0, 0, v0
	s_or_not1_b32 s12, s0, exec_lo
.LBB1_3298:                             ;   in Loop: Header=BB1_3296 Depth=2
	s_wait_xcnt 0x0
	s_or_b32 exec_lo, exec_lo, s13
	s_and_saveexec_b32 s13, s12
	s_cbranch_execz .LBB1_3300
; %bb.3299:                             ;   in Loop: Header=BB1_3296 Depth=2
	s_wait_loadcnt 0x0
	v_cmp_eq_u32_e64 s0, s14, v5
	v_cmp_eq_u32_e64 s1, s14, v7
	s_and_b32 s0, s0, s1
	s_delay_alu instid0(SALU_CYCLE_1)
	s_or_not1_b32 s1, s0, exec_lo
.LBB1_3300:                             ;   in Loop: Header=BB1_3296 Depth=2
	s_or_b32 exec_lo, exec_lo, s13
	s_delay_alu instid0(SALU_CYCLE_1) | instskip(NEXT) | instid1(SALU_CYCLE_1)
	s_and_b32 s0, exec_lo, s1
	s_or_b32 s7, s0, s7
	s_delay_alu instid0(SALU_CYCLE_1)
	s_and_not1_b32 exec_lo, exec_lo, s7
	s_cbranch_execnz .LBB1_3296
; %bb.3301:                             ;   in Loop: Header=BB1_3296 Depth=2
	s_or_b32 exec_lo, exec_lo, s7
	s_wait_loadcnt 0x0
	v_dual_mov_b32 v5, v6 :: v_dual_mov_b32 v14, 0
	s_mov_b32 s7, 0
	s_delay_alu instid0(VALU_DEP_1) | instskip(SKIP_1) | instid1(SALU_CYCLE_1)
	v_cmp_eq_u64_e64 s0, s[14:15], v[4:5]
	s_or_b32 s16, s0, s16
	s_and_not1_b32 exec_lo, exec_lo, s16
	s_cbranch_execnz .LBB1_3296
; %bb.3302:                             ;   in Loop: Header=BB1_1755 Depth=1
	s_or_b32 exec_lo, exec_lo, s16
	s_add_co_i32 s12, s6, 0xdd
	v_lshl_add_u64 v[4:5], s[4:5], 4, v[12:13]
	s_mul_hi_u32 s0, s12, 0x10624dd3
	s_mov_b32 s16, 0
	s_lshr_b32 s4, s0, 6
	s_mov_b32 s17, s14
	s_mulk_i32 s4, 0x3e8
	s_or_b64 s[0:1], s[16:17], s[14:15]
	s_sub_co_i32 s4, s12, s4
	v_dual_mov_b32 v0, s0 :: v_dual_mov_b32 v1, s1
	s_lshl_b32 s0, s4, 12
	s_mov_b32 s1, s5
	v_dual_mov_b32 v3, s14 :: v_dual_mov_b32 v14, 0
	v_add_nc_u64_e32 v[8:9], s[0:1], v[10:11]
	s_lshl_b32 s4, s4, 8
	s_mov_b32 s13, s5
	s_mov_b32 s7, s16
	global_store_b128 v[4:5], v[0:3], off th:TH_STORE_NT
.LBB1_3303:                             ;   Parent Loop BB1_1755 Depth=1
                                        ; =>  This Inner Loop Header: Depth=2
	s_wait_loadcnt 0x0
	global_load_b128 v[4:7], v[8:9], off th:TH_LOAD_NT
	v_add_nc_u32_e32 v14, 1, v14
	s_mov_b32 s1, -1
	s_mov_b32 s14, -1
	s_mov_b32 s15, exec_lo
	s_wait_xcnt 0x0
	v_cmpx_eq_u32_e32 0xf4240, v14
	s_cbranch_execz .LBB1_3305
; %bb.3304:                             ;   in Loop: Header=BB1_3303 Depth=2
	s_wait_loadcnt 0x0
	s_wait_storecnt 0x0
	global_load_b32 v0, v2, s[10:11] scope:SCOPE_SYS
	s_wait_loadcnt 0x0
	global_inv scope:SCOPE_SYS
	v_mov_b32_e32 v14, 0
	v_cmp_eq_u32_e64 s0, 0, v0
	s_or_not1_b32 s14, s0, exec_lo
.LBB1_3305:                             ;   in Loop: Header=BB1_3303 Depth=2
	s_wait_xcnt 0x0
	s_or_b32 exec_lo, exec_lo, s15
	s_and_saveexec_b32 s15, s14
	s_cbranch_execz .LBB1_3307
; %bb.3306:                             ;   in Loop: Header=BB1_3303 Depth=2
	s_wait_loadcnt 0x0
	v_cmp_eq_u32_e64 s0, s12, v5
	v_cmp_eq_u32_e64 s1, s12, v7
	s_and_b32 s0, s0, s1
	s_delay_alu instid0(SALU_CYCLE_1)
	s_or_not1_b32 s1, s0, exec_lo
.LBB1_3307:                             ;   in Loop: Header=BB1_3303 Depth=2
	s_or_b32 exec_lo, exec_lo, s15
	s_delay_alu instid0(SALU_CYCLE_1) | instskip(NEXT) | instid1(SALU_CYCLE_1)
	s_and_b32 s0, exec_lo, s1
	s_or_b32 s7, s0, s7
	s_delay_alu instid0(SALU_CYCLE_1)
	s_and_not1_b32 exec_lo, exec_lo, s7
	s_cbranch_execnz .LBB1_3303
; %bb.3308:                             ;   in Loop: Header=BB1_3303 Depth=2
	s_or_b32 exec_lo, exec_lo, s7
	s_wait_loadcnt 0x0
	v_dual_mov_b32 v5, v6 :: v_dual_mov_b32 v14, 0
	s_mov_b32 s7, 0
	s_delay_alu instid0(VALU_DEP_1) | instskip(SKIP_1) | instid1(SALU_CYCLE_1)
	v_cmp_eq_u64_e64 s0, s[12:13], v[4:5]
	s_or_b32 s16, s0, s16
	s_and_not1_b32 exec_lo, exec_lo, s16
	s_cbranch_execnz .LBB1_3303
; %bb.3309:                             ;   in Loop: Header=BB1_1755 Depth=1
	s_or_b32 exec_lo, exec_lo, s16
	s_add_co_i32 s14, s6, 0xde
	v_lshl_add_u64 v[4:5], s[4:5], 4, v[12:13]
	s_mul_hi_u32 s0, s14, 0x10624dd3
	s_mov_b32 s16, 0
	s_lshr_b32 s4, s0, 6
	s_mov_b32 s17, s12
	s_mulk_i32 s4, 0x3e8
	s_or_b64 s[0:1], s[16:17], s[12:13]
	s_sub_co_i32 s4, s14, s4
	v_dual_mov_b32 v0, s0 :: v_dual_mov_b32 v1, s1
	s_lshl_b32 s0, s4, 12
	s_mov_b32 s1, s5
	v_dual_mov_b32 v3, s12 :: v_dual_mov_b32 v14, 0
	v_add_nc_u64_e32 v[8:9], s[0:1], v[10:11]
	s_lshl_b32 s4, s4, 8
	s_mov_b32 s15, s5
	s_mov_b32 s7, s16
	global_store_b128 v[4:5], v[0:3], off th:TH_STORE_NT
.LBB1_3310:                             ;   Parent Loop BB1_1755 Depth=1
                                        ; =>  This Inner Loop Header: Depth=2
	s_wait_loadcnt 0x0
	global_load_b128 v[4:7], v[8:9], off th:TH_LOAD_NT
	v_add_nc_u32_e32 v14, 1, v14
	s_mov_b32 s1, -1
	s_mov_b32 s12, -1
	s_mov_b32 s13, exec_lo
	s_wait_xcnt 0x0
	v_cmpx_eq_u32_e32 0xf4240, v14
	s_cbranch_execz .LBB1_3312
; %bb.3311:                             ;   in Loop: Header=BB1_3310 Depth=2
	s_wait_loadcnt 0x0
	s_wait_storecnt 0x0
	global_load_b32 v0, v2, s[10:11] scope:SCOPE_SYS
	s_wait_loadcnt 0x0
	global_inv scope:SCOPE_SYS
	v_mov_b32_e32 v14, 0
	v_cmp_eq_u32_e64 s0, 0, v0
	s_or_not1_b32 s12, s0, exec_lo
.LBB1_3312:                             ;   in Loop: Header=BB1_3310 Depth=2
	s_wait_xcnt 0x0
	s_or_b32 exec_lo, exec_lo, s13
	s_and_saveexec_b32 s13, s12
	s_cbranch_execz .LBB1_3314
; %bb.3313:                             ;   in Loop: Header=BB1_3310 Depth=2
	s_wait_loadcnt 0x0
	v_cmp_eq_u32_e64 s0, s14, v5
	v_cmp_eq_u32_e64 s1, s14, v7
	s_and_b32 s0, s0, s1
	s_delay_alu instid0(SALU_CYCLE_1)
	s_or_not1_b32 s1, s0, exec_lo
.LBB1_3314:                             ;   in Loop: Header=BB1_3310 Depth=2
	s_or_b32 exec_lo, exec_lo, s13
	s_delay_alu instid0(SALU_CYCLE_1) | instskip(NEXT) | instid1(SALU_CYCLE_1)
	s_and_b32 s0, exec_lo, s1
	s_or_b32 s7, s0, s7
	s_delay_alu instid0(SALU_CYCLE_1)
	s_and_not1_b32 exec_lo, exec_lo, s7
	s_cbranch_execnz .LBB1_3310
; %bb.3315:                             ;   in Loop: Header=BB1_3310 Depth=2
	s_or_b32 exec_lo, exec_lo, s7
	s_wait_loadcnt 0x0
	v_dual_mov_b32 v5, v6 :: v_dual_mov_b32 v14, 0
	s_mov_b32 s7, 0
	s_delay_alu instid0(VALU_DEP_1) | instskip(SKIP_1) | instid1(SALU_CYCLE_1)
	v_cmp_eq_u64_e64 s0, s[14:15], v[4:5]
	s_or_b32 s16, s0, s16
	s_and_not1_b32 exec_lo, exec_lo, s16
	s_cbranch_execnz .LBB1_3310
; %bb.3316:                             ;   in Loop: Header=BB1_1755 Depth=1
	s_or_b32 exec_lo, exec_lo, s16
	s_add_co_i32 s12, s6, 0xdf
	v_lshl_add_u64 v[4:5], s[4:5], 4, v[12:13]
	s_mul_hi_u32 s0, s12, 0x10624dd3
	s_mov_b32 s16, 0
	s_lshr_b32 s4, s0, 6
	s_mov_b32 s17, s14
	s_mulk_i32 s4, 0x3e8
	s_or_b64 s[0:1], s[16:17], s[14:15]
	s_sub_co_i32 s4, s12, s4
	v_dual_mov_b32 v0, s0 :: v_dual_mov_b32 v1, s1
	s_lshl_b32 s0, s4, 12
	s_mov_b32 s1, s5
	v_dual_mov_b32 v3, s14 :: v_dual_mov_b32 v14, 0
	v_add_nc_u64_e32 v[8:9], s[0:1], v[10:11]
	s_lshl_b32 s4, s4, 8
	s_mov_b32 s13, s5
	s_mov_b32 s7, s16
	global_store_b128 v[4:5], v[0:3], off th:TH_STORE_NT
.LBB1_3317:                             ;   Parent Loop BB1_1755 Depth=1
                                        ; =>  This Inner Loop Header: Depth=2
	s_wait_loadcnt 0x0
	global_load_b128 v[4:7], v[8:9], off th:TH_LOAD_NT
	v_add_nc_u32_e32 v14, 1, v14
	s_mov_b32 s1, -1
	s_mov_b32 s14, -1
	s_mov_b32 s15, exec_lo
	s_wait_xcnt 0x0
	v_cmpx_eq_u32_e32 0xf4240, v14
	s_cbranch_execz .LBB1_3319
; %bb.3318:                             ;   in Loop: Header=BB1_3317 Depth=2
	s_wait_loadcnt 0x0
	s_wait_storecnt 0x0
	global_load_b32 v0, v2, s[10:11] scope:SCOPE_SYS
	s_wait_loadcnt 0x0
	global_inv scope:SCOPE_SYS
	v_mov_b32_e32 v14, 0
	v_cmp_eq_u32_e64 s0, 0, v0
	s_or_not1_b32 s14, s0, exec_lo
.LBB1_3319:                             ;   in Loop: Header=BB1_3317 Depth=2
	s_wait_xcnt 0x0
	s_or_b32 exec_lo, exec_lo, s15
	s_and_saveexec_b32 s15, s14
	s_cbranch_execz .LBB1_3321
; %bb.3320:                             ;   in Loop: Header=BB1_3317 Depth=2
	s_wait_loadcnt 0x0
	v_cmp_eq_u32_e64 s0, s12, v5
	v_cmp_eq_u32_e64 s1, s12, v7
	s_and_b32 s0, s0, s1
	s_delay_alu instid0(SALU_CYCLE_1)
	s_or_not1_b32 s1, s0, exec_lo
.LBB1_3321:                             ;   in Loop: Header=BB1_3317 Depth=2
	s_or_b32 exec_lo, exec_lo, s15
	s_delay_alu instid0(SALU_CYCLE_1) | instskip(NEXT) | instid1(SALU_CYCLE_1)
	s_and_b32 s0, exec_lo, s1
	s_or_b32 s7, s0, s7
	s_delay_alu instid0(SALU_CYCLE_1)
	s_and_not1_b32 exec_lo, exec_lo, s7
	s_cbranch_execnz .LBB1_3317
; %bb.3322:                             ;   in Loop: Header=BB1_3317 Depth=2
	s_or_b32 exec_lo, exec_lo, s7
	s_wait_loadcnt 0x0
	v_dual_mov_b32 v5, v6 :: v_dual_mov_b32 v14, 0
	s_mov_b32 s7, 0
	s_delay_alu instid0(VALU_DEP_1) | instskip(SKIP_1) | instid1(SALU_CYCLE_1)
	v_cmp_eq_u64_e64 s0, s[12:13], v[4:5]
	s_or_b32 s16, s0, s16
	s_and_not1_b32 exec_lo, exec_lo, s16
	s_cbranch_execnz .LBB1_3317
; %bb.3323:                             ;   in Loop: Header=BB1_1755 Depth=1
	s_or_b32 exec_lo, exec_lo, s16
	s_add_co_i32 s14, s6, 0xe0
	v_lshl_add_u64 v[4:5], s[4:5], 4, v[12:13]
	s_mul_hi_u32 s0, s14, 0x10624dd3
	s_mov_b32 s16, 0
	s_lshr_b32 s4, s0, 6
	s_mov_b32 s17, s12
	s_mulk_i32 s4, 0x3e8
	s_or_b64 s[0:1], s[16:17], s[12:13]
	s_sub_co_i32 s4, s14, s4
	v_dual_mov_b32 v0, s0 :: v_dual_mov_b32 v1, s1
	s_lshl_b32 s0, s4, 12
	s_mov_b32 s1, s5
	v_dual_mov_b32 v3, s12 :: v_dual_mov_b32 v14, 0
	v_add_nc_u64_e32 v[8:9], s[0:1], v[10:11]
	s_lshl_b32 s4, s4, 8
	s_mov_b32 s15, s5
	s_mov_b32 s7, s16
	global_store_b128 v[4:5], v[0:3], off th:TH_STORE_NT
.LBB1_3324:                             ;   Parent Loop BB1_1755 Depth=1
                                        ; =>  This Inner Loop Header: Depth=2
	s_wait_loadcnt 0x0
	global_load_b128 v[4:7], v[8:9], off th:TH_LOAD_NT
	v_add_nc_u32_e32 v14, 1, v14
	s_mov_b32 s1, -1
	s_mov_b32 s12, -1
	s_mov_b32 s13, exec_lo
	s_wait_xcnt 0x0
	v_cmpx_eq_u32_e32 0xf4240, v14
	s_cbranch_execz .LBB1_3326
; %bb.3325:                             ;   in Loop: Header=BB1_3324 Depth=2
	s_wait_loadcnt 0x0
	s_wait_storecnt 0x0
	global_load_b32 v0, v2, s[10:11] scope:SCOPE_SYS
	s_wait_loadcnt 0x0
	global_inv scope:SCOPE_SYS
	v_mov_b32_e32 v14, 0
	v_cmp_eq_u32_e64 s0, 0, v0
	s_or_not1_b32 s12, s0, exec_lo
.LBB1_3326:                             ;   in Loop: Header=BB1_3324 Depth=2
	s_wait_xcnt 0x0
	s_or_b32 exec_lo, exec_lo, s13
	s_and_saveexec_b32 s13, s12
	s_cbranch_execz .LBB1_3328
; %bb.3327:                             ;   in Loop: Header=BB1_3324 Depth=2
	s_wait_loadcnt 0x0
	v_cmp_eq_u32_e64 s0, s14, v5
	v_cmp_eq_u32_e64 s1, s14, v7
	s_and_b32 s0, s0, s1
	s_delay_alu instid0(SALU_CYCLE_1)
	s_or_not1_b32 s1, s0, exec_lo
.LBB1_3328:                             ;   in Loop: Header=BB1_3324 Depth=2
	s_or_b32 exec_lo, exec_lo, s13
	s_delay_alu instid0(SALU_CYCLE_1) | instskip(NEXT) | instid1(SALU_CYCLE_1)
	s_and_b32 s0, exec_lo, s1
	s_or_b32 s7, s0, s7
	s_delay_alu instid0(SALU_CYCLE_1)
	s_and_not1_b32 exec_lo, exec_lo, s7
	s_cbranch_execnz .LBB1_3324
; %bb.3329:                             ;   in Loop: Header=BB1_3324 Depth=2
	s_or_b32 exec_lo, exec_lo, s7
	s_wait_loadcnt 0x0
	v_dual_mov_b32 v5, v6 :: v_dual_mov_b32 v14, 0
	s_mov_b32 s7, 0
	s_delay_alu instid0(VALU_DEP_1) | instskip(SKIP_1) | instid1(SALU_CYCLE_1)
	v_cmp_eq_u64_e64 s0, s[14:15], v[4:5]
	s_or_b32 s16, s0, s16
	s_and_not1_b32 exec_lo, exec_lo, s16
	s_cbranch_execnz .LBB1_3324
; %bb.3330:                             ;   in Loop: Header=BB1_1755 Depth=1
	s_or_b32 exec_lo, exec_lo, s16
	s_add_co_i32 s12, s6, 0xe1
	v_lshl_add_u64 v[4:5], s[4:5], 4, v[12:13]
	s_mul_hi_u32 s0, s12, 0x10624dd3
	s_mov_b32 s16, 0
	s_lshr_b32 s4, s0, 6
	s_mov_b32 s17, s14
	s_mulk_i32 s4, 0x3e8
	s_or_b64 s[0:1], s[16:17], s[14:15]
	s_sub_co_i32 s4, s12, s4
	v_dual_mov_b32 v0, s0 :: v_dual_mov_b32 v1, s1
	s_lshl_b32 s0, s4, 12
	s_mov_b32 s1, s5
	v_dual_mov_b32 v3, s14 :: v_dual_mov_b32 v14, 0
	v_add_nc_u64_e32 v[8:9], s[0:1], v[10:11]
	s_lshl_b32 s4, s4, 8
	s_mov_b32 s13, s5
	s_mov_b32 s7, s16
	global_store_b128 v[4:5], v[0:3], off th:TH_STORE_NT
.LBB1_3331:                             ;   Parent Loop BB1_1755 Depth=1
                                        ; =>  This Inner Loop Header: Depth=2
	s_wait_loadcnt 0x0
	global_load_b128 v[4:7], v[8:9], off th:TH_LOAD_NT
	v_add_nc_u32_e32 v14, 1, v14
	s_mov_b32 s1, -1
	s_mov_b32 s14, -1
	s_mov_b32 s15, exec_lo
	s_wait_xcnt 0x0
	v_cmpx_eq_u32_e32 0xf4240, v14
	s_cbranch_execz .LBB1_3333
; %bb.3332:                             ;   in Loop: Header=BB1_3331 Depth=2
	s_wait_loadcnt 0x0
	s_wait_storecnt 0x0
	global_load_b32 v0, v2, s[10:11] scope:SCOPE_SYS
	s_wait_loadcnt 0x0
	global_inv scope:SCOPE_SYS
	v_mov_b32_e32 v14, 0
	v_cmp_eq_u32_e64 s0, 0, v0
	s_or_not1_b32 s14, s0, exec_lo
.LBB1_3333:                             ;   in Loop: Header=BB1_3331 Depth=2
	s_wait_xcnt 0x0
	s_or_b32 exec_lo, exec_lo, s15
	s_and_saveexec_b32 s15, s14
	s_cbranch_execz .LBB1_3335
; %bb.3334:                             ;   in Loop: Header=BB1_3331 Depth=2
	s_wait_loadcnt 0x0
	v_cmp_eq_u32_e64 s0, s12, v5
	v_cmp_eq_u32_e64 s1, s12, v7
	s_and_b32 s0, s0, s1
	s_delay_alu instid0(SALU_CYCLE_1)
	s_or_not1_b32 s1, s0, exec_lo
.LBB1_3335:                             ;   in Loop: Header=BB1_3331 Depth=2
	s_or_b32 exec_lo, exec_lo, s15
	s_delay_alu instid0(SALU_CYCLE_1) | instskip(NEXT) | instid1(SALU_CYCLE_1)
	s_and_b32 s0, exec_lo, s1
	s_or_b32 s7, s0, s7
	s_delay_alu instid0(SALU_CYCLE_1)
	s_and_not1_b32 exec_lo, exec_lo, s7
	s_cbranch_execnz .LBB1_3331
; %bb.3336:                             ;   in Loop: Header=BB1_3331 Depth=2
	s_or_b32 exec_lo, exec_lo, s7
	s_wait_loadcnt 0x0
	v_dual_mov_b32 v5, v6 :: v_dual_mov_b32 v14, 0
	s_mov_b32 s7, 0
	s_delay_alu instid0(VALU_DEP_1) | instskip(SKIP_1) | instid1(SALU_CYCLE_1)
	v_cmp_eq_u64_e64 s0, s[12:13], v[4:5]
	s_or_b32 s16, s0, s16
	s_and_not1_b32 exec_lo, exec_lo, s16
	s_cbranch_execnz .LBB1_3331
; %bb.3337:                             ;   in Loop: Header=BB1_1755 Depth=1
	s_or_b32 exec_lo, exec_lo, s16
	s_add_co_i32 s14, s6, 0xe2
	v_lshl_add_u64 v[4:5], s[4:5], 4, v[12:13]
	s_mul_hi_u32 s0, s14, 0x10624dd3
	s_mov_b32 s16, 0
	s_lshr_b32 s4, s0, 6
	s_mov_b32 s17, s12
	s_mulk_i32 s4, 0x3e8
	s_or_b64 s[0:1], s[16:17], s[12:13]
	s_sub_co_i32 s4, s14, s4
	v_dual_mov_b32 v0, s0 :: v_dual_mov_b32 v1, s1
	s_lshl_b32 s0, s4, 12
	s_mov_b32 s1, s5
	v_dual_mov_b32 v3, s12 :: v_dual_mov_b32 v14, 0
	v_add_nc_u64_e32 v[8:9], s[0:1], v[10:11]
	s_lshl_b32 s4, s4, 8
	s_mov_b32 s15, s5
	s_mov_b32 s7, s16
	global_store_b128 v[4:5], v[0:3], off th:TH_STORE_NT
.LBB1_3338:                             ;   Parent Loop BB1_1755 Depth=1
                                        ; =>  This Inner Loop Header: Depth=2
	s_wait_loadcnt 0x0
	global_load_b128 v[4:7], v[8:9], off th:TH_LOAD_NT
	v_add_nc_u32_e32 v14, 1, v14
	s_mov_b32 s1, -1
	s_mov_b32 s12, -1
	s_mov_b32 s13, exec_lo
	s_wait_xcnt 0x0
	v_cmpx_eq_u32_e32 0xf4240, v14
	s_cbranch_execz .LBB1_3340
; %bb.3339:                             ;   in Loop: Header=BB1_3338 Depth=2
	s_wait_loadcnt 0x0
	s_wait_storecnt 0x0
	global_load_b32 v0, v2, s[10:11] scope:SCOPE_SYS
	s_wait_loadcnt 0x0
	global_inv scope:SCOPE_SYS
	v_mov_b32_e32 v14, 0
	v_cmp_eq_u32_e64 s0, 0, v0
	s_or_not1_b32 s12, s0, exec_lo
.LBB1_3340:                             ;   in Loop: Header=BB1_3338 Depth=2
	s_wait_xcnt 0x0
	s_or_b32 exec_lo, exec_lo, s13
	s_and_saveexec_b32 s13, s12
	s_cbranch_execz .LBB1_3342
; %bb.3341:                             ;   in Loop: Header=BB1_3338 Depth=2
	s_wait_loadcnt 0x0
	v_cmp_eq_u32_e64 s0, s14, v5
	v_cmp_eq_u32_e64 s1, s14, v7
	s_and_b32 s0, s0, s1
	s_delay_alu instid0(SALU_CYCLE_1)
	s_or_not1_b32 s1, s0, exec_lo
.LBB1_3342:                             ;   in Loop: Header=BB1_3338 Depth=2
	s_or_b32 exec_lo, exec_lo, s13
	s_delay_alu instid0(SALU_CYCLE_1) | instskip(NEXT) | instid1(SALU_CYCLE_1)
	s_and_b32 s0, exec_lo, s1
	s_or_b32 s7, s0, s7
	s_delay_alu instid0(SALU_CYCLE_1)
	s_and_not1_b32 exec_lo, exec_lo, s7
	s_cbranch_execnz .LBB1_3338
; %bb.3343:                             ;   in Loop: Header=BB1_3338 Depth=2
	s_or_b32 exec_lo, exec_lo, s7
	s_wait_loadcnt 0x0
	v_dual_mov_b32 v5, v6 :: v_dual_mov_b32 v14, 0
	s_mov_b32 s7, 0
	s_delay_alu instid0(VALU_DEP_1) | instskip(SKIP_1) | instid1(SALU_CYCLE_1)
	v_cmp_eq_u64_e64 s0, s[14:15], v[4:5]
	s_or_b32 s16, s0, s16
	s_and_not1_b32 exec_lo, exec_lo, s16
	s_cbranch_execnz .LBB1_3338
; %bb.3344:                             ;   in Loop: Header=BB1_1755 Depth=1
	s_or_b32 exec_lo, exec_lo, s16
	s_add_co_i32 s12, s6, 0xe3
	v_lshl_add_u64 v[4:5], s[4:5], 4, v[12:13]
	s_mul_hi_u32 s0, s12, 0x10624dd3
	s_mov_b32 s16, 0
	s_lshr_b32 s4, s0, 6
	s_mov_b32 s17, s14
	s_mulk_i32 s4, 0x3e8
	s_or_b64 s[0:1], s[16:17], s[14:15]
	s_sub_co_i32 s4, s12, s4
	v_dual_mov_b32 v0, s0 :: v_dual_mov_b32 v1, s1
	s_lshl_b32 s0, s4, 12
	s_mov_b32 s1, s5
	v_dual_mov_b32 v3, s14 :: v_dual_mov_b32 v14, 0
	v_add_nc_u64_e32 v[8:9], s[0:1], v[10:11]
	s_lshl_b32 s4, s4, 8
	s_mov_b32 s13, s5
	s_mov_b32 s7, s16
	global_store_b128 v[4:5], v[0:3], off th:TH_STORE_NT
.LBB1_3345:                             ;   Parent Loop BB1_1755 Depth=1
                                        ; =>  This Inner Loop Header: Depth=2
	s_wait_loadcnt 0x0
	global_load_b128 v[4:7], v[8:9], off th:TH_LOAD_NT
	v_add_nc_u32_e32 v14, 1, v14
	s_mov_b32 s1, -1
	s_mov_b32 s14, -1
	s_mov_b32 s15, exec_lo
	s_wait_xcnt 0x0
	v_cmpx_eq_u32_e32 0xf4240, v14
	s_cbranch_execz .LBB1_3347
; %bb.3346:                             ;   in Loop: Header=BB1_3345 Depth=2
	s_wait_loadcnt 0x0
	s_wait_storecnt 0x0
	global_load_b32 v0, v2, s[10:11] scope:SCOPE_SYS
	s_wait_loadcnt 0x0
	global_inv scope:SCOPE_SYS
	v_mov_b32_e32 v14, 0
	v_cmp_eq_u32_e64 s0, 0, v0
	s_or_not1_b32 s14, s0, exec_lo
.LBB1_3347:                             ;   in Loop: Header=BB1_3345 Depth=2
	s_wait_xcnt 0x0
	s_or_b32 exec_lo, exec_lo, s15
	s_and_saveexec_b32 s15, s14
	s_cbranch_execz .LBB1_3349
; %bb.3348:                             ;   in Loop: Header=BB1_3345 Depth=2
	s_wait_loadcnt 0x0
	v_cmp_eq_u32_e64 s0, s12, v5
	v_cmp_eq_u32_e64 s1, s12, v7
	s_and_b32 s0, s0, s1
	s_delay_alu instid0(SALU_CYCLE_1)
	s_or_not1_b32 s1, s0, exec_lo
.LBB1_3349:                             ;   in Loop: Header=BB1_3345 Depth=2
	s_or_b32 exec_lo, exec_lo, s15
	s_delay_alu instid0(SALU_CYCLE_1) | instskip(NEXT) | instid1(SALU_CYCLE_1)
	s_and_b32 s0, exec_lo, s1
	s_or_b32 s7, s0, s7
	s_delay_alu instid0(SALU_CYCLE_1)
	s_and_not1_b32 exec_lo, exec_lo, s7
	s_cbranch_execnz .LBB1_3345
; %bb.3350:                             ;   in Loop: Header=BB1_3345 Depth=2
	s_or_b32 exec_lo, exec_lo, s7
	s_wait_loadcnt 0x0
	v_dual_mov_b32 v5, v6 :: v_dual_mov_b32 v14, 0
	s_mov_b32 s7, 0
	s_delay_alu instid0(VALU_DEP_1) | instskip(SKIP_1) | instid1(SALU_CYCLE_1)
	v_cmp_eq_u64_e64 s0, s[12:13], v[4:5]
	s_or_b32 s16, s0, s16
	s_and_not1_b32 exec_lo, exec_lo, s16
	s_cbranch_execnz .LBB1_3345
; %bb.3351:                             ;   in Loop: Header=BB1_1755 Depth=1
	s_or_b32 exec_lo, exec_lo, s16
	s_add_co_i32 s14, s6, 0xe4
	v_lshl_add_u64 v[4:5], s[4:5], 4, v[12:13]
	s_mul_hi_u32 s0, s14, 0x10624dd3
	s_mov_b32 s16, 0
	s_lshr_b32 s4, s0, 6
	s_mov_b32 s17, s12
	s_mulk_i32 s4, 0x3e8
	s_or_b64 s[0:1], s[16:17], s[12:13]
	s_sub_co_i32 s4, s14, s4
	v_dual_mov_b32 v0, s0 :: v_dual_mov_b32 v1, s1
	s_lshl_b32 s0, s4, 12
	s_mov_b32 s1, s5
	v_dual_mov_b32 v3, s12 :: v_dual_mov_b32 v14, 0
	v_add_nc_u64_e32 v[8:9], s[0:1], v[10:11]
	s_lshl_b32 s4, s4, 8
	s_mov_b32 s15, s5
	s_mov_b32 s7, s16
	global_store_b128 v[4:5], v[0:3], off th:TH_STORE_NT
.LBB1_3352:                             ;   Parent Loop BB1_1755 Depth=1
                                        ; =>  This Inner Loop Header: Depth=2
	s_wait_loadcnt 0x0
	global_load_b128 v[4:7], v[8:9], off th:TH_LOAD_NT
	v_add_nc_u32_e32 v14, 1, v14
	s_mov_b32 s1, -1
	s_mov_b32 s12, -1
	s_mov_b32 s13, exec_lo
	s_wait_xcnt 0x0
	v_cmpx_eq_u32_e32 0xf4240, v14
	s_cbranch_execz .LBB1_3354
; %bb.3353:                             ;   in Loop: Header=BB1_3352 Depth=2
	s_wait_loadcnt 0x0
	s_wait_storecnt 0x0
	global_load_b32 v0, v2, s[10:11] scope:SCOPE_SYS
	s_wait_loadcnt 0x0
	global_inv scope:SCOPE_SYS
	v_mov_b32_e32 v14, 0
	v_cmp_eq_u32_e64 s0, 0, v0
	s_or_not1_b32 s12, s0, exec_lo
.LBB1_3354:                             ;   in Loop: Header=BB1_3352 Depth=2
	s_wait_xcnt 0x0
	s_or_b32 exec_lo, exec_lo, s13
	s_and_saveexec_b32 s13, s12
	s_cbranch_execz .LBB1_3356
; %bb.3355:                             ;   in Loop: Header=BB1_3352 Depth=2
	s_wait_loadcnt 0x0
	v_cmp_eq_u32_e64 s0, s14, v5
	v_cmp_eq_u32_e64 s1, s14, v7
	s_and_b32 s0, s0, s1
	s_delay_alu instid0(SALU_CYCLE_1)
	s_or_not1_b32 s1, s0, exec_lo
.LBB1_3356:                             ;   in Loop: Header=BB1_3352 Depth=2
	s_or_b32 exec_lo, exec_lo, s13
	s_delay_alu instid0(SALU_CYCLE_1) | instskip(NEXT) | instid1(SALU_CYCLE_1)
	s_and_b32 s0, exec_lo, s1
	s_or_b32 s7, s0, s7
	s_delay_alu instid0(SALU_CYCLE_1)
	s_and_not1_b32 exec_lo, exec_lo, s7
	s_cbranch_execnz .LBB1_3352
; %bb.3357:                             ;   in Loop: Header=BB1_3352 Depth=2
	s_or_b32 exec_lo, exec_lo, s7
	s_wait_loadcnt 0x0
	v_dual_mov_b32 v5, v6 :: v_dual_mov_b32 v14, 0
	s_mov_b32 s7, 0
	s_delay_alu instid0(VALU_DEP_1) | instskip(SKIP_1) | instid1(SALU_CYCLE_1)
	v_cmp_eq_u64_e64 s0, s[14:15], v[4:5]
	s_or_b32 s16, s0, s16
	s_and_not1_b32 exec_lo, exec_lo, s16
	s_cbranch_execnz .LBB1_3352
; %bb.3358:                             ;   in Loop: Header=BB1_1755 Depth=1
	s_or_b32 exec_lo, exec_lo, s16
	s_add_co_i32 s12, s6, 0xe5
	v_lshl_add_u64 v[4:5], s[4:5], 4, v[12:13]
	s_mul_hi_u32 s0, s12, 0x10624dd3
	s_mov_b32 s16, 0
	s_lshr_b32 s4, s0, 6
	s_mov_b32 s17, s14
	s_mulk_i32 s4, 0x3e8
	s_or_b64 s[0:1], s[16:17], s[14:15]
	s_sub_co_i32 s4, s12, s4
	v_dual_mov_b32 v0, s0 :: v_dual_mov_b32 v1, s1
	s_lshl_b32 s0, s4, 12
	s_mov_b32 s1, s5
	v_dual_mov_b32 v3, s14 :: v_dual_mov_b32 v14, 0
	v_add_nc_u64_e32 v[8:9], s[0:1], v[10:11]
	s_lshl_b32 s4, s4, 8
	s_mov_b32 s13, s5
	s_mov_b32 s7, s16
	global_store_b128 v[4:5], v[0:3], off th:TH_STORE_NT
.LBB1_3359:                             ;   Parent Loop BB1_1755 Depth=1
                                        ; =>  This Inner Loop Header: Depth=2
	s_wait_loadcnt 0x0
	global_load_b128 v[4:7], v[8:9], off th:TH_LOAD_NT
	v_add_nc_u32_e32 v14, 1, v14
	s_mov_b32 s1, -1
	s_mov_b32 s14, -1
	s_mov_b32 s15, exec_lo
	s_wait_xcnt 0x0
	v_cmpx_eq_u32_e32 0xf4240, v14
	s_cbranch_execz .LBB1_3361
; %bb.3360:                             ;   in Loop: Header=BB1_3359 Depth=2
	s_wait_loadcnt 0x0
	s_wait_storecnt 0x0
	global_load_b32 v0, v2, s[10:11] scope:SCOPE_SYS
	s_wait_loadcnt 0x0
	global_inv scope:SCOPE_SYS
	v_mov_b32_e32 v14, 0
	v_cmp_eq_u32_e64 s0, 0, v0
	s_or_not1_b32 s14, s0, exec_lo
.LBB1_3361:                             ;   in Loop: Header=BB1_3359 Depth=2
	s_wait_xcnt 0x0
	s_or_b32 exec_lo, exec_lo, s15
	s_and_saveexec_b32 s15, s14
	s_cbranch_execz .LBB1_3363
; %bb.3362:                             ;   in Loop: Header=BB1_3359 Depth=2
	s_wait_loadcnt 0x0
	v_cmp_eq_u32_e64 s0, s12, v5
	v_cmp_eq_u32_e64 s1, s12, v7
	s_and_b32 s0, s0, s1
	s_delay_alu instid0(SALU_CYCLE_1)
	s_or_not1_b32 s1, s0, exec_lo
.LBB1_3363:                             ;   in Loop: Header=BB1_3359 Depth=2
	s_or_b32 exec_lo, exec_lo, s15
	s_delay_alu instid0(SALU_CYCLE_1) | instskip(NEXT) | instid1(SALU_CYCLE_1)
	s_and_b32 s0, exec_lo, s1
	s_or_b32 s7, s0, s7
	s_delay_alu instid0(SALU_CYCLE_1)
	s_and_not1_b32 exec_lo, exec_lo, s7
	s_cbranch_execnz .LBB1_3359
; %bb.3364:                             ;   in Loop: Header=BB1_3359 Depth=2
	s_or_b32 exec_lo, exec_lo, s7
	s_wait_loadcnt 0x0
	v_dual_mov_b32 v5, v6 :: v_dual_mov_b32 v14, 0
	s_mov_b32 s7, 0
	s_delay_alu instid0(VALU_DEP_1) | instskip(SKIP_1) | instid1(SALU_CYCLE_1)
	v_cmp_eq_u64_e64 s0, s[12:13], v[4:5]
	s_or_b32 s16, s0, s16
	s_and_not1_b32 exec_lo, exec_lo, s16
	s_cbranch_execnz .LBB1_3359
; %bb.3365:                             ;   in Loop: Header=BB1_1755 Depth=1
	s_or_b32 exec_lo, exec_lo, s16
	s_add_co_i32 s14, s6, 0xe6
	v_lshl_add_u64 v[4:5], s[4:5], 4, v[12:13]
	s_mul_hi_u32 s0, s14, 0x10624dd3
	s_mov_b32 s16, 0
	s_lshr_b32 s4, s0, 6
	s_mov_b32 s17, s12
	s_mulk_i32 s4, 0x3e8
	s_or_b64 s[0:1], s[16:17], s[12:13]
	s_sub_co_i32 s4, s14, s4
	v_dual_mov_b32 v0, s0 :: v_dual_mov_b32 v1, s1
	s_lshl_b32 s0, s4, 12
	s_mov_b32 s1, s5
	v_dual_mov_b32 v3, s12 :: v_dual_mov_b32 v14, 0
	v_add_nc_u64_e32 v[8:9], s[0:1], v[10:11]
	s_lshl_b32 s4, s4, 8
	s_mov_b32 s15, s5
	s_mov_b32 s7, s16
	global_store_b128 v[4:5], v[0:3], off th:TH_STORE_NT
.LBB1_3366:                             ;   Parent Loop BB1_1755 Depth=1
                                        ; =>  This Inner Loop Header: Depth=2
	s_wait_loadcnt 0x0
	global_load_b128 v[4:7], v[8:9], off th:TH_LOAD_NT
	v_add_nc_u32_e32 v14, 1, v14
	s_mov_b32 s1, -1
	s_mov_b32 s12, -1
	s_mov_b32 s13, exec_lo
	s_wait_xcnt 0x0
	v_cmpx_eq_u32_e32 0xf4240, v14
	s_cbranch_execz .LBB1_3368
; %bb.3367:                             ;   in Loop: Header=BB1_3366 Depth=2
	s_wait_loadcnt 0x0
	s_wait_storecnt 0x0
	global_load_b32 v0, v2, s[10:11] scope:SCOPE_SYS
	s_wait_loadcnt 0x0
	global_inv scope:SCOPE_SYS
	v_mov_b32_e32 v14, 0
	v_cmp_eq_u32_e64 s0, 0, v0
	s_or_not1_b32 s12, s0, exec_lo
.LBB1_3368:                             ;   in Loop: Header=BB1_3366 Depth=2
	s_wait_xcnt 0x0
	s_or_b32 exec_lo, exec_lo, s13
	s_and_saveexec_b32 s13, s12
	s_cbranch_execz .LBB1_3370
; %bb.3369:                             ;   in Loop: Header=BB1_3366 Depth=2
	s_wait_loadcnt 0x0
	v_cmp_eq_u32_e64 s0, s14, v5
	v_cmp_eq_u32_e64 s1, s14, v7
	s_and_b32 s0, s0, s1
	s_delay_alu instid0(SALU_CYCLE_1)
	s_or_not1_b32 s1, s0, exec_lo
.LBB1_3370:                             ;   in Loop: Header=BB1_3366 Depth=2
	s_or_b32 exec_lo, exec_lo, s13
	s_delay_alu instid0(SALU_CYCLE_1) | instskip(NEXT) | instid1(SALU_CYCLE_1)
	s_and_b32 s0, exec_lo, s1
	s_or_b32 s7, s0, s7
	s_delay_alu instid0(SALU_CYCLE_1)
	s_and_not1_b32 exec_lo, exec_lo, s7
	s_cbranch_execnz .LBB1_3366
; %bb.3371:                             ;   in Loop: Header=BB1_3366 Depth=2
	s_or_b32 exec_lo, exec_lo, s7
	s_wait_loadcnt 0x0
	v_dual_mov_b32 v5, v6 :: v_dual_mov_b32 v14, 0
	s_mov_b32 s7, 0
	s_delay_alu instid0(VALU_DEP_1) | instskip(SKIP_1) | instid1(SALU_CYCLE_1)
	v_cmp_eq_u64_e64 s0, s[14:15], v[4:5]
	s_or_b32 s16, s0, s16
	s_and_not1_b32 exec_lo, exec_lo, s16
	s_cbranch_execnz .LBB1_3366
; %bb.3372:                             ;   in Loop: Header=BB1_1755 Depth=1
	s_or_b32 exec_lo, exec_lo, s16
	s_add_co_i32 s12, s6, 0xe7
	v_lshl_add_u64 v[4:5], s[4:5], 4, v[12:13]
	s_mul_hi_u32 s0, s12, 0x10624dd3
	s_mov_b32 s16, 0
	s_lshr_b32 s4, s0, 6
	s_mov_b32 s17, s14
	s_mulk_i32 s4, 0x3e8
	s_or_b64 s[0:1], s[16:17], s[14:15]
	s_sub_co_i32 s4, s12, s4
	v_dual_mov_b32 v0, s0 :: v_dual_mov_b32 v1, s1
	s_lshl_b32 s0, s4, 12
	s_mov_b32 s1, s5
	v_dual_mov_b32 v3, s14 :: v_dual_mov_b32 v14, 0
	v_add_nc_u64_e32 v[8:9], s[0:1], v[10:11]
	s_lshl_b32 s4, s4, 8
	s_mov_b32 s13, s5
	s_mov_b32 s7, s16
	global_store_b128 v[4:5], v[0:3], off th:TH_STORE_NT
.LBB1_3373:                             ;   Parent Loop BB1_1755 Depth=1
                                        ; =>  This Inner Loop Header: Depth=2
	s_wait_loadcnt 0x0
	global_load_b128 v[4:7], v[8:9], off th:TH_LOAD_NT
	v_add_nc_u32_e32 v14, 1, v14
	s_mov_b32 s1, -1
	s_mov_b32 s14, -1
	s_mov_b32 s15, exec_lo
	s_wait_xcnt 0x0
	v_cmpx_eq_u32_e32 0xf4240, v14
	s_cbranch_execz .LBB1_3375
; %bb.3374:                             ;   in Loop: Header=BB1_3373 Depth=2
	s_wait_loadcnt 0x0
	s_wait_storecnt 0x0
	global_load_b32 v0, v2, s[10:11] scope:SCOPE_SYS
	s_wait_loadcnt 0x0
	global_inv scope:SCOPE_SYS
	v_mov_b32_e32 v14, 0
	v_cmp_eq_u32_e64 s0, 0, v0
	s_or_not1_b32 s14, s0, exec_lo
.LBB1_3375:                             ;   in Loop: Header=BB1_3373 Depth=2
	s_wait_xcnt 0x0
	s_or_b32 exec_lo, exec_lo, s15
	s_and_saveexec_b32 s15, s14
	s_cbranch_execz .LBB1_3377
; %bb.3376:                             ;   in Loop: Header=BB1_3373 Depth=2
	s_wait_loadcnt 0x0
	v_cmp_eq_u32_e64 s0, s12, v5
	v_cmp_eq_u32_e64 s1, s12, v7
	s_and_b32 s0, s0, s1
	s_delay_alu instid0(SALU_CYCLE_1)
	s_or_not1_b32 s1, s0, exec_lo
.LBB1_3377:                             ;   in Loop: Header=BB1_3373 Depth=2
	s_or_b32 exec_lo, exec_lo, s15
	s_delay_alu instid0(SALU_CYCLE_1) | instskip(NEXT) | instid1(SALU_CYCLE_1)
	s_and_b32 s0, exec_lo, s1
	s_or_b32 s7, s0, s7
	s_delay_alu instid0(SALU_CYCLE_1)
	s_and_not1_b32 exec_lo, exec_lo, s7
	s_cbranch_execnz .LBB1_3373
; %bb.3378:                             ;   in Loop: Header=BB1_3373 Depth=2
	s_or_b32 exec_lo, exec_lo, s7
	s_wait_loadcnt 0x0
	v_dual_mov_b32 v5, v6 :: v_dual_mov_b32 v14, 0
	s_mov_b32 s7, 0
	s_delay_alu instid0(VALU_DEP_1) | instskip(SKIP_1) | instid1(SALU_CYCLE_1)
	v_cmp_eq_u64_e64 s0, s[12:13], v[4:5]
	s_or_b32 s16, s0, s16
	s_and_not1_b32 exec_lo, exec_lo, s16
	s_cbranch_execnz .LBB1_3373
; %bb.3379:                             ;   in Loop: Header=BB1_1755 Depth=1
	s_or_b32 exec_lo, exec_lo, s16
	s_add_co_i32 s14, s6, 0xe8
	v_lshl_add_u64 v[4:5], s[4:5], 4, v[12:13]
	s_mul_hi_u32 s0, s14, 0x10624dd3
	s_mov_b32 s16, 0
	s_lshr_b32 s4, s0, 6
	s_mov_b32 s17, s12
	s_mulk_i32 s4, 0x3e8
	s_or_b64 s[0:1], s[16:17], s[12:13]
	s_sub_co_i32 s4, s14, s4
	v_dual_mov_b32 v0, s0 :: v_dual_mov_b32 v1, s1
	s_lshl_b32 s0, s4, 12
	s_mov_b32 s1, s5
	v_dual_mov_b32 v3, s12 :: v_dual_mov_b32 v14, 0
	v_add_nc_u64_e32 v[8:9], s[0:1], v[10:11]
	s_lshl_b32 s4, s4, 8
	s_mov_b32 s15, s5
	s_mov_b32 s7, s16
	global_store_b128 v[4:5], v[0:3], off th:TH_STORE_NT
.LBB1_3380:                             ;   Parent Loop BB1_1755 Depth=1
                                        ; =>  This Inner Loop Header: Depth=2
	s_wait_loadcnt 0x0
	global_load_b128 v[4:7], v[8:9], off th:TH_LOAD_NT
	v_add_nc_u32_e32 v14, 1, v14
	s_mov_b32 s1, -1
	s_mov_b32 s12, -1
	s_mov_b32 s13, exec_lo
	s_wait_xcnt 0x0
	v_cmpx_eq_u32_e32 0xf4240, v14
	s_cbranch_execz .LBB1_3382
; %bb.3381:                             ;   in Loop: Header=BB1_3380 Depth=2
	s_wait_loadcnt 0x0
	s_wait_storecnt 0x0
	global_load_b32 v0, v2, s[10:11] scope:SCOPE_SYS
	s_wait_loadcnt 0x0
	global_inv scope:SCOPE_SYS
	v_mov_b32_e32 v14, 0
	v_cmp_eq_u32_e64 s0, 0, v0
	s_or_not1_b32 s12, s0, exec_lo
.LBB1_3382:                             ;   in Loop: Header=BB1_3380 Depth=2
	s_wait_xcnt 0x0
	s_or_b32 exec_lo, exec_lo, s13
	s_and_saveexec_b32 s13, s12
	s_cbranch_execz .LBB1_3384
; %bb.3383:                             ;   in Loop: Header=BB1_3380 Depth=2
	s_wait_loadcnt 0x0
	v_cmp_eq_u32_e64 s0, s14, v5
	v_cmp_eq_u32_e64 s1, s14, v7
	s_and_b32 s0, s0, s1
	s_delay_alu instid0(SALU_CYCLE_1)
	s_or_not1_b32 s1, s0, exec_lo
.LBB1_3384:                             ;   in Loop: Header=BB1_3380 Depth=2
	s_or_b32 exec_lo, exec_lo, s13
	s_delay_alu instid0(SALU_CYCLE_1) | instskip(NEXT) | instid1(SALU_CYCLE_1)
	s_and_b32 s0, exec_lo, s1
	s_or_b32 s7, s0, s7
	s_delay_alu instid0(SALU_CYCLE_1)
	s_and_not1_b32 exec_lo, exec_lo, s7
	s_cbranch_execnz .LBB1_3380
; %bb.3385:                             ;   in Loop: Header=BB1_3380 Depth=2
	s_or_b32 exec_lo, exec_lo, s7
	s_wait_loadcnt 0x0
	v_dual_mov_b32 v5, v6 :: v_dual_mov_b32 v14, 0
	s_mov_b32 s7, 0
	s_delay_alu instid0(VALU_DEP_1) | instskip(SKIP_1) | instid1(SALU_CYCLE_1)
	v_cmp_eq_u64_e64 s0, s[14:15], v[4:5]
	s_or_b32 s16, s0, s16
	s_and_not1_b32 exec_lo, exec_lo, s16
	s_cbranch_execnz .LBB1_3380
; %bb.3386:                             ;   in Loop: Header=BB1_1755 Depth=1
	s_or_b32 exec_lo, exec_lo, s16
	s_add_co_i32 s12, s6, 0xe9
	v_lshl_add_u64 v[4:5], s[4:5], 4, v[12:13]
	s_mul_hi_u32 s0, s12, 0x10624dd3
	s_mov_b32 s16, 0
	s_lshr_b32 s4, s0, 6
	s_mov_b32 s17, s14
	s_mulk_i32 s4, 0x3e8
	s_or_b64 s[0:1], s[16:17], s[14:15]
	s_sub_co_i32 s4, s12, s4
	v_dual_mov_b32 v0, s0 :: v_dual_mov_b32 v1, s1
	s_lshl_b32 s0, s4, 12
	s_mov_b32 s1, s5
	v_dual_mov_b32 v3, s14 :: v_dual_mov_b32 v14, 0
	v_add_nc_u64_e32 v[8:9], s[0:1], v[10:11]
	s_lshl_b32 s4, s4, 8
	s_mov_b32 s13, s5
	s_mov_b32 s7, s16
	global_store_b128 v[4:5], v[0:3], off th:TH_STORE_NT
.LBB1_3387:                             ;   Parent Loop BB1_1755 Depth=1
                                        ; =>  This Inner Loop Header: Depth=2
	s_wait_loadcnt 0x0
	global_load_b128 v[4:7], v[8:9], off th:TH_LOAD_NT
	v_add_nc_u32_e32 v14, 1, v14
	s_mov_b32 s1, -1
	s_mov_b32 s14, -1
	s_mov_b32 s15, exec_lo
	s_wait_xcnt 0x0
	v_cmpx_eq_u32_e32 0xf4240, v14
	s_cbranch_execz .LBB1_3389
; %bb.3388:                             ;   in Loop: Header=BB1_3387 Depth=2
	s_wait_loadcnt 0x0
	s_wait_storecnt 0x0
	global_load_b32 v0, v2, s[10:11] scope:SCOPE_SYS
	s_wait_loadcnt 0x0
	global_inv scope:SCOPE_SYS
	v_mov_b32_e32 v14, 0
	v_cmp_eq_u32_e64 s0, 0, v0
	s_or_not1_b32 s14, s0, exec_lo
.LBB1_3389:                             ;   in Loop: Header=BB1_3387 Depth=2
	s_wait_xcnt 0x0
	s_or_b32 exec_lo, exec_lo, s15
	s_and_saveexec_b32 s15, s14
	s_cbranch_execz .LBB1_3391
; %bb.3390:                             ;   in Loop: Header=BB1_3387 Depth=2
	s_wait_loadcnt 0x0
	v_cmp_eq_u32_e64 s0, s12, v5
	v_cmp_eq_u32_e64 s1, s12, v7
	s_and_b32 s0, s0, s1
	s_delay_alu instid0(SALU_CYCLE_1)
	s_or_not1_b32 s1, s0, exec_lo
.LBB1_3391:                             ;   in Loop: Header=BB1_3387 Depth=2
	s_or_b32 exec_lo, exec_lo, s15
	s_delay_alu instid0(SALU_CYCLE_1) | instskip(NEXT) | instid1(SALU_CYCLE_1)
	s_and_b32 s0, exec_lo, s1
	s_or_b32 s7, s0, s7
	s_delay_alu instid0(SALU_CYCLE_1)
	s_and_not1_b32 exec_lo, exec_lo, s7
	s_cbranch_execnz .LBB1_3387
; %bb.3392:                             ;   in Loop: Header=BB1_3387 Depth=2
	s_or_b32 exec_lo, exec_lo, s7
	s_wait_loadcnt 0x0
	v_dual_mov_b32 v5, v6 :: v_dual_mov_b32 v14, 0
	s_mov_b32 s7, 0
	s_delay_alu instid0(VALU_DEP_1) | instskip(SKIP_1) | instid1(SALU_CYCLE_1)
	v_cmp_eq_u64_e64 s0, s[12:13], v[4:5]
	s_or_b32 s16, s0, s16
	s_and_not1_b32 exec_lo, exec_lo, s16
	s_cbranch_execnz .LBB1_3387
; %bb.3393:                             ;   in Loop: Header=BB1_1755 Depth=1
	s_or_b32 exec_lo, exec_lo, s16
	s_add_co_i32 s14, s6, 0xea
	v_lshl_add_u64 v[4:5], s[4:5], 4, v[12:13]
	s_mul_hi_u32 s0, s14, 0x10624dd3
	s_mov_b32 s16, 0
	s_lshr_b32 s4, s0, 6
	s_mov_b32 s17, s12
	s_mulk_i32 s4, 0x3e8
	s_or_b64 s[0:1], s[16:17], s[12:13]
	s_sub_co_i32 s4, s14, s4
	v_dual_mov_b32 v0, s0 :: v_dual_mov_b32 v1, s1
	s_lshl_b32 s0, s4, 12
	s_mov_b32 s1, s5
	v_dual_mov_b32 v3, s12 :: v_dual_mov_b32 v14, 0
	v_add_nc_u64_e32 v[8:9], s[0:1], v[10:11]
	s_lshl_b32 s4, s4, 8
	s_mov_b32 s15, s5
	s_mov_b32 s7, s16
	global_store_b128 v[4:5], v[0:3], off th:TH_STORE_NT
.LBB1_3394:                             ;   Parent Loop BB1_1755 Depth=1
                                        ; =>  This Inner Loop Header: Depth=2
	s_wait_loadcnt 0x0
	global_load_b128 v[4:7], v[8:9], off th:TH_LOAD_NT
	v_add_nc_u32_e32 v14, 1, v14
	s_mov_b32 s1, -1
	s_mov_b32 s12, -1
	s_mov_b32 s13, exec_lo
	s_wait_xcnt 0x0
	v_cmpx_eq_u32_e32 0xf4240, v14
	s_cbranch_execz .LBB1_3396
; %bb.3395:                             ;   in Loop: Header=BB1_3394 Depth=2
	s_wait_loadcnt 0x0
	s_wait_storecnt 0x0
	global_load_b32 v0, v2, s[10:11] scope:SCOPE_SYS
	s_wait_loadcnt 0x0
	global_inv scope:SCOPE_SYS
	v_mov_b32_e32 v14, 0
	v_cmp_eq_u32_e64 s0, 0, v0
	s_or_not1_b32 s12, s0, exec_lo
.LBB1_3396:                             ;   in Loop: Header=BB1_3394 Depth=2
	s_wait_xcnt 0x0
	s_or_b32 exec_lo, exec_lo, s13
	s_and_saveexec_b32 s13, s12
	s_cbranch_execz .LBB1_3398
; %bb.3397:                             ;   in Loop: Header=BB1_3394 Depth=2
	s_wait_loadcnt 0x0
	v_cmp_eq_u32_e64 s0, s14, v5
	v_cmp_eq_u32_e64 s1, s14, v7
	s_and_b32 s0, s0, s1
	s_delay_alu instid0(SALU_CYCLE_1)
	s_or_not1_b32 s1, s0, exec_lo
.LBB1_3398:                             ;   in Loop: Header=BB1_3394 Depth=2
	s_or_b32 exec_lo, exec_lo, s13
	s_delay_alu instid0(SALU_CYCLE_1) | instskip(NEXT) | instid1(SALU_CYCLE_1)
	s_and_b32 s0, exec_lo, s1
	s_or_b32 s7, s0, s7
	s_delay_alu instid0(SALU_CYCLE_1)
	s_and_not1_b32 exec_lo, exec_lo, s7
	s_cbranch_execnz .LBB1_3394
; %bb.3399:                             ;   in Loop: Header=BB1_3394 Depth=2
	s_or_b32 exec_lo, exec_lo, s7
	s_wait_loadcnt 0x0
	v_dual_mov_b32 v5, v6 :: v_dual_mov_b32 v14, 0
	s_mov_b32 s7, 0
	s_delay_alu instid0(VALU_DEP_1) | instskip(SKIP_1) | instid1(SALU_CYCLE_1)
	v_cmp_eq_u64_e64 s0, s[14:15], v[4:5]
	s_or_b32 s16, s0, s16
	s_and_not1_b32 exec_lo, exec_lo, s16
	s_cbranch_execnz .LBB1_3394
; %bb.3400:                             ;   in Loop: Header=BB1_1755 Depth=1
	s_or_b32 exec_lo, exec_lo, s16
	s_add_co_i32 s12, s6, 0xeb
	v_lshl_add_u64 v[4:5], s[4:5], 4, v[12:13]
	s_mul_hi_u32 s0, s12, 0x10624dd3
	s_mov_b32 s16, 0
	s_lshr_b32 s4, s0, 6
	s_mov_b32 s17, s14
	s_mulk_i32 s4, 0x3e8
	s_or_b64 s[0:1], s[16:17], s[14:15]
	s_sub_co_i32 s4, s12, s4
	v_dual_mov_b32 v0, s0 :: v_dual_mov_b32 v1, s1
	s_lshl_b32 s0, s4, 12
	s_mov_b32 s1, s5
	v_dual_mov_b32 v3, s14 :: v_dual_mov_b32 v14, 0
	v_add_nc_u64_e32 v[8:9], s[0:1], v[10:11]
	s_lshl_b32 s4, s4, 8
	s_mov_b32 s13, s5
	s_mov_b32 s7, s16
	global_store_b128 v[4:5], v[0:3], off th:TH_STORE_NT
.LBB1_3401:                             ;   Parent Loop BB1_1755 Depth=1
                                        ; =>  This Inner Loop Header: Depth=2
	s_wait_loadcnt 0x0
	global_load_b128 v[4:7], v[8:9], off th:TH_LOAD_NT
	v_add_nc_u32_e32 v14, 1, v14
	s_mov_b32 s1, -1
	s_mov_b32 s14, -1
	s_mov_b32 s15, exec_lo
	s_wait_xcnt 0x0
	v_cmpx_eq_u32_e32 0xf4240, v14
	s_cbranch_execz .LBB1_3403
; %bb.3402:                             ;   in Loop: Header=BB1_3401 Depth=2
	s_wait_loadcnt 0x0
	s_wait_storecnt 0x0
	global_load_b32 v0, v2, s[10:11] scope:SCOPE_SYS
	s_wait_loadcnt 0x0
	global_inv scope:SCOPE_SYS
	v_mov_b32_e32 v14, 0
	v_cmp_eq_u32_e64 s0, 0, v0
	s_or_not1_b32 s14, s0, exec_lo
.LBB1_3403:                             ;   in Loop: Header=BB1_3401 Depth=2
	s_wait_xcnt 0x0
	s_or_b32 exec_lo, exec_lo, s15
	s_and_saveexec_b32 s15, s14
	s_cbranch_execz .LBB1_3405
; %bb.3404:                             ;   in Loop: Header=BB1_3401 Depth=2
	s_wait_loadcnt 0x0
	v_cmp_eq_u32_e64 s0, s12, v5
	v_cmp_eq_u32_e64 s1, s12, v7
	s_and_b32 s0, s0, s1
	s_delay_alu instid0(SALU_CYCLE_1)
	s_or_not1_b32 s1, s0, exec_lo
.LBB1_3405:                             ;   in Loop: Header=BB1_3401 Depth=2
	s_or_b32 exec_lo, exec_lo, s15
	s_delay_alu instid0(SALU_CYCLE_1) | instskip(NEXT) | instid1(SALU_CYCLE_1)
	s_and_b32 s0, exec_lo, s1
	s_or_b32 s7, s0, s7
	s_delay_alu instid0(SALU_CYCLE_1)
	s_and_not1_b32 exec_lo, exec_lo, s7
	s_cbranch_execnz .LBB1_3401
; %bb.3406:                             ;   in Loop: Header=BB1_3401 Depth=2
	s_or_b32 exec_lo, exec_lo, s7
	s_wait_loadcnt 0x0
	v_dual_mov_b32 v5, v6 :: v_dual_mov_b32 v14, 0
	s_mov_b32 s7, 0
	s_delay_alu instid0(VALU_DEP_1) | instskip(SKIP_1) | instid1(SALU_CYCLE_1)
	v_cmp_eq_u64_e64 s0, s[12:13], v[4:5]
	s_or_b32 s16, s0, s16
	s_and_not1_b32 exec_lo, exec_lo, s16
	s_cbranch_execnz .LBB1_3401
; %bb.3407:                             ;   in Loop: Header=BB1_1755 Depth=1
	s_or_b32 exec_lo, exec_lo, s16
	s_add_co_i32 s14, s6, 0xec
	v_lshl_add_u64 v[4:5], s[4:5], 4, v[12:13]
	s_mul_hi_u32 s0, s14, 0x10624dd3
	s_mov_b32 s16, 0
	s_lshr_b32 s4, s0, 6
	s_mov_b32 s17, s12
	s_mulk_i32 s4, 0x3e8
	s_or_b64 s[0:1], s[16:17], s[12:13]
	s_sub_co_i32 s4, s14, s4
	v_dual_mov_b32 v0, s0 :: v_dual_mov_b32 v1, s1
	s_lshl_b32 s0, s4, 12
	s_mov_b32 s1, s5
	v_dual_mov_b32 v3, s12 :: v_dual_mov_b32 v14, 0
	v_add_nc_u64_e32 v[8:9], s[0:1], v[10:11]
	s_lshl_b32 s4, s4, 8
	s_mov_b32 s15, s5
	s_mov_b32 s7, s16
	global_store_b128 v[4:5], v[0:3], off th:TH_STORE_NT
.LBB1_3408:                             ;   Parent Loop BB1_1755 Depth=1
                                        ; =>  This Inner Loop Header: Depth=2
	s_wait_loadcnt 0x0
	global_load_b128 v[4:7], v[8:9], off th:TH_LOAD_NT
	v_add_nc_u32_e32 v14, 1, v14
	s_mov_b32 s1, -1
	s_mov_b32 s12, -1
	s_mov_b32 s13, exec_lo
	s_wait_xcnt 0x0
	v_cmpx_eq_u32_e32 0xf4240, v14
	s_cbranch_execz .LBB1_3410
; %bb.3409:                             ;   in Loop: Header=BB1_3408 Depth=2
	s_wait_loadcnt 0x0
	s_wait_storecnt 0x0
	global_load_b32 v0, v2, s[10:11] scope:SCOPE_SYS
	s_wait_loadcnt 0x0
	global_inv scope:SCOPE_SYS
	v_mov_b32_e32 v14, 0
	v_cmp_eq_u32_e64 s0, 0, v0
	s_or_not1_b32 s12, s0, exec_lo
.LBB1_3410:                             ;   in Loop: Header=BB1_3408 Depth=2
	s_wait_xcnt 0x0
	s_or_b32 exec_lo, exec_lo, s13
	s_and_saveexec_b32 s13, s12
	s_cbranch_execz .LBB1_3412
; %bb.3411:                             ;   in Loop: Header=BB1_3408 Depth=2
	s_wait_loadcnt 0x0
	v_cmp_eq_u32_e64 s0, s14, v5
	v_cmp_eq_u32_e64 s1, s14, v7
	s_and_b32 s0, s0, s1
	s_delay_alu instid0(SALU_CYCLE_1)
	s_or_not1_b32 s1, s0, exec_lo
.LBB1_3412:                             ;   in Loop: Header=BB1_3408 Depth=2
	s_or_b32 exec_lo, exec_lo, s13
	s_delay_alu instid0(SALU_CYCLE_1) | instskip(NEXT) | instid1(SALU_CYCLE_1)
	s_and_b32 s0, exec_lo, s1
	s_or_b32 s7, s0, s7
	s_delay_alu instid0(SALU_CYCLE_1)
	s_and_not1_b32 exec_lo, exec_lo, s7
	s_cbranch_execnz .LBB1_3408
; %bb.3413:                             ;   in Loop: Header=BB1_3408 Depth=2
	s_or_b32 exec_lo, exec_lo, s7
	s_wait_loadcnt 0x0
	v_dual_mov_b32 v5, v6 :: v_dual_mov_b32 v14, 0
	s_mov_b32 s7, 0
	s_delay_alu instid0(VALU_DEP_1) | instskip(SKIP_1) | instid1(SALU_CYCLE_1)
	v_cmp_eq_u64_e64 s0, s[14:15], v[4:5]
	s_or_b32 s16, s0, s16
	s_and_not1_b32 exec_lo, exec_lo, s16
	s_cbranch_execnz .LBB1_3408
; %bb.3414:                             ;   in Loop: Header=BB1_1755 Depth=1
	s_or_b32 exec_lo, exec_lo, s16
	s_add_co_i32 s12, s6, 0xed
	v_lshl_add_u64 v[4:5], s[4:5], 4, v[12:13]
	s_mul_hi_u32 s0, s12, 0x10624dd3
	s_mov_b32 s16, 0
	s_lshr_b32 s4, s0, 6
	s_mov_b32 s17, s14
	s_mulk_i32 s4, 0x3e8
	s_or_b64 s[0:1], s[16:17], s[14:15]
	s_sub_co_i32 s4, s12, s4
	v_dual_mov_b32 v0, s0 :: v_dual_mov_b32 v1, s1
	s_lshl_b32 s0, s4, 12
	s_mov_b32 s1, s5
	v_dual_mov_b32 v3, s14 :: v_dual_mov_b32 v14, 0
	v_add_nc_u64_e32 v[8:9], s[0:1], v[10:11]
	s_lshl_b32 s4, s4, 8
	s_mov_b32 s13, s5
	s_mov_b32 s7, s16
	global_store_b128 v[4:5], v[0:3], off th:TH_STORE_NT
.LBB1_3415:                             ;   Parent Loop BB1_1755 Depth=1
                                        ; =>  This Inner Loop Header: Depth=2
	s_wait_loadcnt 0x0
	global_load_b128 v[4:7], v[8:9], off th:TH_LOAD_NT
	v_add_nc_u32_e32 v14, 1, v14
	s_mov_b32 s1, -1
	s_mov_b32 s14, -1
	s_mov_b32 s15, exec_lo
	s_wait_xcnt 0x0
	v_cmpx_eq_u32_e32 0xf4240, v14
	s_cbranch_execz .LBB1_3417
; %bb.3416:                             ;   in Loop: Header=BB1_3415 Depth=2
	s_wait_loadcnt 0x0
	s_wait_storecnt 0x0
	global_load_b32 v0, v2, s[10:11] scope:SCOPE_SYS
	s_wait_loadcnt 0x0
	global_inv scope:SCOPE_SYS
	v_mov_b32_e32 v14, 0
	v_cmp_eq_u32_e64 s0, 0, v0
	s_or_not1_b32 s14, s0, exec_lo
.LBB1_3417:                             ;   in Loop: Header=BB1_3415 Depth=2
	s_wait_xcnt 0x0
	s_or_b32 exec_lo, exec_lo, s15
	s_and_saveexec_b32 s15, s14
	s_cbranch_execz .LBB1_3419
; %bb.3418:                             ;   in Loop: Header=BB1_3415 Depth=2
	s_wait_loadcnt 0x0
	v_cmp_eq_u32_e64 s0, s12, v5
	v_cmp_eq_u32_e64 s1, s12, v7
	s_and_b32 s0, s0, s1
	s_delay_alu instid0(SALU_CYCLE_1)
	s_or_not1_b32 s1, s0, exec_lo
.LBB1_3419:                             ;   in Loop: Header=BB1_3415 Depth=2
	s_or_b32 exec_lo, exec_lo, s15
	s_delay_alu instid0(SALU_CYCLE_1) | instskip(NEXT) | instid1(SALU_CYCLE_1)
	s_and_b32 s0, exec_lo, s1
	s_or_b32 s7, s0, s7
	s_delay_alu instid0(SALU_CYCLE_1)
	s_and_not1_b32 exec_lo, exec_lo, s7
	s_cbranch_execnz .LBB1_3415
; %bb.3420:                             ;   in Loop: Header=BB1_3415 Depth=2
	s_or_b32 exec_lo, exec_lo, s7
	s_wait_loadcnt 0x0
	v_dual_mov_b32 v5, v6 :: v_dual_mov_b32 v14, 0
	s_mov_b32 s7, 0
	s_delay_alu instid0(VALU_DEP_1) | instskip(SKIP_1) | instid1(SALU_CYCLE_1)
	v_cmp_eq_u64_e64 s0, s[12:13], v[4:5]
	s_or_b32 s16, s0, s16
	s_and_not1_b32 exec_lo, exec_lo, s16
	s_cbranch_execnz .LBB1_3415
; %bb.3421:                             ;   in Loop: Header=BB1_1755 Depth=1
	s_or_b32 exec_lo, exec_lo, s16
	s_add_co_i32 s14, s6, 0xee
	v_lshl_add_u64 v[4:5], s[4:5], 4, v[12:13]
	s_mul_hi_u32 s0, s14, 0x10624dd3
	s_mov_b32 s16, 0
	s_lshr_b32 s4, s0, 6
	s_mov_b32 s17, s12
	s_mulk_i32 s4, 0x3e8
	s_or_b64 s[0:1], s[16:17], s[12:13]
	s_sub_co_i32 s4, s14, s4
	v_dual_mov_b32 v0, s0 :: v_dual_mov_b32 v1, s1
	s_lshl_b32 s0, s4, 12
	s_mov_b32 s1, s5
	v_dual_mov_b32 v3, s12 :: v_dual_mov_b32 v14, 0
	v_add_nc_u64_e32 v[8:9], s[0:1], v[10:11]
	s_lshl_b32 s4, s4, 8
	s_mov_b32 s15, s5
	s_mov_b32 s7, s16
	global_store_b128 v[4:5], v[0:3], off th:TH_STORE_NT
.LBB1_3422:                             ;   Parent Loop BB1_1755 Depth=1
                                        ; =>  This Inner Loop Header: Depth=2
	s_wait_loadcnt 0x0
	global_load_b128 v[4:7], v[8:9], off th:TH_LOAD_NT
	v_add_nc_u32_e32 v14, 1, v14
	s_mov_b32 s1, -1
	s_mov_b32 s12, -1
	s_mov_b32 s13, exec_lo
	s_wait_xcnt 0x0
	v_cmpx_eq_u32_e32 0xf4240, v14
	s_cbranch_execz .LBB1_3424
; %bb.3423:                             ;   in Loop: Header=BB1_3422 Depth=2
	s_wait_loadcnt 0x0
	s_wait_storecnt 0x0
	global_load_b32 v0, v2, s[10:11] scope:SCOPE_SYS
	s_wait_loadcnt 0x0
	global_inv scope:SCOPE_SYS
	v_mov_b32_e32 v14, 0
	v_cmp_eq_u32_e64 s0, 0, v0
	s_or_not1_b32 s12, s0, exec_lo
.LBB1_3424:                             ;   in Loop: Header=BB1_3422 Depth=2
	s_wait_xcnt 0x0
	s_or_b32 exec_lo, exec_lo, s13
	s_and_saveexec_b32 s13, s12
	s_cbranch_execz .LBB1_3426
; %bb.3425:                             ;   in Loop: Header=BB1_3422 Depth=2
	s_wait_loadcnt 0x0
	v_cmp_eq_u32_e64 s0, s14, v5
	v_cmp_eq_u32_e64 s1, s14, v7
	s_and_b32 s0, s0, s1
	s_delay_alu instid0(SALU_CYCLE_1)
	s_or_not1_b32 s1, s0, exec_lo
.LBB1_3426:                             ;   in Loop: Header=BB1_3422 Depth=2
	s_or_b32 exec_lo, exec_lo, s13
	s_delay_alu instid0(SALU_CYCLE_1) | instskip(NEXT) | instid1(SALU_CYCLE_1)
	s_and_b32 s0, exec_lo, s1
	s_or_b32 s7, s0, s7
	s_delay_alu instid0(SALU_CYCLE_1)
	s_and_not1_b32 exec_lo, exec_lo, s7
	s_cbranch_execnz .LBB1_3422
; %bb.3427:                             ;   in Loop: Header=BB1_3422 Depth=2
	s_or_b32 exec_lo, exec_lo, s7
	s_wait_loadcnt 0x0
	v_dual_mov_b32 v5, v6 :: v_dual_mov_b32 v14, 0
	s_mov_b32 s7, 0
	s_delay_alu instid0(VALU_DEP_1) | instskip(SKIP_1) | instid1(SALU_CYCLE_1)
	v_cmp_eq_u64_e64 s0, s[14:15], v[4:5]
	s_or_b32 s16, s0, s16
	s_and_not1_b32 exec_lo, exec_lo, s16
	s_cbranch_execnz .LBB1_3422
; %bb.3428:                             ;   in Loop: Header=BB1_1755 Depth=1
	s_or_b32 exec_lo, exec_lo, s16
	s_add_co_i32 s12, s6, 0xef
	v_lshl_add_u64 v[4:5], s[4:5], 4, v[12:13]
	s_mul_hi_u32 s0, s12, 0x10624dd3
	s_mov_b32 s16, 0
	s_lshr_b32 s4, s0, 6
	s_mov_b32 s17, s14
	s_mulk_i32 s4, 0x3e8
	s_or_b64 s[0:1], s[16:17], s[14:15]
	s_sub_co_i32 s4, s12, s4
	v_dual_mov_b32 v0, s0 :: v_dual_mov_b32 v1, s1
	s_lshl_b32 s0, s4, 12
	s_mov_b32 s1, s5
	v_dual_mov_b32 v3, s14 :: v_dual_mov_b32 v14, 0
	v_add_nc_u64_e32 v[8:9], s[0:1], v[10:11]
	s_lshl_b32 s4, s4, 8
	s_mov_b32 s13, s5
	s_mov_b32 s7, s16
	global_store_b128 v[4:5], v[0:3], off th:TH_STORE_NT
.LBB1_3429:                             ;   Parent Loop BB1_1755 Depth=1
                                        ; =>  This Inner Loop Header: Depth=2
	s_wait_loadcnt 0x0
	global_load_b128 v[4:7], v[8:9], off th:TH_LOAD_NT
	v_add_nc_u32_e32 v14, 1, v14
	s_mov_b32 s1, -1
	s_mov_b32 s14, -1
	s_mov_b32 s15, exec_lo
	s_wait_xcnt 0x0
	v_cmpx_eq_u32_e32 0xf4240, v14
	s_cbranch_execz .LBB1_3431
; %bb.3430:                             ;   in Loop: Header=BB1_3429 Depth=2
	s_wait_loadcnt 0x0
	s_wait_storecnt 0x0
	global_load_b32 v0, v2, s[10:11] scope:SCOPE_SYS
	s_wait_loadcnt 0x0
	global_inv scope:SCOPE_SYS
	v_mov_b32_e32 v14, 0
	v_cmp_eq_u32_e64 s0, 0, v0
	s_or_not1_b32 s14, s0, exec_lo
.LBB1_3431:                             ;   in Loop: Header=BB1_3429 Depth=2
	s_wait_xcnt 0x0
	s_or_b32 exec_lo, exec_lo, s15
	s_and_saveexec_b32 s15, s14
	s_cbranch_execz .LBB1_3433
; %bb.3432:                             ;   in Loop: Header=BB1_3429 Depth=2
	s_wait_loadcnt 0x0
	v_cmp_eq_u32_e64 s0, s12, v5
	v_cmp_eq_u32_e64 s1, s12, v7
	s_and_b32 s0, s0, s1
	s_delay_alu instid0(SALU_CYCLE_1)
	s_or_not1_b32 s1, s0, exec_lo
.LBB1_3433:                             ;   in Loop: Header=BB1_3429 Depth=2
	s_or_b32 exec_lo, exec_lo, s15
	s_delay_alu instid0(SALU_CYCLE_1) | instskip(NEXT) | instid1(SALU_CYCLE_1)
	s_and_b32 s0, exec_lo, s1
	s_or_b32 s7, s0, s7
	s_delay_alu instid0(SALU_CYCLE_1)
	s_and_not1_b32 exec_lo, exec_lo, s7
	s_cbranch_execnz .LBB1_3429
; %bb.3434:                             ;   in Loop: Header=BB1_3429 Depth=2
	s_or_b32 exec_lo, exec_lo, s7
	s_wait_loadcnt 0x0
	v_dual_mov_b32 v5, v6 :: v_dual_mov_b32 v14, 0
	s_mov_b32 s7, 0
	s_delay_alu instid0(VALU_DEP_1) | instskip(SKIP_1) | instid1(SALU_CYCLE_1)
	v_cmp_eq_u64_e64 s0, s[12:13], v[4:5]
	s_or_b32 s16, s0, s16
	s_and_not1_b32 exec_lo, exec_lo, s16
	s_cbranch_execnz .LBB1_3429
; %bb.3435:                             ;   in Loop: Header=BB1_1755 Depth=1
	s_or_b32 exec_lo, exec_lo, s16
	s_add_co_i32 s14, s6, 0xf0
	v_lshl_add_u64 v[4:5], s[4:5], 4, v[12:13]
	s_mul_hi_u32 s0, s14, 0x10624dd3
	s_mov_b32 s16, 0
	s_lshr_b32 s4, s0, 6
	s_mov_b32 s17, s12
	s_mulk_i32 s4, 0x3e8
	s_or_b64 s[0:1], s[16:17], s[12:13]
	s_sub_co_i32 s4, s14, s4
	v_dual_mov_b32 v0, s0 :: v_dual_mov_b32 v1, s1
	s_lshl_b32 s0, s4, 12
	s_mov_b32 s1, s5
	v_dual_mov_b32 v3, s12 :: v_dual_mov_b32 v14, 0
	v_add_nc_u64_e32 v[8:9], s[0:1], v[10:11]
	s_lshl_b32 s4, s4, 8
	s_mov_b32 s15, s5
	s_mov_b32 s7, s16
	global_store_b128 v[4:5], v[0:3], off th:TH_STORE_NT
.LBB1_3436:                             ;   Parent Loop BB1_1755 Depth=1
                                        ; =>  This Inner Loop Header: Depth=2
	s_wait_loadcnt 0x0
	global_load_b128 v[4:7], v[8:9], off th:TH_LOAD_NT
	v_add_nc_u32_e32 v14, 1, v14
	s_mov_b32 s1, -1
	s_mov_b32 s12, -1
	s_mov_b32 s13, exec_lo
	s_wait_xcnt 0x0
	v_cmpx_eq_u32_e32 0xf4240, v14
	s_cbranch_execz .LBB1_3438
; %bb.3437:                             ;   in Loop: Header=BB1_3436 Depth=2
	s_wait_loadcnt 0x0
	s_wait_storecnt 0x0
	global_load_b32 v0, v2, s[10:11] scope:SCOPE_SYS
	s_wait_loadcnt 0x0
	global_inv scope:SCOPE_SYS
	v_mov_b32_e32 v14, 0
	v_cmp_eq_u32_e64 s0, 0, v0
	s_or_not1_b32 s12, s0, exec_lo
.LBB1_3438:                             ;   in Loop: Header=BB1_3436 Depth=2
	s_wait_xcnt 0x0
	s_or_b32 exec_lo, exec_lo, s13
	s_and_saveexec_b32 s13, s12
	s_cbranch_execz .LBB1_3440
; %bb.3439:                             ;   in Loop: Header=BB1_3436 Depth=2
	s_wait_loadcnt 0x0
	v_cmp_eq_u32_e64 s0, s14, v5
	v_cmp_eq_u32_e64 s1, s14, v7
	s_and_b32 s0, s0, s1
	s_delay_alu instid0(SALU_CYCLE_1)
	s_or_not1_b32 s1, s0, exec_lo
.LBB1_3440:                             ;   in Loop: Header=BB1_3436 Depth=2
	s_or_b32 exec_lo, exec_lo, s13
	s_delay_alu instid0(SALU_CYCLE_1) | instskip(NEXT) | instid1(SALU_CYCLE_1)
	s_and_b32 s0, exec_lo, s1
	s_or_b32 s7, s0, s7
	s_delay_alu instid0(SALU_CYCLE_1)
	s_and_not1_b32 exec_lo, exec_lo, s7
	s_cbranch_execnz .LBB1_3436
; %bb.3441:                             ;   in Loop: Header=BB1_3436 Depth=2
	s_or_b32 exec_lo, exec_lo, s7
	s_wait_loadcnt 0x0
	v_dual_mov_b32 v5, v6 :: v_dual_mov_b32 v14, 0
	s_mov_b32 s7, 0
	s_delay_alu instid0(VALU_DEP_1) | instskip(SKIP_1) | instid1(SALU_CYCLE_1)
	v_cmp_eq_u64_e64 s0, s[14:15], v[4:5]
	s_or_b32 s16, s0, s16
	s_and_not1_b32 exec_lo, exec_lo, s16
	s_cbranch_execnz .LBB1_3436
; %bb.3442:                             ;   in Loop: Header=BB1_1755 Depth=1
	s_or_b32 exec_lo, exec_lo, s16
	s_add_co_i32 s12, s6, 0xf1
	v_lshl_add_u64 v[4:5], s[4:5], 4, v[12:13]
	s_mul_hi_u32 s0, s12, 0x10624dd3
	s_mov_b32 s16, 0
	s_lshr_b32 s4, s0, 6
	s_mov_b32 s17, s14
	s_mulk_i32 s4, 0x3e8
	s_or_b64 s[0:1], s[16:17], s[14:15]
	s_sub_co_i32 s4, s12, s4
	v_dual_mov_b32 v0, s0 :: v_dual_mov_b32 v1, s1
	s_lshl_b32 s0, s4, 12
	s_mov_b32 s1, s5
	v_dual_mov_b32 v3, s14 :: v_dual_mov_b32 v14, 0
	v_add_nc_u64_e32 v[8:9], s[0:1], v[10:11]
	s_lshl_b32 s4, s4, 8
	s_mov_b32 s13, s5
	s_mov_b32 s7, s16
	global_store_b128 v[4:5], v[0:3], off th:TH_STORE_NT
.LBB1_3443:                             ;   Parent Loop BB1_1755 Depth=1
                                        ; =>  This Inner Loop Header: Depth=2
	s_wait_loadcnt 0x0
	global_load_b128 v[4:7], v[8:9], off th:TH_LOAD_NT
	v_add_nc_u32_e32 v14, 1, v14
	s_mov_b32 s1, -1
	s_mov_b32 s14, -1
	s_mov_b32 s15, exec_lo
	s_wait_xcnt 0x0
	v_cmpx_eq_u32_e32 0xf4240, v14
	s_cbranch_execz .LBB1_3445
; %bb.3444:                             ;   in Loop: Header=BB1_3443 Depth=2
	s_wait_loadcnt 0x0
	s_wait_storecnt 0x0
	global_load_b32 v0, v2, s[10:11] scope:SCOPE_SYS
	s_wait_loadcnt 0x0
	global_inv scope:SCOPE_SYS
	v_mov_b32_e32 v14, 0
	v_cmp_eq_u32_e64 s0, 0, v0
	s_or_not1_b32 s14, s0, exec_lo
.LBB1_3445:                             ;   in Loop: Header=BB1_3443 Depth=2
	s_wait_xcnt 0x0
	s_or_b32 exec_lo, exec_lo, s15
	s_and_saveexec_b32 s15, s14
	s_cbranch_execz .LBB1_3447
; %bb.3446:                             ;   in Loop: Header=BB1_3443 Depth=2
	s_wait_loadcnt 0x0
	v_cmp_eq_u32_e64 s0, s12, v5
	v_cmp_eq_u32_e64 s1, s12, v7
	s_and_b32 s0, s0, s1
	s_delay_alu instid0(SALU_CYCLE_1)
	s_or_not1_b32 s1, s0, exec_lo
.LBB1_3447:                             ;   in Loop: Header=BB1_3443 Depth=2
	s_or_b32 exec_lo, exec_lo, s15
	s_delay_alu instid0(SALU_CYCLE_1) | instskip(NEXT) | instid1(SALU_CYCLE_1)
	s_and_b32 s0, exec_lo, s1
	s_or_b32 s7, s0, s7
	s_delay_alu instid0(SALU_CYCLE_1)
	s_and_not1_b32 exec_lo, exec_lo, s7
	s_cbranch_execnz .LBB1_3443
; %bb.3448:                             ;   in Loop: Header=BB1_3443 Depth=2
	s_or_b32 exec_lo, exec_lo, s7
	s_wait_loadcnt 0x0
	v_dual_mov_b32 v5, v6 :: v_dual_mov_b32 v14, 0
	s_mov_b32 s7, 0
	s_delay_alu instid0(VALU_DEP_1) | instskip(SKIP_1) | instid1(SALU_CYCLE_1)
	v_cmp_eq_u64_e64 s0, s[12:13], v[4:5]
	s_or_b32 s16, s0, s16
	s_and_not1_b32 exec_lo, exec_lo, s16
	s_cbranch_execnz .LBB1_3443
; %bb.3449:                             ;   in Loop: Header=BB1_1755 Depth=1
	s_or_b32 exec_lo, exec_lo, s16
	s_add_co_i32 s14, s6, 0xf2
	v_lshl_add_u64 v[4:5], s[4:5], 4, v[12:13]
	s_mul_hi_u32 s0, s14, 0x10624dd3
	s_mov_b32 s16, 0
	s_lshr_b32 s4, s0, 6
	s_mov_b32 s17, s12
	s_mulk_i32 s4, 0x3e8
	s_or_b64 s[0:1], s[16:17], s[12:13]
	s_sub_co_i32 s4, s14, s4
	v_dual_mov_b32 v0, s0 :: v_dual_mov_b32 v1, s1
	s_lshl_b32 s0, s4, 12
	s_mov_b32 s1, s5
	v_dual_mov_b32 v3, s12 :: v_dual_mov_b32 v14, 0
	v_add_nc_u64_e32 v[8:9], s[0:1], v[10:11]
	s_lshl_b32 s4, s4, 8
	s_mov_b32 s15, s5
	s_mov_b32 s7, s16
	global_store_b128 v[4:5], v[0:3], off th:TH_STORE_NT
.LBB1_3450:                             ;   Parent Loop BB1_1755 Depth=1
                                        ; =>  This Inner Loop Header: Depth=2
	s_wait_loadcnt 0x0
	global_load_b128 v[4:7], v[8:9], off th:TH_LOAD_NT
	v_add_nc_u32_e32 v14, 1, v14
	s_mov_b32 s1, -1
	s_mov_b32 s12, -1
	s_mov_b32 s13, exec_lo
	s_wait_xcnt 0x0
	v_cmpx_eq_u32_e32 0xf4240, v14
	s_cbranch_execz .LBB1_3452
; %bb.3451:                             ;   in Loop: Header=BB1_3450 Depth=2
	s_wait_loadcnt 0x0
	s_wait_storecnt 0x0
	global_load_b32 v0, v2, s[10:11] scope:SCOPE_SYS
	s_wait_loadcnt 0x0
	global_inv scope:SCOPE_SYS
	v_mov_b32_e32 v14, 0
	v_cmp_eq_u32_e64 s0, 0, v0
	s_or_not1_b32 s12, s0, exec_lo
.LBB1_3452:                             ;   in Loop: Header=BB1_3450 Depth=2
	s_wait_xcnt 0x0
	s_or_b32 exec_lo, exec_lo, s13
	s_and_saveexec_b32 s13, s12
	s_cbranch_execz .LBB1_3454
; %bb.3453:                             ;   in Loop: Header=BB1_3450 Depth=2
	s_wait_loadcnt 0x0
	v_cmp_eq_u32_e64 s0, s14, v5
	v_cmp_eq_u32_e64 s1, s14, v7
	s_and_b32 s0, s0, s1
	s_delay_alu instid0(SALU_CYCLE_1)
	s_or_not1_b32 s1, s0, exec_lo
.LBB1_3454:                             ;   in Loop: Header=BB1_3450 Depth=2
	s_or_b32 exec_lo, exec_lo, s13
	s_delay_alu instid0(SALU_CYCLE_1) | instskip(NEXT) | instid1(SALU_CYCLE_1)
	s_and_b32 s0, exec_lo, s1
	s_or_b32 s7, s0, s7
	s_delay_alu instid0(SALU_CYCLE_1)
	s_and_not1_b32 exec_lo, exec_lo, s7
	s_cbranch_execnz .LBB1_3450
; %bb.3455:                             ;   in Loop: Header=BB1_3450 Depth=2
	s_or_b32 exec_lo, exec_lo, s7
	s_wait_loadcnt 0x0
	v_dual_mov_b32 v5, v6 :: v_dual_mov_b32 v14, 0
	s_mov_b32 s7, 0
	s_delay_alu instid0(VALU_DEP_1) | instskip(SKIP_1) | instid1(SALU_CYCLE_1)
	v_cmp_eq_u64_e64 s0, s[14:15], v[4:5]
	s_or_b32 s16, s0, s16
	s_and_not1_b32 exec_lo, exec_lo, s16
	s_cbranch_execnz .LBB1_3450
; %bb.3456:                             ;   in Loop: Header=BB1_1755 Depth=1
	s_or_b32 exec_lo, exec_lo, s16
	s_add_co_i32 s12, s6, 0xf3
	v_lshl_add_u64 v[4:5], s[4:5], 4, v[12:13]
	s_mul_hi_u32 s0, s12, 0x10624dd3
	s_mov_b32 s16, 0
	s_lshr_b32 s4, s0, 6
	s_mov_b32 s17, s14
	s_mulk_i32 s4, 0x3e8
	s_or_b64 s[0:1], s[16:17], s[14:15]
	s_sub_co_i32 s4, s12, s4
	v_dual_mov_b32 v0, s0 :: v_dual_mov_b32 v1, s1
	s_lshl_b32 s0, s4, 12
	s_mov_b32 s1, s5
	v_dual_mov_b32 v3, s14 :: v_dual_mov_b32 v14, 0
	v_add_nc_u64_e32 v[8:9], s[0:1], v[10:11]
	s_lshl_b32 s4, s4, 8
	s_mov_b32 s13, s5
	s_mov_b32 s7, s16
	global_store_b128 v[4:5], v[0:3], off th:TH_STORE_NT
.LBB1_3457:                             ;   Parent Loop BB1_1755 Depth=1
                                        ; =>  This Inner Loop Header: Depth=2
	s_wait_loadcnt 0x0
	global_load_b128 v[4:7], v[8:9], off th:TH_LOAD_NT
	v_add_nc_u32_e32 v14, 1, v14
	s_mov_b32 s1, -1
	s_mov_b32 s14, -1
	s_mov_b32 s15, exec_lo
	s_wait_xcnt 0x0
	v_cmpx_eq_u32_e32 0xf4240, v14
	s_cbranch_execz .LBB1_3459
; %bb.3458:                             ;   in Loop: Header=BB1_3457 Depth=2
	s_wait_loadcnt 0x0
	s_wait_storecnt 0x0
	global_load_b32 v0, v2, s[10:11] scope:SCOPE_SYS
	s_wait_loadcnt 0x0
	global_inv scope:SCOPE_SYS
	v_mov_b32_e32 v14, 0
	v_cmp_eq_u32_e64 s0, 0, v0
	s_or_not1_b32 s14, s0, exec_lo
.LBB1_3459:                             ;   in Loop: Header=BB1_3457 Depth=2
	s_wait_xcnt 0x0
	s_or_b32 exec_lo, exec_lo, s15
	s_and_saveexec_b32 s15, s14
	s_cbranch_execz .LBB1_3461
; %bb.3460:                             ;   in Loop: Header=BB1_3457 Depth=2
	s_wait_loadcnt 0x0
	v_cmp_eq_u32_e64 s0, s12, v5
	v_cmp_eq_u32_e64 s1, s12, v7
	s_and_b32 s0, s0, s1
	s_delay_alu instid0(SALU_CYCLE_1)
	s_or_not1_b32 s1, s0, exec_lo
.LBB1_3461:                             ;   in Loop: Header=BB1_3457 Depth=2
	s_or_b32 exec_lo, exec_lo, s15
	s_delay_alu instid0(SALU_CYCLE_1) | instskip(NEXT) | instid1(SALU_CYCLE_1)
	s_and_b32 s0, exec_lo, s1
	s_or_b32 s7, s0, s7
	s_delay_alu instid0(SALU_CYCLE_1)
	s_and_not1_b32 exec_lo, exec_lo, s7
	s_cbranch_execnz .LBB1_3457
; %bb.3462:                             ;   in Loop: Header=BB1_3457 Depth=2
	s_or_b32 exec_lo, exec_lo, s7
	s_wait_loadcnt 0x0
	v_dual_mov_b32 v5, v6 :: v_dual_mov_b32 v14, 0
	s_mov_b32 s7, 0
	s_delay_alu instid0(VALU_DEP_1) | instskip(SKIP_1) | instid1(SALU_CYCLE_1)
	v_cmp_eq_u64_e64 s0, s[12:13], v[4:5]
	s_or_b32 s16, s0, s16
	s_and_not1_b32 exec_lo, exec_lo, s16
	s_cbranch_execnz .LBB1_3457
; %bb.3463:                             ;   in Loop: Header=BB1_1755 Depth=1
	s_or_b32 exec_lo, exec_lo, s16
	s_add_co_i32 s14, s6, 0xf4
	v_lshl_add_u64 v[4:5], s[4:5], 4, v[12:13]
	s_mul_hi_u32 s0, s14, 0x10624dd3
	s_mov_b32 s16, 0
	s_lshr_b32 s4, s0, 6
	s_mov_b32 s17, s12
	s_mulk_i32 s4, 0x3e8
	s_or_b64 s[0:1], s[16:17], s[12:13]
	s_sub_co_i32 s4, s14, s4
	v_dual_mov_b32 v0, s0 :: v_dual_mov_b32 v1, s1
	s_lshl_b32 s0, s4, 12
	s_mov_b32 s1, s5
	v_dual_mov_b32 v3, s12 :: v_dual_mov_b32 v14, 0
	v_add_nc_u64_e32 v[8:9], s[0:1], v[10:11]
	s_lshl_b32 s4, s4, 8
	s_mov_b32 s15, s5
	s_mov_b32 s7, s16
	global_store_b128 v[4:5], v[0:3], off th:TH_STORE_NT
.LBB1_3464:                             ;   Parent Loop BB1_1755 Depth=1
                                        ; =>  This Inner Loop Header: Depth=2
	s_wait_loadcnt 0x0
	global_load_b128 v[4:7], v[8:9], off th:TH_LOAD_NT
	v_add_nc_u32_e32 v14, 1, v14
	s_mov_b32 s1, -1
	s_mov_b32 s12, -1
	s_mov_b32 s13, exec_lo
	s_wait_xcnt 0x0
	v_cmpx_eq_u32_e32 0xf4240, v14
	s_cbranch_execz .LBB1_3466
; %bb.3465:                             ;   in Loop: Header=BB1_3464 Depth=2
	s_wait_loadcnt 0x0
	s_wait_storecnt 0x0
	global_load_b32 v0, v2, s[10:11] scope:SCOPE_SYS
	s_wait_loadcnt 0x0
	global_inv scope:SCOPE_SYS
	v_mov_b32_e32 v14, 0
	v_cmp_eq_u32_e64 s0, 0, v0
	s_or_not1_b32 s12, s0, exec_lo
.LBB1_3466:                             ;   in Loop: Header=BB1_3464 Depth=2
	s_wait_xcnt 0x0
	s_or_b32 exec_lo, exec_lo, s13
	s_and_saveexec_b32 s13, s12
	s_cbranch_execz .LBB1_3468
; %bb.3467:                             ;   in Loop: Header=BB1_3464 Depth=2
	s_wait_loadcnt 0x0
	v_cmp_eq_u32_e64 s0, s14, v5
	v_cmp_eq_u32_e64 s1, s14, v7
	s_and_b32 s0, s0, s1
	s_delay_alu instid0(SALU_CYCLE_1)
	s_or_not1_b32 s1, s0, exec_lo
.LBB1_3468:                             ;   in Loop: Header=BB1_3464 Depth=2
	s_or_b32 exec_lo, exec_lo, s13
	s_delay_alu instid0(SALU_CYCLE_1) | instskip(NEXT) | instid1(SALU_CYCLE_1)
	s_and_b32 s0, exec_lo, s1
	s_or_b32 s7, s0, s7
	s_delay_alu instid0(SALU_CYCLE_1)
	s_and_not1_b32 exec_lo, exec_lo, s7
	s_cbranch_execnz .LBB1_3464
; %bb.3469:                             ;   in Loop: Header=BB1_3464 Depth=2
	s_or_b32 exec_lo, exec_lo, s7
	s_wait_loadcnt 0x0
	v_dual_mov_b32 v5, v6 :: v_dual_mov_b32 v14, 0
	s_mov_b32 s7, 0
	s_delay_alu instid0(VALU_DEP_1) | instskip(SKIP_1) | instid1(SALU_CYCLE_1)
	v_cmp_eq_u64_e64 s0, s[14:15], v[4:5]
	s_or_b32 s16, s0, s16
	s_and_not1_b32 exec_lo, exec_lo, s16
	s_cbranch_execnz .LBB1_3464
; %bb.3470:                             ;   in Loop: Header=BB1_1755 Depth=1
	s_or_b32 exec_lo, exec_lo, s16
	s_add_co_i32 s12, s6, 0xf5
	v_lshl_add_u64 v[4:5], s[4:5], 4, v[12:13]
	s_mul_hi_u32 s0, s12, 0x10624dd3
	s_mov_b32 s16, 0
	s_lshr_b32 s4, s0, 6
	s_mov_b32 s17, s14
	s_mulk_i32 s4, 0x3e8
	s_or_b64 s[0:1], s[16:17], s[14:15]
	s_sub_co_i32 s4, s12, s4
	v_dual_mov_b32 v0, s0 :: v_dual_mov_b32 v1, s1
	s_lshl_b32 s0, s4, 12
	s_mov_b32 s1, s5
	v_dual_mov_b32 v3, s14 :: v_dual_mov_b32 v14, 0
	v_add_nc_u64_e32 v[8:9], s[0:1], v[10:11]
	s_lshl_b32 s4, s4, 8
	s_mov_b32 s13, s5
	s_mov_b32 s7, s16
	global_store_b128 v[4:5], v[0:3], off th:TH_STORE_NT
.LBB1_3471:                             ;   Parent Loop BB1_1755 Depth=1
                                        ; =>  This Inner Loop Header: Depth=2
	s_wait_loadcnt 0x0
	global_load_b128 v[4:7], v[8:9], off th:TH_LOAD_NT
	v_add_nc_u32_e32 v14, 1, v14
	s_mov_b32 s1, -1
	s_mov_b32 s14, -1
	s_mov_b32 s15, exec_lo
	s_wait_xcnt 0x0
	v_cmpx_eq_u32_e32 0xf4240, v14
	s_cbranch_execz .LBB1_3473
; %bb.3472:                             ;   in Loop: Header=BB1_3471 Depth=2
	s_wait_loadcnt 0x0
	s_wait_storecnt 0x0
	global_load_b32 v0, v2, s[10:11] scope:SCOPE_SYS
	s_wait_loadcnt 0x0
	global_inv scope:SCOPE_SYS
	v_mov_b32_e32 v14, 0
	v_cmp_eq_u32_e64 s0, 0, v0
	s_or_not1_b32 s14, s0, exec_lo
.LBB1_3473:                             ;   in Loop: Header=BB1_3471 Depth=2
	s_wait_xcnt 0x0
	s_or_b32 exec_lo, exec_lo, s15
	s_and_saveexec_b32 s15, s14
	s_cbranch_execz .LBB1_3475
; %bb.3474:                             ;   in Loop: Header=BB1_3471 Depth=2
	s_wait_loadcnt 0x0
	v_cmp_eq_u32_e64 s0, s12, v5
	v_cmp_eq_u32_e64 s1, s12, v7
	s_and_b32 s0, s0, s1
	s_delay_alu instid0(SALU_CYCLE_1)
	s_or_not1_b32 s1, s0, exec_lo
.LBB1_3475:                             ;   in Loop: Header=BB1_3471 Depth=2
	s_or_b32 exec_lo, exec_lo, s15
	s_delay_alu instid0(SALU_CYCLE_1) | instskip(NEXT) | instid1(SALU_CYCLE_1)
	s_and_b32 s0, exec_lo, s1
	s_or_b32 s7, s0, s7
	s_delay_alu instid0(SALU_CYCLE_1)
	s_and_not1_b32 exec_lo, exec_lo, s7
	s_cbranch_execnz .LBB1_3471
; %bb.3476:                             ;   in Loop: Header=BB1_3471 Depth=2
	s_or_b32 exec_lo, exec_lo, s7
	s_wait_loadcnt 0x0
	v_dual_mov_b32 v5, v6 :: v_dual_mov_b32 v14, 0
	s_mov_b32 s7, 0
	s_delay_alu instid0(VALU_DEP_1) | instskip(SKIP_1) | instid1(SALU_CYCLE_1)
	v_cmp_eq_u64_e64 s0, s[12:13], v[4:5]
	s_or_b32 s16, s0, s16
	s_and_not1_b32 exec_lo, exec_lo, s16
	s_cbranch_execnz .LBB1_3471
; %bb.3477:                             ;   in Loop: Header=BB1_1755 Depth=1
	s_or_b32 exec_lo, exec_lo, s16
	s_add_co_i32 s14, s6, 0xf6
	v_lshl_add_u64 v[4:5], s[4:5], 4, v[12:13]
	s_mul_hi_u32 s0, s14, 0x10624dd3
	s_mov_b32 s16, 0
	s_lshr_b32 s4, s0, 6
	s_mov_b32 s17, s12
	s_mulk_i32 s4, 0x3e8
	s_or_b64 s[0:1], s[16:17], s[12:13]
	s_sub_co_i32 s4, s14, s4
	v_dual_mov_b32 v0, s0 :: v_dual_mov_b32 v1, s1
	s_lshl_b32 s0, s4, 12
	s_mov_b32 s1, s5
	v_dual_mov_b32 v3, s12 :: v_dual_mov_b32 v14, 0
	v_add_nc_u64_e32 v[8:9], s[0:1], v[10:11]
	s_lshl_b32 s4, s4, 8
	s_mov_b32 s15, s5
	s_mov_b32 s7, s16
	global_store_b128 v[4:5], v[0:3], off th:TH_STORE_NT
.LBB1_3478:                             ;   Parent Loop BB1_1755 Depth=1
                                        ; =>  This Inner Loop Header: Depth=2
	s_wait_loadcnt 0x0
	global_load_b128 v[4:7], v[8:9], off th:TH_LOAD_NT
	v_add_nc_u32_e32 v14, 1, v14
	s_mov_b32 s1, -1
	s_mov_b32 s12, -1
	s_mov_b32 s13, exec_lo
	s_wait_xcnt 0x0
	v_cmpx_eq_u32_e32 0xf4240, v14
	s_cbranch_execz .LBB1_3480
; %bb.3479:                             ;   in Loop: Header=BB1_3478 Depth=2
	s_wait_loadcnt 0x0
	s_wait_storecnt 0x0
	global_load_b32 v0, v2, s[10:11] scope:SCOPE_SYS
	s_wait_loadcnt 0x0
	global_inv scope:SCOPE_SYS
	v_mov_b32_e32 v14, 0
	v_cmp_eq_u32_e64 s0, 0, v0
	s_or_not1_b32 s12, s0, exec_lo
.LBB1_3480:                             ;   in Loop: Header=BB1_3478 Depth=2
	s_wait_xcnt 0x0
	s_or_b32 exec_lo, exec_lo, s13
	s_and_saveexec_b32 s13, s12
	s_cbranch_execz .LBB1_3482
; %bb.3481:                             ;   in Loop: Header=BB1_3478 Depth=2
	s_wait_loadcnt 0x0
	v_cmp_eq_u32_e64 s0, s14, v5
	v_cmp_eq_u32_e64 s1, s14, v7
	s_and_b32 s0, s0, s1
	s_delay_alu instid0(SALU_CYCLE_1)
	s_or_not1_b32 s1, s0, exec_lo
.LBB1_3482:                             ;   in Loop: Header=BB1_3478 Depth=2
	s_or_b32 exec_lo, exec_lo, s13
	s_delay_alu instid0(SALU_CYCLE_1) | instskip(NEXT) | instid1(SALU_CYCLE_1)
	s_and_b32 s0, exec_lo, s1
	s_or_b32 s7, s0, s7
	s_delay_alu instid0(SALU_CYCLE_1)
	s_and_not1_b32 exec_lo, exec_lo, s7
	s_cbranch_execnz .LBB1_3478
; %bb.3483:                             ;   in Loop: Header=BB1_3478 Depth=2
	s_or_b32 exec_lo, exec_lo, s7
	s_wait_loadcnt 0x0
	v_dual_mov_b32 v5, v6 :: v_dual_mov_b32 v14, 0
	s_mov_b32 s7, 0
	s_delay_alu instid0(VALU_DEP_1) | instskip(SKIP_1) | instid1(SALU_CYCLE_1)
	v_cmp_eq_u64_e64 s0, s[14:15], v[4:5]
	s_or_b32 s16, s0, s16
	s_and_not1_b32 exec_lo, exec_lo, s16
	s_cbranch_execnz .LBB1_3478
; %bb.3484:                             ;   in Loop: Header=BB1_1755 Depth=1
	s_or_b32 exec_lo, exec_lo, s16
	s_add_co_i32 s12, s6, 0xf7
	v_lshl_add_u64 v[4:5], s[4:5], 4, v[12:13]
	s_mul_hi_u32 s0, s12, 0x10624dd3
	s_mov_b32 s16, 0
	s_lshr_b32 s4, s0, 6
	s_mov_b32 s17, s14
	s_mulk_i32 s4, 0x3e8
	s_or_b64 s[0:1], s[16:17], s[14:15]
	s_sub_co_i32 s4, s12, s4
	v_dual_mov_b32 v0, s0 :: v_dual_mov_b32 v1, s1
	s_lshl_b32 s0, s4, 12
	s_mov_b32 s1, s5
	v_dual_mov_b32 v3, s14 :: v_dual_mov_b32 v14, 0
	v_add_nc_u64_e32 v[8:9], s[0:1], v[10:11]
	s_lshl_b32 s4, s4, 8
	s_mov_b32 s13, s5
	s_mov_b32 s7, s16
	global_store_b128 v[4:5], v[0:3], off th:TH_STORE_NT
.LBB1_3485:                             ;   Parent Loop BB1_1755 Depth=1
                                        ; =>  This Inner Loop Header: Depth=2
	s_wait_loadcnt 0x0
	global_load_b128 v[4:7], v[8:9], off th:TH_LOAD_NT
	v_add_nc_u32_e32 v14, 1, v14
	s_mov_b32 s1, -1
	s_mov_b32 s14, -1
	s_mov_b32 s15, exec_lo
	s_wait_xcnt 0x0
	v_cmpx_eq_u32_e32 0xf4240, v14
	s_cbranch_execz .LBB1_3487
; %bb.3486:                             ;   in Loop: Header=BB1_3485 Depth=2
	s_wait_loadcnt 0x0
	s_wait_storecnt 0x0
	global_load_b32 v0, v2, s[10:11] scope:SCOPE_SYS
	s_wait_loadcnt 0x0
	global_inv scope:SCOPE_SYS
	v_mov_b32_e32 v14, 0
	v_cmp_eq_u32_e64 s0, 0, v0
	s_or_not1_b32 s14, s0, exec_lo
.LBB1_3487:                             ;   in Loop: Header=BB1_3485 Depth=2
	s_wait_xcnt 0x0
	s_or_b32 exec_lo, exec_lo, s15
	s_and_saveexec_b32 s15, s14
	s_cbranch_execz .LBB1_3489
; %bb.3488:                             ;   in Loop: Header=BB1_3485 Depth=2
	s_wait_loadcnt 0x0
	v_cmp_eq_u32_e64 s0, s12, v5
	v_cmp_eq_u32_e64 s1, s12, v7
	s_and_b32 s0, s0, s1
	s_delay_alu instid0(SALU_CYCLE_1)
	s_or_not1_b32 s1, s0, exec_lo
.LBB1_3489:                             ;   in Loop: Header=BB1_3485 Depth=2
	s_or_b32 exec_lo, exec_lo, s15
	s_delay_alu instid0(SALU_CYCLE_1) | instskip(NEXT) | instid1(SALU_CYCLE_1)
	s_and_b32 s0, exec_lo, s1
	s_or_b32 s7, s0, s7
	s_delay_alu instid0(SALU_CYCLE_1)
	s_and_not1_b32 exec_lo, exec_lo, s7
	s_cbranch_execnz .LBB1_3485
; %bb.3490:                             ;   in Loop: Header=BB1_3485 Depth=2
	s_or_b32 exec_lo, exec_lo, s7
	s_wait_loadcnt 0x0
	v_dual_mov_b32 v5, v6 :: v_dual_mov_b32 v14, 0
	s_mov_b32 s7, 0
	s_delay_alu instid0(VALU_DEP_1) | instskip(SKIP_1) | instid1(SALU_CYCLE_1)
	v_cmp_eq_u64_e64 s0, s[12:13], v[4:5]
	s_or_b32 s16, s0, s16
	s_and_not1_b32 exec_lo, exec_lo, s16
	s_cbranch_execnz .LBB1_3485
; %bb.3491:                             ;   in Loop: Header=BB1_1755 Depth=1
	s_or_b32 exec_lo, exec_lo, s16
	s_add_co_i32 s14, s6, 0xf8
	v_lshl_add_u64 v[4:5], s[4:5], 4, v[12:13]
	s_mul_hi_u32 s0, s14, 0x10624dd3
	s_mov_b32 s16, 0
	s_lshr_b32 s4, s0, 6
	s_mov_b32 s17, s12
	s_mulk_i32 s4, 0x3e8
	s_or_b64 s[0:1], s[16:17], s[12:13]
	s_sub_co_i32 s4, s14, s4
	v_dual_mov_b32 v0, s0 :: v_dual_mov_b32 v1, s1
	s_lshl_b32 s0, s4, 12
	s_mov_b32 s1, s5
	v_dual_mov_b32 v3, s12 :: v_dual_mov_b32 v14, 0
	v_add_nc_u64_e32 v[8:9], s[0:1], v[10:11]
	s_lshl_b32 s4, s4, 8
	s_mov_b32 s15, s5
	s_mov_b32 s7, s16
	global_store_b128 v[4:5], v[0:3], off th:TH_STORE_NT
.LBB1_3492:                             ;   Parent Loop BB1_1755 Depth=1
                                        ; =>  This Inner Loop Header: Depth=2
	s_wait_loadcnt 0x0
	global_load_b128 v[4:7], v[8:9], off th:TH_LOAD_NT
	v_add_nc_u32_e32 v14, 1, v14
	s_mov_b32 s1, -1
	s_mov_b32 s12, -1
	s_mov_b32 s13, exec_lo
	s_wait_xcnt 0x0
	v_cmpx_eq_u32_e32 0xf4240, v14
	s_cbranch_execz .LBB1_3494
; %bb.3493:                             ;   in Loop: Header=BB1_3492 Depth=2
	s_wait_loadcnt 0x0
	s_wait_storecnt 0x0
	global_load_b32 v0, v2, s[10:11] scope:SCOPE_SYS
	s_wait_loadcnt 0x0
	global_inv scope:SCOPE_SYS
	v_mov_b32_e32 v14, 0
	v_cmp_eq_u32_e64 s0, 0, v0
	s_or_not1_b32 s12, s0, exec_lo
.LBB1_3494:                             ;   in Loop: Header=BB1_3492 Depth=2
	s_wait_xcnt 0x0
	s_or_b32 exec_lo, exec_lo, s13
	s_and_saveexec_b32 s13, s12
	s_cbranch_execz .LBB1_3496
; %bb.3495:                             ;   in Loop: Header=BB1_3492 Depth=2
	s_wait_loadcnt 0x0
	v_cmp_eq_u32_e64 s0, s14, v5
	v_cmp_eq_u32_e64 s1, s14, v7
	s_and_b32 s0, s0, s1
	s_delay_alu instid0(SALU_CYCLE_1)
	s_or_not1_b32 s1, s0, exec_lo
.LBB1_3496:                             ;   in Loop: Header=BB1_3492 Depth=2
	s_or_b32 exec_lo, exec_lo, s13
	s_delay_alu instid0(SALU_CYCLE_1) | instskip(NEXT) | instid1(SALU_CYCLE_1)
	s_and_b32 s0, exec_lo, s1
	s_or_b32 s7, s0, s7
	s_delay_alu instid0(SALU_CYCLE_1)
	s_and_not1_b32 exec_lo, exec_lo, s7
	s_cbranch_execnz .LBB1_3492
; %bb.3497:                             ;   in Loop: Header=BB1_3492 Depth=2
	s_or_b32 exec_lo, exec_lo, s7
	s_wait_loadcnt 0x0
	v_dual_mov_b32 v5, v6 :: v_dual_mov_b32 v14, 0
	s_mov_b32 s7, 0
	s_delay_alu instid0(VALU_DEP_1) | instskip(SKIP_1) | instid1(SALU_CYCLE_1)
	v_cmp_eq_u64_e64 s0, s[14:15], v[4:5]
	s_or_b32 s16, s0, s16
	s_and_not1_b32 exec_lo, exec_lo, s16
	s_cbranch_execnz .LBB1_3492
; %bb.3498:                             ;   in Loop: Header=BB1_1755 Depth=1
	s_or_b32 exec_lo, exec_lo, s16
	s_add_co_i32 s12, s6, 0xf9
	v_lshl_add_u64 v[4:5], s[4:5], 4, v[12:13]
	s_mul_hi_u32 s0, s12, 0x10624dd3
	s_mov_b32 s16, 0
	s_lshr_b32 s4, s0, 6
	s_mov_b32 s17, s14
	s_mulk_i32 s4, 0x3e8
	s_or_b64 s[0:1], s[16:17], s[14:15]
	s_sub_co_i32 s4, s12, s4
	v_dual_mov_b32 v0, s0 :: v_dual_mov_b32 v1, s1
	s_lshl_b32 s0, s4, 12
	s_mov_b32 s1, s5
	v_dual_mov_b32 v3, s14 :: v_dual_mov_b32 v14, 0
	v_add_nc_u64_e32 v[8:9], s[0:1], v[10:11]
	s_lshl_b32 s4, s4, 8
	s_mov_b32 s13, s5
	s_mov_b32 s7, s16
	global_store_b128 v[4:5], v[0:3], off th:TH_STORE_NT
.LBB1_3499:                             ;   Parent Loop BB1_1755 Depth=1
                                        ; =>  This Inner Loop Header: Depth=2
	s_wait_loadcnt 0x0
	global_load_b128 v[4:7], v[8:9], off th:TH_LOAD_NT
	v_add_nc_u32_e32 v14, 1, v14
	s_mov_b32 s1, -1
	s_mov_b32 s14, -1
	s_mov_b32 s15, exec_lo
	s_wait_xcnt 0x0
	v_cmpx_eq_u32_e32 0xf4240, v14
	s_cbranch_execz .LBB1_3501
; %bb.3500:                             ;   in Loop: Header=BB1_3499 Depth=2
	s_wait_loadcnt 0x0
	s_wait_storecnt 0x0
	global_load_b32 v0, v2, s[10:11] scope:SCOPE_SYS
	s_wait_loadcnt 0x0
	global_inv scope:SCOPE_SYS
	v_mov_b32_e32 v14, 0
	v_cmp_eq_u32_e64 s0, 0, v0
	s_or_not1_b32 s14, s0, exec_lo
.LBB1_3501:                             ;   in Loop: Header=BB1_3499 Depth=2
	s_wait_xcnt 0x0
	s_or_b32 exec_lo, exec_lo, s15
	s_and_saveexec_b32 s15, s14
	s_cbranch_execz .LBB1_3503
; %bb.3502:                             ;   in Loop: Header=BB1_3499 Depth=2
	s_wait_loadcnt 0x0
	v_cmp_eq_u32_e64 s0, s12, v5
	v_cmp_eq_u32_e64 s1, s12, v7
	s_and_b32 s0, s0, s1
	s_delay_alu instid0(SALU_CYCLE_1)
	s_or_not1_b32 s1, s0, exec_lo
.LBB1_3503:                             ;   in Loop: Header=BB1_3499 Depth=2
	s_or_b32 exec_lo, exec_lo, s15
	s_delay_alu instid0(SALU_CYCLE_1) | instskip(NEXT) | instid1(SALU_CYCLE_1)
	s_and_b32 s0, exec_lo, s1
	s_or_b32 s7, s0, s7
	s_delay_alu instid0(SALU_CYCLE_1)
	s_and_not1_b32 exec_lo, exec_lo, s7
	s_cbranch_execnz .LBB1_3499
; %bb.3504:                             ;   in Loop: Header=BB1_3499 Depth=2
	s_or_b32 exec_lo, exec_lo, s7
	s_wait_loadcnt 0x0
	v_dual_mov_b32 v5, v6 :: v_dual_mov_b32 v14, 0
	s_mov_b32 s7, 0
	s_delay_alu instid0(VALU_DEP_1) | instskip(SKIP_1) | instid1(SALU_CYCLE_1)
	v_cmp_eq_u64_e64 s0, s[12:13], v[4:5]
	s_or_b32 s16, s0, s16
	s_and_not1_b32 exec_lo, exec_lo, s16
	s_cbranch_execnz .LBB1_3499
; %bb.3505:                             ;   in Loop: Header=BB1_1755 Depth=1
	s_or_b32 exec_lo, exec_lo, s16
	s_mov_b32 s0, s5
	s_mov_b32 s1, s12
	v_lshl_add_u64 v[4:5], s[4:5], 4, v[12:13]
	s_or_b64 s[0:1], s[0:1], s[12:13]
	s_delay_alu instid0(SALU_CYCLE_1) | instskip(SKIP_2) | instid1(SALU_CYCLE_1)
	v_dual_mov_b32 v3, s12 :: v_dual_mov_b32 v0, s0
	v_mov_b32_e32 v1, s1
	s_addk_co_i32 s6, 0xfa
	s_cmp_eq_u32 s6, 0x2ee1
	global_store_b128 v[4:5], v[0:3], off th:TH_STORE_NT
	s_cbranch_scc0 .LBB1_1755
; %bb.3506:
	s_wait_storecnt 0x0
	s_barrier_signal -1
	s_barrier_wait -1
	s_wait_xcnt 0x0
	s_and_saveexec_b32 s0, vcc_lo
	s_cbranch_execz .LBB1_3508
; %bb.3507:
	s_sendmsg_rtn_b64 s[0:1], sendmsg(MSG_RTN_GET_REALTIME)
	v_mov_b32_e32 v2, 0
	s_wait_kmcnt 0x0
	s_sub_nc_u64 s[0:1], s[0:1], s[2:3]
	s_delay_alu instid0(SALU_CYCLE_1)
	v_mov_b64_e32 v[0:1], s[0:1]
	global_store_b64 v2, v[0:1], s[8:9]
.LBB1_3508:
	s_endpgm
	.section	.rodata,"a",@progbits
	.p2align	6, 0x0
	.amdhsa_kernel _Z10PongKernelP10LLFifoLineS0_PmPj
		.amdhsa_group_segment_fixed_size 0
		.amdhsa_private_segment_fixed_size 0
		.amdhsa_kernarg_size 32
		.amdhsa_user_sgpr_count 2
		.amdhsa_user_sgpr_dispatch_ptr 0
		.amdhsa_user_sgpr_queue_ptr 0
		.amdhsa_user_sgpr_kernarg_segment_ptr 1
		.amdhsa_user_sgpr_dispatch_id 0
		.amdhsa_user_sgpr_kernarg_preload_length 0
		.amdhsa_user_sgpr_kernarg_preload_offset 0
		.amdhsa_user_sgpr_private_segment_size 0
		.amdhsa_wavefront_size32 1
		.amdhsa_uses_dynamic_stack 0
		.amdhsa_enable_private_segment 0
		.amdhsa_system_sgpr_workgroup_id_x 1
		.amdhsa_system_sgpr_workgroup_id_y 0
		.amdhsa_system_sgpr_workgroup_id_z 0
		.amdhsa_system_sgpr_workgroup_info 0
		.amdhsa_system_vgpr_workitem_id 0
		.amdhsa_next_free_vgpr 16
		.amdhsa_next_free_sgpr 20
		.amdhsa_named_barrier_count 0
		.amdhsa_reserve_vcc 1
		.amdhsa_float_round_mode_32 0
		.amdhsa_float_round_mode_16_64 0
		.amdhsa_float_denorm_mode_32 3
		.amdhsa_float_denorm_mode_16_64 3
		.amdhsa_fp16_overflow 0
		.amdhsa_memory_ordered 1
		.amdhsa_forward_progress 1
		.amdhsa_inst_pref_size 255
		.amdhsa_round_robin_scheduling 0
		.amdhsa_exception_fp_ieee_invalid_op 0
		.amdhsa_exception_fp_denorm_src 0
		.amdhsa_exception_fp_ieee_div_zero 0
		.amdhsa_exception_fp_ieee_overflow 0
		.amdhsa_exception_fp_ieee_underflow 0
		.amdhsa_exception_fp_ieee_inexact 0
		.amdhsa_exception_int_div_zero 0
	.end_amdhsa_kernel
	.text
.Lfunc_end1:
	.size	_Z10PongKernelP10LLFifoLineS0_PmPj, .Lfunc_end1-_Z10PongKernelP10LLFifoLineS0_PmPj
                                        ; -- End function
	.set _Z10PongKernelP10LLFifoLineS0_PmPj.num_vgpr, 16
	.set _Z10PongKernelP10LLFifoLineS0_PmPj.num_agpr, 0
	.set _Z10PongKernelP10LLFifoLineS0_PmPj.numbered_sgpr, 20
	.set _Z10PongKernelP10LLFifoLineS0_PmPj.num_named_barrier, 0
	.set _Z10PongKernelP10LLFifoLineS0_PmPj.private_seg_size, 0
	.set _Z10PongKernelP10LLFifoLineS0_PmPj.uses_vcc, 1
	.set _Z10PongKernelP10LLFifoLineS0_PmPj.uses_flat_scratch, 0
	.set _Z10PongKernelP10LLFifoLineS0_PmPj.has_dyn_sized_stack, 0
	.set _Z10PongKernelP10LLFifoLineS0_PmPj.has_recursion, 0
	.set _Z10PongKernelP10LLFifoLineS0_PmPj.has_indirect_call, 0
	.section	.AMDGPU.csdata,"",@progbits
; Kernel info:
; codeLenInByte = 161688
; TotalNumSgprs: 22
; NumVgprs: 16
; ScratchSize: 0
; MemoryBound: 0
; FloatMode: 240
; IeeeMode: 1
; LDSByteSize: 0 bytes/workgroup (compile time only)
; SGPRBlocks: 0
; VGPRBlocks: 0
; NumSGPRsForWavesPerEU: 22
; NumVGPRsForWavesPerEU: 16
; NamedBarCnt: 0
; Occupancy: 16
; WaveLimiterHint : 0
; COMPUTE_PGM_RSRC2:SCRATCH_EN: 0
; COMPUTE_PGM_RSRC2:USER_SGPR: 2
; COMPUTE_PGM_RSRC2:TRAP_HANDLER: 0
; COMPUTE_PGM_RSRC2:TGID_X_EN: 1
; COMPUTE_PGM_RSRC2:TGID_Y_EN: 0
; COMPUTE_PGM_RSRC2:TGID_Z_EN: 0
; COMPUTE_PGM_RSRC2:TIDIG_COMP_CNT: 0
	.text
	.p2alignl 7, 3214868480
	.fill 96, 4, 3214868480
	.section	.AMDGPU.gpr_maximums,"",@progbits
	.set amdgpu.max_num_vgpr, 0
	.set amdgpu.max_num_agpr, 0
	.set amdgpu.max_num_sgpr, 0
	.text
	.type	__hip_cuid_c0a46c472f65178d,@object ; @__hip_cuid_c0a46c472f65178d
	.section	.bss,"aw",@nobits
	.globl	__hip_cuid_c0a46c472f65178d
__hip_cuid_c0a46c472f65178d:
	.byte	0                               ; 0x0
	.size	__hip_cuid_c0a46c472f65178d, 1

	.ident	"AMD clang version 22.0.0git (https://github.com/RadeonOpenCompute/llvm-project roc-7.2.4 26084 f58b06dce1f9c15707c5f808fd002e18c2accf7e)"
	.section	".note.GNU-stack","",@progbits
	.addrsig
	.addrsig_sym __hip_cuid_c0a46c472f65178d
	.amdgpu_metadata
---
amdhsa.kernels:
  - .args:
      - .address_space:  global
        .offset:         0
        .size:           8
        .value_kind:     global_buffer
      - .address_space:  global
        .offset:         8
        .size:           8
        .value_kind:     global_buffer
      - .address_space:  global
        .offset:         16
        .size:           8
        .value_kind:     global_buffer
      - .address_space:  global
        .offset:         24
        .size:           8
        .value_kind:     global_buffer
    .group_segment_fixed_size: 0
    .kernarg_segment_align: 8
    .kernarg_segment_size: 32
    .language:       OpenCL C
    .language_version:
      - 2
      - 0
    .max_flat_workgroup_size: 1024
    .name:           _Z10PingKernelP10LLFifoLineS0_PmPj
    .private_segment_fixed_size: 0
    .sgpr_count:     18
    .sgpr_spill_count: 0
    .symbol:         _Z10PingKernelP10LLFifoLineS0_PmPj.kd
    .uniform_work_group_size: 1
    .uses_dynamic_stack: false
    .vgpr_count:     16
    .vgpr_spill_count: 0
    .wavefront_size: 32
  - .args:
      - .address_space:  global
        .offset:         0
        .size:           8
        .value_kind:     global_buffer
      - .address_space:  global
        .offset:         8
        .size:           8
        .value_kind:     global_buffer
      - .address_space:  global
        .offset:         16
        .size:           8
        .value_kind:     global_buffer
      - .address_space:  global
        .offset:         24
        .size:           8
        .value_kind:     global_buffer
    .group_segment_fixed_size: 0
    .kernarg_segment_align: 8
    .kernarg_segment_size: 32
    .language:       OpenCL C
    .language_version:
      - 2
      - 0
    .max_flat_workgroup_size: 1024
    .name:           _Z10PongKernelP10LLFifoLineS0_PmPj
    .private_segment_fixed_size: 0
    .sgpr_count:     22
    .sgpr_spill_count: 0
    .symbol:         _Z10PongKernelP10LLFifoLineS0_PmPj.kd
    .uniform_work_group_size: 1
    .uses_dynamic_stack: false
    .vgpr_count:     16
    .vgpr_spill_count: 0
    .wavefront_size: 32
amdhsa.target:   amdgcn-amd-amdhsa--gfx1250
amdhsa.version:
  - 1
  - 2
...

	.end_amdgpu_metadata
